;; amdgpu-corpus repo=ggml-org/llama.cpp kind=compiled arch=gfx1100 opt=O3
	.text
	.amdgcn_target "amdgcn-amd-amdhsa--gfx1100"
	.amdhsa_code_object_version 6
	.section	.text._ZL18flash_attn_ext_f16ILi64ELi64ELi16ELi4ELb0ELb0EEvPKcS1_S1_S1_S1_PKiPfP15HIP_vector_typeIfLj2EEffffjfiS5_IjLj3EEiiiiiiiiiiiliiliiiiil,"axG",@progbits,_ZL18flash_attn_ext_f16ILi64ELi64ELi16ELi4ELb0ELb0EEvPKcS1_S1_S1_S1_PKiPfP15HIP_vector_typeIfLj2EEffffjfiS5_IjLj3EEiiiiiiiiiiiliiliiiiil,comdat
	.globl	_ZL18flash_attn_ext_f16ILi64ELi64ELi16ELi4ELb0ELb0EEvPKcS1_S1_S1_S1_PKiPfP15HIP_vector_typeIfLj2EEffffjfiS5_IjLj3EEiiiiiiiiiiiliiliiiiil ; -- Begin function _ZL18flash_attn_ext_f16ILi64ELi64ELi16ELi4ELb0ELb0EEvPKcS1_S1_S1_S1_PKiPfP15HIP_vector_typeIfLj2EEffffjfiS5_IjLj3EEiiiiiiiiiiiliiliiiiil
	.p2align	8
	.type	_ZL18flash_attn_ext_f16ILi64ELi64ELi16ELi4ELb0ELb0EEvPKcS1_S1_S1_S1_PKiPfP15HIP_vector_typeIfLj2EEffffjfiS5_IjLj3EEiiiiiiiiiiiliiliiiiil,@function
_ZL18flash_attn_ext_f16ILi64ELi64ELi16ELi4ELb0ELb0EEvPKcS1_S1_S1_S1_PKiPfP15HIP_vector_typeIfLj2EEffffjfiS5_IjLj3EEiiiiiiiiiiiliiliiiiil: ; @_ZL18flash_attn_ext_f16ILi64ELi64ELi16ELi4ELb0ELb0EEvPKcS1_S1_S1_S1_PKiPfP15HIP_vector_typeIfLj2EEffffjfiS5_IjLj3EEiiiiiiiiiiiliiliiiiil
; %bb.0:
	s_clause 0x2
	s_load_b64 s[2:3], s[0:1], 0x80
	s_load_b128 s[8:11], s[0:1], 0x64
	; meta instruction
	s_load_b32 s23, s[0:1], 0xd0
	s_mov_b32 s22, s15
	s_waitcnt lgkmcnt(0)
	s_abs_i32 s4, s3
	s_abs_i32 s7, s9
	v_cvt_f32_u32_e32 v1, s4
	s_sub_i32 s6, 0, s4
	v_cvt_f32_u32_e32 v2, s23
	s_delay_alu instid0(VALU_DEP_2) | instskip(SKIP_2) | instid1(VALU_DEP_1)
	v_rcp_iflag_f32_e32 v1, v1
	s_waitcnt_depctr 0xfff
	v_mul_f32_e32 v1, 0x4f7ffffe, v1
	v_cvt_u32_f32_e32 v1, v1
	s_delay_alu instid0(VALU_DEP_1) | instskip(SKIP_1) | instid1(VALU_DEP_2)
	v_readfirstlane_b32 s5, v1
	v_cvt_f32_ubyte0_e32 v1, 0
	s_mul_i32 s6, s6, s5
	s_delay_alu instid0(SALU_CYCLE_1) | instskip(NEXT) | instid1(SALU_CYCLE_1)
	s_mul_hi_u32 s6, s5, s6
	s_add_i32 s5, s5, s6
	s_xor_b32 s6, s9, s3
	s_mul_hi_u32 s5, s7, s5
	s_ashr_i32 s6, s6, 31
	s_mul_i32 s12, s5, s4
	s_delay_alu instid0(SALU_CYCLE_1)
	s_sub_i32 s7, s7, s12
	s_add_i32 s12, s5, 1
	s_sub_i32 s13, s7, s4
	s_cmp_ge_u32 s7, s4
	s_cselect_b32 s5, s12, s5
	s_cselect_b32 s7, s13, s7
	s_add_i32 s12, s5, 1
	s_cmp_ge_u32 s7, s4
	s_cselect_b32 s4, s12, s5
	s_add_i32 s2, s2, 63
	s_xor_b32 s4, s4, s6
	s_add_i32 s5, s8, 15
	s_ashr_i32 s7, s2, 31
	s_sub_i32 s76, s4, s6
	s_lshr_b32 s12, s5, 4
	s_add_i32 s4, s76, 3
	s_lshr_b32 s5, s7, 26
	s_ashr_i32 s6, s4, 31
	s_add_i32 s2, s2, s5
	v_writelane_b32 v255, s12, 0
	s_lshr_b32 s5, s6, 30
	s_ashr_i32 s81, s2, 6
	s_add_i32 s4, s4, s5
	s_mul_i32 s5, s12, s81
	s_ashr_i32 s2, s4, 2
	v_writelane_b32 v255, s5, 1
	s_mul_i32 s2, s5, s2
	s_delay_alu instid0(SALU_CYCLE_1) | instskip(SKIP_1) | instid1(SALU_CYCLE_1)
	v_writelane_b32 v255, s2, 2
	s_mul_i32 s2, s2, s3
	s_mul_i32 s4, s2, s10
	s_delay_alu instid0(SALU_CYCLE_1)
	s_ashr_i32 s5, s4, 31
	v_writelane_b32 v255, s2, 3
	s_mul_hi_u32 s3, s4, s15
	s_mul_i32 s6, s5, s15
	s_mov_b32 s2, 0
	s_add_i32 s3, s3, s6
	s_add_u32 s6, s0, 0xd0
	s_addc_u32 s7, s1, 0
	v_writelane_b32 v255, s6, 4
	s_cmp_lg_u64 s[2:3], 0
	v_writelane_b32 v255, s7, 5
	s_mul_i32 s6, s4, s15
	s_cbranch_scc0 .LBB0_5
; %bb.1:
	v_fmamk_f32 v3, v1, 0x4f800000, v2
	s_sub_u32 s12, 0, s23
	s_subb_u32 s13, 0, 0
	s_delay_alu instid0(VALU_DEP_1) | instskip(SKIP_2) | instid1(VALU_DEP_1)
	v_rcp_f32_e32 v3, v3
	s_waitcnt_depctr 0xfff
	v_mul_f32_e32 v3, 0x5f7ffffc, v3
	v_mul_f32_e32 v4, 0x2f800000, v3
	s_delay_alu instid0(VALU_DEP_1) | instskip(NEXT) | instid1(VALU_DEP_1)
	v_trunc_f32_e32 v4, v4
	v_fmamk_f32 v3, v4, 0xcf800000, v3
	v_cvt_u32_f32_e32 v4, v4
	s_delay_alu instid0(VALU_DEP_2) | instskip(NEXT) | instid1(VALU_DEP_2)
	v_cvt_u32_f32_e32 v3, v3
	v_readfirstlane_b32 s7, v4
	s_delay_alu instid0(VALU_DEP_2) | instskip(NEXT) | instid1(VALU_DEP_2)
	v_readfirstlane_b32 s10, v3
	s_mul_i32 s14, s12, s7
	s_delay_alu instid0(VALU_DEP_1)
	s_mul_hi_u32 s16, s12, s10
	s_mul_i32 s15, s13, s10
	s_add_i32 s14, s16, s14
	s_mul_i32 s17, s12, s10
	s_add_i32 s14, s14, s15
	s_mul_hi_u32 s16, s10, s17
	s_mul_hi_u32 s18, s7, s17
	s_mul_i32 s15, s7, s17
	s_mul_hi_u32 s17, s10, s14
	s_mul_i32 s10, s10, s14
	s_mul_hi_u32 s19, s7, s14
	s_add_u32 s10, s16, s10
	s_addc_u32 s16, 0, s17
	s_add_u32 s10, s10, s15
	s_mul_i32 s14, s7, s14
	s_addc_u32 s10, s16, s18
	s_addc_u32 s15, s19, 0
	s_add_u32 s10, s10, s14
	s_addc_u32 s14, 0, s15
	v_add_co_u32 v3, s10, v3, s10
	s_delay_alu instid0(VALU_DEP_1) | instskip(SKIP_1) | instid1(VALU_DEP_1)
	s_cmp_lg_u32 s10, 0
	s_addc_u32 s7, s7, s14
	v_readfirstlane_b32 s10, v3
	s_mul_i32 s14, s12, s7
	s_delay_alu instid0(VALU_DEP_1)
	s_mul_hi_u32 s15, s12, s10
	s_mul_i32 s13, s13, s10
	s_add_i32 s14, s15, s14
	s_mul_i32 s12, s12, s10
	s_add_i32 s14, s14, s13
	s_mul_hi_u32 s15, s7, s12
	s_mul_i32 s16, s7, s12
	s_mul_hi_u32 s12, s10, s12
	s_mul_hi_u32 s17, s10, s14
	s_mul_i32 s10, s10, s14
	s_mul_hi_u32 s13, s7, s14
	s_add_u32 s10, s12, s10
	s_addc_u32 s12, 0, s17
	s_add_u32 s10, s10, s16
	s_mul_i32 s14, s7, s14
	s_addc_u32 s10, s12, s15
	s_addc_u32 s12, s13, 0
	s_add_u32 s10, s10, s14
	s_addc_u32 s12, 0, s12
	v_add_co_u32 v3, s10, v3, s10
	s_delay_alu instid0(VALU_DEP_1) | instskip(SKIP_2) | instid1(SALU_CYCLE_1)
	s_cmp_lg_u32 s10, 0
	s_addc_u32 s7, s7, s12
	s_ashr_i32 s12, s3, 31
	s_add_u32 s14, s6, s12
	s_addc_u32 s15, s3, s12
	v_readfirstlane_b32 s3, v3
	s_mov_b32 s13, s12
	s_delay_alu instid0(SALU_CYCLE_1) | instskip(NEXT) | instid1(SALU_CYCLE_1)
	s_xor_b64 s[14:15], s[14:15], s[12:13]
	s_mul_i32 s16, s14, s7
	s_delay_alu instid0(VALU_DEP_1)
	s_mul_hi_u32 s17, s14, s3
	s_mul_hi_u32 s10, s14, s7
	;; [unrolled: 1-line block ×3, first 2 shown]
	s_mul_i32 s3, s15, s3
	s_add_u32 s16, s17, s16
	s_addc_u32 s10, 0, s10
	s_mul_hi_u32 s18, s15, s7
	s_add_u32 s3, s16, s3
	s_mul_i32 s7, s15, s7
	s_addc_u32 s3, s10, s19
	s_addc_u32 s10, s18, 0
	s_add_u32 s3, s3, s7
	s_addc_u32 s7, 0, s10
	s_mul_i32 s16, s23, s3
	s_add_u32 s10, s3, 1
	v_sub_co_u32 v3, s14, s14, s16
	s_mul_hi_u32 s16, s23, s3
	s_addc_u32 s17, s7, 0
	s_mul_i32 s18, s23, s7
	s_delay_alu instid0(VALU_DEP_1)
	v_sub_co_u32 v4, s19, v3, s23
	s_add_u32 s20, s3, 2
	s_addc_u32 s21, s7, 0
	s_add_i32 s16, s16, s18
	s_cmp_lg_u32 s14, 0
	v_readfirstlane_b32 s14, v4
	s_subb_u32 s15, s15, s16
	s_cmp_lg_u32 s19, 0
	s_subb_u32 s16, s15, 0
	s_delay_alu instid0(VALU_DEP_1) | instskip(SKIP_4) | instid1(SALU_CYCLE_1)
	s_cmp_ge_u32 s14, s23
	s_cselect_b32 s14, -1, 0
	s_cmp_eq_u32 s16, 0
	v_readfirstlane_b32 s16, v3
	s_cselect_b32 s14, s14, -1
	s_cmp_lg_u32 s14, 0
	s_cselect_b32 s10, s20, s10
	s_cselect_b32 s14, s21, s17
	s_cmp_ge_u32 s16, s23
	s_cselect_b32 s16, -1, 0
	s_cmp_eq_u32 s15, 0
	s_cselect_b32 s15, s16, -1
	s_delay_alu instid0(SALU_CYCLE_1) | instskip(SKIP_2) | instid1(SALU_CYCLE_1)
	s_cmp_lg_u32 s15, 0
	s_cselect_b32 s15, s14, s7
	s_cselect_b32 s14, s10, s3
	s_xor_b64 s[14:15], s[14:15], s[12:13]
	s_delay_alu instid0(SALU_CYCLE_1)
	s_sub_u32 s58, s14, s12
	s_load_b64 s[56:57], s[0:1], 0x74
	v_cvt_f32_u32_e32 v3, s23
	s_and_not1_b32 vcc_lo, exec_lo, s2
	s_cbranch_vccnz .LBB0_3
.LBB0_2:
	s_delay_alu instid0(VALU_DEP_1) | instskip(SKIP_3) | instid1(VALU_DEP_1)
	v_rcp_iflag_f32_e32 v4, v3
	s_sub_i32 s3, 0, s23
	s_waitcnt_depctr 0xfff
	v_mul_f32_e32 v4, 0x4f7ffffe, v4
	v_cvt_u32_f32_e32 v4, v4
	s_delay_alu instid0(VALU_DEP_1) | instskip(NEXT) | instid1(VALU_DEP_1)
	v_readfirstlane_b32 s2, v4
	s_mul_i32 s3, s3, s2
	s_delay_alu instid0(SALU_CYCLE_1) | instskip(NEXT) | instid1(SALU_CYCLE_1)
	s_mul_hi_u32 s3, s2, s3
	s_add_i32 s2, s2, s3
	s_delay_alu instid0(SALU_CYCLE_1) | instskip(NEXT) | instid1(SALU_CYCLE_1)
	s_mul_hi_u32 s2, s6, s2
	s_mul_i32 s3, s2, s23
	s_delay_alu instid0(SALU_CYCLE_1)
	s_sub_i32 s3, s6, s3
	s_add_i32 s6, s2, 1
	s_sub_i32 s7, s3, s23
	s_cmp_ge_u32 s3, s23
	s_cselect_b32 s2, s6, s2
	s_cselect_b32 s3, s7, s3
	s_add_i32 s6, s2, 1
	s_cmp_ge_u32 s3, s23
	s_cselect_b32 s58, s6, s2
.LBB0_3:
	s_add_i32 s6, s22, 1
	s_delay_alu instid0(SALU_CYCLE_1) | instskip(SKIP_4) | instid1(SALU_CYCLE_1)
	s_mul_i32 s2, s5, s6
	s_mul_hi_u32 s3, s4, s6
	s_mul_i32 s4, s4, s6
	s_add_i32 s3, s3, s2
	s_mov_b32 s2, 0
	s_cmp_lg_u64 s[2:3], 0
	s_cbranch_scc0 .LBB0_6
; %bb.4:
	v_fmamk_f32 v1, v1, 0x4f800000, v2
	s_sub_u32 s7, 0, s23
	s_subb_u32 s10, 0, 0
	s_delay_alu instid0(VALU_DEP_1) | instskip(SKIP_2) | instid1(VALU_DEP_1)
	v_rcp_f32_e32 v1, v1
	s_waitcnt_depctr 0xfff
	v_mul_f32_e32 v1, 0x5f7ffffc, v1
	v_mul_f32_e32 v2, 0x2f800000, v1
	s_delay_alu instid0(VALU_DEP_1) | instskip(NEXT) | instid1(VALU_DEP_1)
	v_trunc_f32_e32 v2, v2
	v_fmamk_f32 v1, v2, 0xcf800000, v1
	v_cvt_u32_f32_e32 v2, v2
	s_delay_alu instid0(VALU_DEP_2) | instskip(NEXT) | instid1(VALU_DEP_2)
	v_cvt_u32_f32_e32 v1, v1
	v_readfirstlane_b32 s5, v2
	s_delay_alu instid0(VALU_DEP_2) | instskip(NEXT) | instid1(VALU_DEP_2)
	v_readfirstlane_b32 s6, v1
	s_mul_i32 s12, s7, s5
	s_delay_alu instid0(VALU_DEP_1)
	s_mul_hi_u32 s14, s7, s6
	s_mul_i32 s13, s10, s6
	s_add_i32 s12, s14, s12
	s_mul_i32 s15, s7, s6
	s_add_i32 s12, s12, s13
	s_mul_hi_u32 s14, s6, s15
	s_mul_hi_u32 s16, s5, s15
	s_mul_i32 s13, s5, s15
	s_mul_hi_u32 s15, s6, s12
	s_mul_i32 s6, s6, s12
	s_mul_hi_u32 s17, s5, s12
	s_add_u32 s6, s14, s6
	s_addc_u32 s14, 0, s15
	s_add_u32 s6, s6, s13
	s_mul_i32 s12, s5, s12
	s_addc_u32 s6, s14, s16
	s_addc_u32 s13, s17, 0
	s_add_u32 s6, s6, s12
	s_addc_u32 s12, 0, s13
	v_add_co_u32 v1, s6, v1, s6
	s_delay_alu instid0(VALU_DEP_1) | instskip(SKIP_1) | instid1(VALU_DEP_1)
	s_cmp_lg_u32 s6, 0
	s_addc_u32 s5, s5, s12
	v_readfirstlane_b32 s6, v1
	s_mul_i32 s12, s7, s5
	s_delay_alu instid0(VALU_DEP_1)
	s_mul_hi_u32 s13, s7, s6
	s_mul_i32 s10, s10, s6
	s_add_i32 s12, s13, s12
	s_mul_i32 s7, s7, s6
	s_add_i32 s12, s12, s10
	s_mul_hi_u32 s13, s5, s7
	s_mul_i32 s14, s5, s7
	s_mul_hi_u32 s7, s6, s7
	s_mul_hi_u32 s15, s6, s12
	s_mul_i32 s6, s6, s12
	s_mul_hi_u32 s10, s5, s12
	s_add_u32 s6, s7, s6
	s_addc_u32 s7, 0, s15
	s_add_u32 s6, s6, s14
	s_mul_i32 s12, s5, s12
	s_addc_u32 s6, s7, s13
	s_addc_u32 s7, s10, 0
	s_add_u32 s6, s6, s12
	s_addc_u32 s7, 0, s7
	v_add_co_u32 v1, s6, v1, s6
	s_delay_alu instid0(VALU_DEP_1) | instskip(SKIP_2) | instid1(SALU_CYCLE_1)
	s_cmp_lg_u32 s6, 0
	s_addc_u32 s5, s5, s7
	s_ashr_i32 s6, s3, 31
	s_add_u32 s12, s4, s6
	s_addc_u32 s13, s3, s6
	v_readfirstlane_b32 s3, v1
	s_mov_b32 s7, s6
	s_delay_alu instid0(SALU_CYCLE_1) | instskip(NEXT) | instid1(SALU_CYCLE_1)
	s_xor_b64 s[12:13], s[12:13], s[6:7]
	s_mul_i32 s14, s12, s5
	s_delay_alu instid0(VALU_DEP_1)
	s_mul_hi_u32 s15, s12, s3
	s_mul_hi_u32 s10, s12, s5
	;; [unrolled: 1-line block ×3, first 2 shown]
	s_mul_i32 s3, s13, s3
	s_add_u32 s14, s15, s14
	s_addc_u32 s10, 0, s10
	s_mul_hi_u32 s16, s13, s5
	s_add_u32 s3, s14, s3
	s_mul_i32 s5, s13, s5
	s_addc_u32 s3, s10, s17
	s_addc_u32 s10, s16, 0
	s_add_u32 s3, s3, s5
	s_addc_u32 s5, 0, s10
	s_mul_i32 s14, s23, s3
	s_add_u32 s10, s3, 1
	v_sub_co_u32 v1, s12, s12, s14
	s_mul_hi_u32 s14, s23, s3
	s_addc_u32 s15, s5, 0
	s_mul_i32 s16, s23, s5
	s_delay_alu instid0(VALU_DEP_1)
	v_sub_co_u32 v2, s17, v1, s23
	s_add_u32 s18, s3, 2
	s_addc_u32 s19, s5, 0
	s_add_i32 s14, s14, s16
	s_cmp_lg_u32 s12, 0
	v_readfirstlane_b32 s12, v2
	s_subb_u32 s13, s13, s14
	s_cmp_lg_u32 s17, 0
	s_subb_u32 s14, s13, 0
	s_delay_alu instid0(VALU_DEP_1) | instskip(SKIP_4) | instid1(SALU_CYCLE_1)
	s_cmp_ge_u32 s12, s23
	s_cselect_b32 s12, -1, 0
	s_cmp_eq_u32 s14, 0
	v_readfirstlane_b32 s14, v1
	s_cselect_b32 s12, s12, -1
	s_cmp_lg_u32 s12, 0
	s_cselect_b32 s10, s18, s10
	s_cselect_b32 s12, s19, s15
	s_cmp_ge_u32 s14, s23
	s_cselect_b32 s14, -1, 0
	s_cmp_eq_u32 s13, 0
	s_cselect_b32 s13, s14, -1
	s_delay_alu instid0(SALU_CYCLE_1) | instskip(SKIP_2) | instid1(SALU_CYCLE_1)
	s_cmp_lg_u32 s13, 0
	s_cselect_b32 s13, s12, s5
	s_cselect_b32 s12, s10, s3
	s_xor_b64 s[12:13], s[12:13], s[6:7]
	s_delay_alu instid0(SALU_CYCLE_1)
	s_sub_u32 s62, s12, s6
	s_branch .LBB0_7
.LBB0_5:
                                        ; implicit-def: $sgpr58_sgpr59
	s_load_b64 s[56:57], s[0:1], 0x74
	v_cvt_f32_u32_e32 v3, s23
	s_branch .LBB0_2
.LBB0_6:
	s_mov_b32 s2, -1
                                        ; implicit-def: $sgpr62_sgpr63
.LBB0_7:
	s_load_b64 s[34:35], s[0:1], 0x5c
	v_writelane_b32 v255, s22, 6
	s_and_not1_b32 vcc_lo, exec_lo, s2
	s_cbranch_vccnz .LBB0_9
; %bb.8:
	v_rcp_iflag_f32_e32 v1, v3
	s_sub_i32 s3, 0, s23
	s_waitcnt_depctr 0xfff
	v_mul_f32_e32 v1, 0x4f7ffffe, v1
	s_delay_alu instid0(VALU_DEP_1) | instskip(NEXT) | instid1(VALU_DEP_1)
	v_cvt_u32_f32_e32 v1, v1
	v_readfirstlane_b32 s2, v1
	s_delay_alu instid0(VALU_DEP_1) | instskip(NEXT) | instid1(SALU_CYCLE_1)
	s_mul_i32 s3, s3, s2
	s_mul_hi_u32 s3, s2, s3
	s_delay_alu instid0(SALU_CYCLE_1) | instskip(NEXT) | instid1(SALU_CYCLE_1)
	s_add_i32 s2, s2, s3
	s_mul_hi_u32 s2, s4, s2
	s_delay_alu instid0(SALU_CYCLE_1) | instskip(NEXT) | instid1(SALU_CYCLE_1)
	s_mul_i32 s3, s2, s23
	s_sub_i32 s3, s4, s3
	s_add_i32 s4, s2, 1
	s_sub_i32 s5, s3, s23
	s_cmp_ge_u32 s3, s23
	s_cselect_b32 s2, s4, s2
	s_cselect_b32 s3, s5, s3
	s_add_i32 s4, s2, 1
	s_cmp_ge_u32 s3, s23
	s_cselect_b32 s62, s4, s2
.LBB0_9:
	s_abs_i32 s63, s81
	v_writelane_b32 v255, s23, 7
	v_cvt_f32_u32_e32 v1, s63
	s_clause 0x6
	s_load_b512 s[16:31], s[0:1], 0x0
	s_load_b32 s2, s[0:1], 0x40
	s_load_b64 s[4:5], s[0:1], 0x8c
	s_load_b128 s[44:47], s[0:1], 0x98
	s_load_b64 s[50:51], s[0:1], 0xa8
	s_load_b64 s[54:55], s[0:1], 0xb8
	;; [unrolled: 1-line block ×3, first 2 shown]
	s_sub_i32 s3, 0, s63
	s_abs_i32 s1, s58
	s_ashr_i32 s33, s11, 3
	v_rcp_iflag_f32_e32 v1, v1
	s_waitcnt lgkmcnt(0)
	s_ashr_i32 s6, s56, 3
	s_ashr_i32 s0, s58, 31
	;; [unrolled: 1-line block ×3, first 2 shown]
	v_bfe_u32 v245, v0, 10, 10
	v_and_b32_e32 v64, 0x3ff, v0
	s_mov_b32 s65, 0
	s_delay_alu instid0(VALU_DEP_2)
	v_add_nc_u32_e32 v243, 4, v245
	s_waitcnt_depctr 0xfff
	v_mul_f32_e32 v1, 0x4f7ffffe, v1
	v_cvt_f16_f32_e32 v0, s2
	v_writelane_b32 v255, s4, 8
	s_ashr_i32 s12, s4, 2
	s_ashr_i32 s10, s46, 2
	v_cvt_u32_f32_e32 v1, v1
	s_ashr_i32 s48, s55, 1
	v_writelane_b32 v255, s5, 9
	v_add_nc_u32_e32 v242, 8, v245
	v_add_nc_u32_e32 v212, 12, v245
	v_readfirstlane_b32 s83, v1
	v_and_b32_e32 v65, 3, v245
	v_lshrrev_b32_e32 v144, 2, v245
	v_mul_u32_u24_e32 v244, 36, v245
	v_add_nc_u32_e32 v32, 16, v245
	s_mul_i32 s3, s3, s83
	v_add_nc_u32_e32 v33, 20, v245
	s_mul_hi_u32 s3, s83, s3
	v_add_nc_u32_e32 v30, 24, v245
	s_add_i32 s83, s83, s3
	v_add_nc_u32_e32 v31, 28, v245
	s_mul_hi_u32 s3, s1, s83
	v_add_nc_u32_e32 v29, 32, v245
	s_mul_i32 s3, s3, s63
	v_add_nc_u32_e32 v28, 36, v245
	s_sub_i32 s1, s1, s3
	v_add_nc_u32_e32 v27, 40, v245
	s_sub_i32 s3, s1, s63
	s_cmp_ge_u32 s1, s63
	v_add_nc_u32_e32 v26, 44, v245
	s_cselect_b32 s1, s3, s1
	v_add_nc_u32_e32 v25, 48, v245
	s_sub_i32 s3, s1, s63
	s_cmp_ge_u32 s1, s63
	v_add_nc_u32_e32 v24, 52, v245
	s_cselect_b32 s1, s3, s1
	s_sub_i32 s3, s62, s58
	s_xor_b32 s1, s1, s0
	v_add_nc_u32_e32 v23, 56, v245
	s_sub_i32 s102, s1, s0
	v_add_nc_u32_e32 v22, 60, v245
	s_add_i32 s3, s3, s102
	v_pack_b32_f16 v143, v0, v0
	s_min_i32 s101, s81, s3
	s_cmp_gt_i32 s62, s58
	v_and_b32_e32 v213, 15, v245
	s_cselect_b32 s1, -1, 0
	s_cmp_le_i32 s62, s58
	v_writelane_b32 v255, s6, 10
	s_cselect_b32 s0, -1, 0
	s_cmp_gt_i32 s81, s3
	s_clause 0xb
	scratch_store_b32 off, v22, off offset:100
	scratch_store_b32 off, v23, off offset:104
	;; [unrolled: 1-line block ×12, first 2 shown]
	s_cselect_b32 s2, -1, 0
	s_delay_alu instid0(SALU_CYCLE_1) | instskip(NEXT) | instid1(SALU_CYCLE_1)
	s_or_b32 s0, s2, s0
	s_and_b32 vcc_lo, exec_lo, s0
	s_cbranch_vccz .LBB0_12
; %bb.10:
	s_and_not1_b32 vcc_lo, exec_lo, s1
	s_cbranch_vccz .LBB0_356
.LBB0_11:
	s_endpgm
.LBB0_12:
	v_lshrrev_b32_e32 v0, 3, v64
	s_cmp_eq_u64 s[24:25], 0
	v_lshrrev_b32_e32 v184, 2, v23
	s_cselect_b32 s0, -1, 0
	s_cmp_lg_u64 s[26:27], 0
	v_lshl_add_u32 v1, v245, 2, v0
	v_writelane_b32 v255, s0, 11
	s_cselect_b32 s0, -1, 0
	s_lshl_b32 s1, s10, 4
	s_ashr_i32 s49, s48, 31
	v_mul_lo_u32 v0, s12, v1
	v_writelane_b32 v255, s0, 12
	s_lshl_b32 s0, s12, 4
	v_mul_lo_u32 v2, s10, v1
	s_ashr_i32 s13, s12, 31
	s_ashr_i32 s11, s10, 31
	v_readlane_b32 s7, v255, 1
	v_readlane_b32 s14, v255, 2
	v_add_nc_u32_e32 v4, s0, v0
	v_readlane_b32 s5, v255, 3
	v_lshrrev_b32_e32 v185, 2, v22
	v_add_nc_u32_e32 v8, s1, v2
	v_lshlrev_b32_e32 v148, 2, v64
	v_add_nc_u32_e32 v6, s0, v4
	v_lshrrev_b32_e32 v149, 4, v64
	v_mul_u32_u24_e32 v19, 0x90, v1
	v_add_nc_u32_e32 v12, s1, v8
	v_and_b32_e32 v18, 28, v148
	v_add_nc_u32_e32 v10, s0, v6
	v_readlane_b32 s0, v255, 6
	v_ashrrev_i32_e32 v1, 31, v0
	v_add_nc_u32_e32 v14, s1, v12
	v_lshlrev_b32_e32 v21, 2, v18
	v_add_nc_u32_e32 v154, 0, v148
	s_lshl_b32 s64, s0, 6
	v_lshrrev_b32_e32 v183, 2, v24
	s_lshl_b64 s[2:3], s[64:65], 3
	v_add3_u32 v153, 0, v19, v21
	s_add_u32 s1, s30, s2
	s_addc_u32 s2, s31, s3
	s_abs_i32 s86, s7
	s_abs_i32 s85, s14
	v_cvt_f32_u32_e32 v23, s86
	v_cvt_f32_u32_e32 v22, s85
	s_abs_i32 s84, s5
	v_and_or_b32 v24, 0xf0, v29, v213
	v_lshrrev_b32_e32 v182, 2, v26
	v_rcp_iflag_f32_e32 v23, v23
	v_and_b32_e32 v16, 15, v64
	v_rcp_iflag_f32_e32 v22, v22
	v_lshrrev_b32_e32 v181, 2, v27
	v_lshlrev_b64 v[76:77], 2, v[0:1]
	v_ashrrev_i32_e32 v9, 31, v8
	v_ashrrev_i32_e32 v13, 31, v12
	s_abs_i32 s87, s54
	v_ashrrev_i32_e32 v15, 31, v14
	s_sub_i32 s4, 0, s84
	v_mul_f32_e32 v23, 0x4f7ffffe, v23
	v_mad_u32_u24 v150, 0x90, v16, 0
	v_lshlrev_b32_e32 v16, 2, v16
	v_mul_f32_e32 v22, 0x4f7ffffe, v22
	v_lshlrev_b64 v[70:71], 2, v[8:9]
	v_lshlrev_b64 v[72:73], 2, v[12:13]
	s_ashr_i32 s5, s5, 31
	v_add_nc_u32_e32 v159, 0, v16
	v_add3_u32 v160, 0, 0x900, v16
	v_add3_u32 v161, 0, 0x1200, v16
	;; [unrolled: 1-line block ×7, first 2 shown]
	v_cvt_f32_u32_e32 v16, s84
	v_lshlrev_b64 v[74:75], 2, v[14:15]
	v_writelane_b32 v255, s5, 13
	s_sub_i32 s5, 0, s85
	v_ashrrev_i32_e32 v5, 31, v4
	v_rcp_iflag_f32_e32 v16, v16
	v_lshlrev_b32_e32 v17, 4, v245
	v_ashrrev_i32_e32 v7, 31, v6
	v_ashrrev_i32_e32 v11, 31, v10
	v_lshlrev_b64 v[78:79], 2, v[4:5]
	v_mad_u32_u24 v151, 0x900, v245, v150
	v_mad_u64_u32 v[84:85], null, v65, s6, v[64:65]
	v_lshlrev_b64 v[80:81], 2, v[6:7]
	v_lshlrev_b64 v[82:83], 2, v[10:11]
	s_delay_alu instid0(TRANS32_DEP_1) | instskip(SKIP_3) | instid1(VALU_DEP_4)
	v_mul_f32_e32 v16, 0x4f7ffffe, v16
	v_and_or_b32 v3, v64, 12, v17
	v_or_b32_e32 v17, v17, v64
	v_dual_mov_b32 v146, 0 :: v_dual_lshlrev_b32 v145, 1, v64
	v_cvt_u32_f32_e32 v16, v16
	s_delay_alu instid0(VALU_DEP_4) | instskip(NEXT) | instid1(VALU_DEP_4)
	v_lshrrev_b32_e32 v20, 2, v3
	v_lshlrev_b32_e32 v21, 3, v17
	v_ashrrev_i32_e32 v3, 31, v2
	v_mul_u32_u24_e32 v17, 0x90, v17
	v_mul_u32_u24_e32 v147, 0x90, v245
	v_mad_u32_u24 v19, 0x90, v20, 0
	v_lshlrev_b32_e32 v20, 1, v149
	v_add_co_u32 v26, s1, s1, v21
	v_lshlrev_b64 v[68:69], 2, v[2:3]
	v_add_co_ci_u32_e64 v27, null, s2, 0, s1
	s_delay_alu instid0(VALU_DEP_4)
	v_add3_u32 v158, v19, v20, 0x2400
	v_and_or_b32 v20, 0xf0, v32, v213
	v_lshlrev_b32_e32 v19, 2, v244
	v_mul_u32_u24_e32 v21, 36, v24
	v_add_nc_u32_e32 v0, 0, v17
	scratch_store_b64 off, v[26:27], off offset:24 ; 8-byte Folded Spill
	v_mul_u32_u24_e32 v20, 36, v20
	v_add_nc_u32_e32 v168, v154, v19
	v_lshlrev_b32_e32 v21, 2, v21
	scratch_store_b32 off, v0, off offset:32 ; 4-byte Folded Spill
	v_readfirstlane_b32 s1, v16
	v_lshlrev_b32_e32 v20, 2, v20
	v_cvt_u32_f32_e32 v16, v22
	v_add_nc_u32_e32 v186, 0, v19
	v_add_co_u32 v0, vcc_lo, s20, v68
	s_delay_alu instid0(VALU_DEP_4)
	v_add_nc_u32_e32 v24, v154, v20
	v_add_nc_u32_e32 v19, 0, v20
	v_readfirstlane_b32 s2, v16
	v_add_nc_u32_e32 v16, v154, v21
	s_clause 0x1
	scratch_store_b32 off, v0, off offset:36
	scratch_store_b32 off, v24, off offset:148
	v_and_or_b32 v24, 0xf0, v25, v213
	scratch_store_b32 off, v19, off offset:152 ; 4-byte Folded Spill
	v_add_co_ci_u32_e32 v0, vcc_lo, s21, v69, vcc_lo
	v_cvt_u32_f32_e32 v22, v23
	v_mul_u32_u24_e32 v24, 36, v24
	s_clause 0x1
	scratch_store_b32 off, v16, off offset:156
	scratch_store_b32 off, v0, off offset:40
	v_add_nc_u32_e32 v19, 0, v21
	v_add_co_u32 v0, vcc_lo, s20, v70
	v_lshlrev_b32_e32 v24, 2, v24
	v_readfirstlane_b32 s3, v22
	s_clause 0x1
	scratch_store_b32 off, v19, off offset:160
	scratch_store_b32 off, v0, off offset:44
	v_add_co_ci_u32_e32 v0, vcc_lo, s21, v71, vcc_lo
	v_add_nc_u32_e32 v22, v154, v24
	v_cvt_f32_u32_e32 v23, s87
	v_add_nc_u32_e32 v19, 0, v24
	scratch_store_b32 off, v0, off offset:48 ; 4-byte Folded Spill
	v_add_co_u32 v0, vcc_lo, s20, v72
	scratch_store_b32 off, v22, off offset:164 ; 4-byte Folded Spill
	v_rcp_iflag_f32_e32 v16, v23
	s_mul_i32 s4, s4, s1
	s_clause 0x1
	scratch_store_b32 off, v19, off offset:168
	scratch_store_b32 off, v0, off offset:52
	v_add_co_ci_u32_e32 v0, vcc_lo, s21, v73, vcc_lo
	s_mul_hi_u32 s4, s1, s4
	s_mul_i32 s5, s5, s2
	s_add_i32 s1, s1, s4
	scratch_store_b32 off, v0, off offset:56 ; 4-byte Folded Spill
	v_writelane_b32 v255, s1, 14
	v_add_co_u32 v0, vcc_lo, s20, v74
	s_ashr_i32 s4, s14, 31
	v_mul_f32_e32 v16, 0x4f7ffffe, v16
	v_writelane_b32 v255, s4, 15
	scratch_store_b32 off, v0, off offset:60 ; 4-byte Folded Spill
	v_add_co_ci_u32_e32 v0, vcc_lo, s21, v75, vcc_lo
	s_mul_hi_u32 s1, s2, s5
	v_cvt_u32_f32_e32 v16, v16
	s_add_i32 s1, s2, s1
	scratch_store_b32 off, v0, off offset:64 ; 4-byte Folded Spill
	v_writelane_b32 v255, s1, 16
	v_add_co_u32 v0, vcc_lo, s18, v76
	s_sub_i32 s1, 0, s86
	s_ashr_i32 s4, s7, 31
	v_readfirstlane_b32 s2, v16
	s_mul_i32 s1, s1, s3
	v_writelane_b32 v255, s4, 17
	scratch_store_b32 off, v0, off offset:68 ; 4-byte Folded Spill
	v_add_co_ci_u32_e32 v0, vcc_lo, s19, v77, vcc_lo
	s_mul_hi_u32 s1, s3, s1
	s_sub_i32 s4, 0, s87
	s_add_i32 s1, s3, s1
	s_mul_i32 s4, s4, s2
	v_writelane_b32 v255, s1, 18
	scratch_store_b32 off, v0, off offset:72 ; 4-byte Folded Spill
	v_add_co_u32 v0, vcc_lo, s18, v78
	s_mul_hi_u32 s4, s2, s4
	v_and_b32_e32 v16, 7, v64
	s_add_i32 s1, s2, s4
	scratch_store_b32 off, v0, off offset:76 ; 4-byte Folded Spill
	v_writelane_b32 v255, s1, 19
	v_add_co_ci_u32_e32 v0, vcc_lo, s19, v79, vcc_lo
	s_lshl_b64 s[2:3], s[48:49], 1
	v_xor_b32_e32 v152, 1, v149
	v_writelane_b32 v255, s2, 20
	scratch_store_b32 off, v0, off offset:80 ; 4-byte Folded Spill
	v_add_co_u32 v0, vcc_lo, s18, v80
	v_add_nc_u32_e32 v155, 0x900, v153
	v_writelane_b32 v255, s3, 21
	v_add_nc_u32_e32 v156, 0x1200, v153
	scratch_store_b32 off, v0, off offset:84 ; 4-byte Folded Spill
	v_add_co_ci_u32_e32 v0, vcc_lo, s19, v81, vcc_lo
	v_writelane_b32 v255, s54, 22
	v_add_nc_u32_e32 v157, 0x1b00, v153
	v_and_b32_e32 v167, 3, v64
	scratch_store_b32 off, v0, off offset:88 ; 4-byte Folded Spill
	v_add_co_u32 v0, vcc_lo, s18, v82
	v_cmp_gt_u32_e64 s0, 16, v64
	v_lshrrev_b32_e32 v169, 2, v243
	v_add_nc_u32_e32 v170, 0x240, v168
	v_lshrrev_b32_e32 v171, 2, v242
	v_add_nc_u32_e32 v172, 0x480, v168
	;; [unrolled: 2-line block ×3, first 2 shown]
	v_lshrrev_b32_e32 v175, 2, v32
	v_lshrrev_b32_e32 v176, 2, v33
	;; [unrolled: 1-line block ×7, first 2 shown]
	v_lshlrev_b32_e32 v194, 4, v16
	v_lshlrev_b32_e32 v195, 2, v18
	v_lshl_add_u32 v197, v149, 2, v151
	scratch_store_b32 off, v0, off offset:92 ; 4-byte Folded Spill
	v_add_co_ci_u32_e32 v0, vcc_lo, s19, v83, vcc_lo
	v_mbcnt_lo_u32_b32 v214, -1, 0
	v_writelane_b32 v255, s55, 23
	s_lshl_b64 s[68:69], s[10:11], 8
	s_lshl_b64 s[70:71], s[12:13], 8
	s_mov_b32 s36, s65
	s_mov_b32 s37, s65
	;; [unrolled: 1-line block ×8, first 2 shown]
	scratch_store_b32 off, v0, off offset:96 ; 4-byte Folded Spill
	s_branch .LBB0_14
.LBB0_13:                               ;   in Loop: Header=BB0_14 Depth=1
	s_or_b32 exec_lo, exec_lo, s1
	s_add_i32 s1, s58, s81
	s_mov_b32 s102, 0
	s_abs_i32 s2, s1
	s_delay_alu instid0(SALU_CYCLE_1) | instskip(NEXT) | instid1(SALU_CYCLE_1)
	s_mul_hi_u32 s3, s2, s83
	s_mul_i32 s3, s3, s63
	s_delay_alu instid0(SALU_CYCLE_1) | instskip(SKIP_4) | instid1(SALU_CYCLE_1)
	s_sub_i32 s2, s2, s3
	s_ashr_i32 s3, s1, 31
	s_sub_i32 s4, s2, s63
	s_cmp_ge_u32 s2, s63
	s_cselect_b32 s2, s4, s2
	s_sub_i32 s4, s2, s63
	s_cmp_ge_u32 s2, s63
	s_cselect_b32 s2, s4, s2
	s_delay_alu instid0(SALU_CYCLE_1) | instskip(NEXT) | instid1(SALU_CYCLE_1)
	s_xor_b32 s2, s2, s3
	s_sub_i32 s2, s3, s2
	s_delay_alu instid0(SALU_CYCLE_1) | instskip(NEXT) | instid1(SALU_CYCLE_1)
	s_add_i32 s58, s1, s2
	s_sub_i32 s2, s62, s58
	s_delay_alu instid0(SALU_CYCLE_1) | instskip(SKIP_4) | instid1(SALU_CYCLE_1)
	s_min_i32 s101, s81, s2
	s_cmp_gt_i32 s62, s58
	s_cselect_b32 s1, -1, 0
	s_cmp_le_i32 s81, s2
	s_cselect_b32 s2, -1, 0
	s_and_b32 s2, s2, s1
	s_delay_alu instid0(SALU_CYCLE_1)
	s_and_b32 vcc_lo, exec_lo, s2
	s_cbranch_vccz .LBB0_355
.LBB0_14:                               ; =>This Loop Header: Depth=1
                                        ;     Child Loop BB0_87 Depth 2
                                        ;     Child Loop BB0_254 Depth 2
	v_readlane_b32 s2, v255, 14
	s_abs_i32 s1, s58
	v_readlane_b32 s5, v255, 13
	s_ashr_i32 s3, s58, 31
	v_readlane_b32 s7, v255, 15
	s_mul_hi_u32 s2, s1, s2
	v_readlane_b32 s14, v255, 17
	s_mul_i32 s4, s2, s84
	s_xor_b32 s3, s3, s5
	s_sub_i32 s1, s1, s4
	s_add_i32 s4, s2, 1
	s_sub_i32 s5, s1, s84
	s_cmp_ge_u32 s1, s84
	s_cselect_b32 s2, s4, s2
	s_cselect_b32 s1, s5, s1
	s_add_i32 s4, s2, 1
	s_cmp_ge_u32 s1, s84
	s_cselect_b32 s1, s4, s2
	v_readlane_b32 s2, v255, 3
	s_xor_b32 s1, s1, s3
	v_readlane_b32 s4, v255, 16
	s_sub_i32 s1, s1, s3
	s_delay_alu instid0(VALU_DEP_2) | instid1(SALU_CYCLE_1)
	s_mul_i32 s2, s1, s2
	s_delay_alu instid0(SALU_CYCLE_1) | instskip(NEXT) | instid1(SALU_CYCLE_1)
	s_sub_i32 s3, s58, s2
	s_abs_i32 s2, s3
	s_ashr_i32 s5, s3, 31
	s_mul_hi_u32 s4, s2, s4
	s_xor_b32 s5, s5, s7
	s_mul_i32 s6, s4, s85
	s_delay_alu instid0(SALU_CYCLE_1)
	s_sub_i32 s2, s2, s6
	s_add_i32 s6, s4, 1
	s_sub_i32 s7, s2, s85
	s_cmp_ge_u32 s2, s85
	s_cselect_b32 s4, s6, s4
	s_cselect_b32 s2, s7, s2
	s_add_i32 s6, s4, 1
	s_cmp_ge_u32 s2, s85
	s_cselect_b32 s2, s6, s4
	v_readlane_b32 s4, v255, 2
	s_xor_b32 s2, s2, s5
	s_delay_alu instid0(SALU_CYCLE_1) | instskip(SKIP_1) | instid1(VALU_DEP_2)
	s_sub_i32 s2, s2, s5
	v_readlane_b32 s5, v255, 18
	s_mul_i32 s4, s2, s4
	s_delay_alu instid0(SALU_CYCLE_1) | instskip(NEXT) | instid1(SALU_CYCLE_1)
	s_sub_i32 s4, s3, s4
	s_abs_i32 s3, s4
	s_ashr_i32 s6, s4, 31
	s_mul_hi_u32 s5, s3, s5
	s_xor_b32 s6, s6, s14
	s_mul_i32 s7, s5, s86
	s_delay_alu instid0(SALU_CYCLE_1)
	s_sub_i32 s3, s3, s7
	s_add_i32 s7, s5, 1
	s_sub_i32 s14, s3, s86
	s_cmp_ge_u32 s3, s86
	s_cselect_b32 s5, s7, s5
	s_cselect_b32 s3, s14, s3
	s_add_i32 s7, s5, 1
	s_cmp_ge_u32 s3, s86
	s_cselect_b32 s3, s7, s5
	v_readlane_b32 s5, v255, 1
	s_xor_b32 s3, s3, s6
	s_delay_alu instid0(SALU_CYCLE_1)
	s_sub_i32 s3, s3, s6
	s_delay_alu instid0(VALU_DEP_1) | instid1(SALU_CYCLE_1)
	s_mul_i32 s5, s3, s5
	s_delay_alu instid0(SALU_CYCLE_1) | instskip(NEXT) | instid1(SALU_CYCLE_1)
	s_sub_i32 s4, s4, s5
	s_abs_i32 s5, s4
	s_ashr_i32 s4, s4, 31
	s_mul_hi_u32 s6, s5, s83
	s_xor_b32 s4, s4, s82
	s_mul_i32 s7, s6, s63
	s_delay_alu instid0(SALU_CYCLE_1)
	s_sub_i32 s5, s5, s7
	s_add_i32 s7, s6, 1
	s_sub_i32 s14, s5, s63
	s_cmp_ge_u32 s5, s63
	s_cselect_b32 s6, s7, s6
	s_cselect_b32 s5, s14, s5
	s_add_i32 s7, s6, 1
	s_cmp_ge_u32 s5, s63
	s_cselect_b32 s5, s7, s6
	v_readlane_b32 s6, v255, 12
	s_xor_b32 s5, s5, s4
	s_delay_alu instid0(SALU_CYCLE_1) | instskip(NEXT) | instid1(VALU_DEP_1)
	s_sub_i32 s78, s5, s4
	s_and_not1_b32 vcc_lo, exec_lo, s6
	s_cbranch_vccnz .LBB0_16
; %bb.15:                               ;   in Loop: Header=BB0_14 Depth=1
	v_readlane_b32 s4, v255, 0
	s_delay_alu instid0(VALU_DEP_1) | instskip(NEXT) | instid1(SALU_CYCLE_1)
	s_mul_i32 s4, s1, s4
	s_add_i32 s4, s78, s4
	s_delay_alu instid0(SALU_CYCLE_1) | instskip(NEXT) | instid1(SALU_CYCLE_1)
	s_ashr_i32 s5, s4, 31
	s_lshl_b64 s[4:5], s[4:5], 2
	s_delay_alu instid0(SALU_CYCLE_1) | instskip(SKIP_4) | instid1(VALU_DEP_1)
	s_add_u32 s4, s26, s4
	s_addc_u32 s5, s27, s5
	global_load_b32 v0, v146, s[4:5]
	s_waitcnt vmcnt(0)
	v_readfirstlane_b32 s4, v0
	s_ashr_i32 s5, s4, 31
	s_delay_alu instid0(SALU_CYCLE_1) | instskip(NEXT) | instid1(SALU_CYCLE_1)
	s_lshr_b32 s5, s5, 26
	s_add_i32 s4, s4, s5
	s_delay_alu instid0(SALU_CYCLE_1) | instskip(NEXT) | instid1(SALU_CYCLE_1)
	s_ashr_i32 s4, s4, 6
	s_min_i32 s101, s101, s4
.LBB0_16:                               ;   in Loop: Header=BB0_14 Depth=1
	s_mul_i32 s4, s2, s76
	s_lshl_b32 s54, s3, 2
	s_mul_i32 s3, s1, s57
	s_add_i32 s4, s54, s4
	s_ashr_i32 s5, s3, 31
	s_mul_i32 s6, s4, s56
	s_add_u32 s3, s16, s3
	s_addc_u32 s5, s17, s5
	s_ashr_i32 s7, s6, 31
	v_readlane_b32 s14, v255, 8
	s_add_u32 s46, s3, s6
	v_readlane_b32 s15, v255, 9
	s_addc_u32 s55, s5, s7
	s_mul_i32 s3, s1, s45
	s_mul_hi_u32 s5, s1, s44
	s_ashr_i32 s7, s1, 31
	s_add_i32 s3, s5, s3
	s_mul_i32 s5, s7, s44
	s_mul_i32 s64, s1, s44
	s_add_i32 s103, s3, s5
	s_mul_i32 s104, s2, s15
	s_add_u32 s3, s18, s64
	s_addc_u32 s5, s19, s103
	s_ashr_i32 vcc_hi, s104, 31
	s_add_u32 s97, s3, s104
	s_addc_u32 s98, s5, vcc_hi
	v_readlane_b32 s5, v255, 19
	s_abs_i32 s3, s1
	s_mov_b32 s75, 0
	v_or_b32_e32 v216, s54, v65
	s_delay_alu instid0(VALU_DEP_2) | instskip(NEXT) | instid1(SALU_CYCLE_1)
	s_mul_hi_u32 s5, s3, s5
	s_mul_i32 s5, s5, s87
	s_delay_alu instid0(VALU_DEP_1) | instskip(SKIP_1) | instid1(SALU_CYCLE_1)
	v_cmp_gt_i32_e32 vcc_lo, s76, v216
	s_sub_i32 s3, s3, s5
	s_sub_i32 s5, s3, s87
	s_cmp_ge_u32 s3, s87
	s_cselect_b32 s3, s5, s3
	s_delay_alu instid0(SALU_CYCLE_1) | instskip(SKIP_2) | instid1(SALU_CYCLE_1)
	s_sub_i32 s5, s3, s87
	s_cmp_ge_u32 s3, s87
	s_cselect_b32 s3, s5, s3
	s_xor_b32 s3, s3, s7
	s_delay_alu instid0(SALU_CYCLE_1) | instskip(NEXT) | instid1(SALU_CYCLE_1)
	s_sub_i32 s3, s3, s7
	s_mul_i32 s5, s3, s53
	s_mul_hi_u32 s6, s3, s52
	s_ashr_i32 s14, s3, 31
	s_add_i32 s5, s6, s5
	s_mul_i32 s14, s14, s52
	s_mul_i32 s60, s3, s52
	;; [unrolled: 1-line block ×3, first 2 shown]
	s_add_i32 s6, s5, s14
	s_mul_i32 s3, s3, s1
	s_add_u32 s99, s22, s60
	s_addc_u32 s100, s23, s6
	s_add_i32 s3, s4, s3
	s_mul_hi_u32 s5, s1, s50
	s_lshl_b32 s74, s3, 5
	s_mul_i32 s3, s1, s51
	s_lshl_b64 s[14:15], s[74:75], 3
	s_delay_alu instid0(SALU_CYCLE_1)
	s_add_u32 s49, s28, s14
	s_addc_u32 s67, s29, s15
	s_add_i32 s3, s5, s3
	s_mul_i32 s5, s7, s50
	s_mul_i32 s7, s1, s50
	s_add_i32 s59, s3, s5
	s_mul_i32 s15, s2, s47
	s_add_u32 s1, s20, s7
	s_addc_u32 s2, s21, s59
	s_ashr_i32 s14, s15, 31
	s_add_u32 s95, s1, s15
	s_addc_u32 s96, s2, s14
	s_ashr_i32 s5, s4, 31
	s_delay_alu instid0(SALU_CYCLE_1) | instskip(NEXT) | instid1(SALU_CYCLE_1)
	s_lshl_b64 s[2:3], s[4:5], 2
	s_add_u32 s1, s24, s2
	s_addc_u32 s2, s25, s3
	v_readlane_b32 s3, v255, 11
	s_delay_alu instid0(VALU_DEP_1)
	s_and_b32 s3, s3, exec_lo
	s_cselect_b32 s73, 0, s2
	s_cselect_b32 s72, 0, s1
	s_cmp_lg_u32 s102, 0
	s_cbranch_scc0 .LBB0_83
; %bb.17:                               ;   in Loop: Header=BB0_14 Depth=1
	s_lshl_b32 s2, s78, 4
	s_xor_b32 s3, vcc_lo, -1
	v_add_nc_u32_e32 v231, s2, v144
	s_delay_alu instid0(VALU_DEP_1) | instskip(NEXT) | instid1(VALU_DEP_1)
	v_cmp_le_i32_e64 s1, s8, v231
	s_or_b32 s1, s1, s3
	s_delay_alu instid0(SALU_CYCLE_1) | instskip(NEXT) | instid1(SALU_CYCLE_1)
	s_and_saveexec_b32 s4, s1
	s_xor_b32 s1, exec_lo, s4
	s_cbranch_execz .LBB0_19
; %bb.18:                               ;   in Loop: Header=BB0_14 Depth=1
	ds_store_b32 v168, v146
.LBB0_19:                               ;   in Loop: Header=BB0_14 Depth=1
	s_and_not1_saveexec_b32 s1, s1
	s_cbranch_execz .LBB0_21
; %bb.20:                               ;   in Loop: Header=BB0_14 Depth=1
	v_mad_u64_u32 v[0:1], null, v231, s33, v[84:85]
	s_delay_alu instid0(VALU_DEP_1) | instskip(NEXT) | instid1(VALU_DEP_1)
	v_ashrrev_i32_e32 v1, 31, v0
	v_lshlrev_b64 v[0:1], 3, v[0:1]
	s_delay_alu instid0(VALU_DEP_1) | instskip(NEXT) | instid1(VALU_DEP_2)
	v_add_co_u32 v0, vcc_lo, s46, v0
	v_add_co_ci_u32_e32 v1, vcc_lo, s55, v1, vcc_lo
	global_load_b64 v[0:1], v[0:1], off
	s_waitcnt vmcnt(0)
	v_cvt_f16_f32_e32 v0, v0
	v_cvt_f16_f32_e32 v1, v1
	s_delay_alu instid0(VALU_DEP_1) | instskip(NEXT) | instid1(VALU_DEP_1)
	v_pack_b32_f16 v0, v0, v1
	v_pk_mul_f16 v0, v143, v0
	ds_store_b32 v168, v0
.LBB0_21:                               ;   in Loop: Header=BB0_14 Depth=1
	s_or_b32 exec_lo, exec_lo, s1
	v_add_nc_u32_e32 v230, s2, v169
	s_delay_alu instid0(VALU_DEP_1) | instskip(SKIP_1) | instid1(SALU_CYCLE_1)
	v_cmp_le_i32_e32 vcc_lo, s8, v230
	s_or_b32 s1, vcc_lo, s3
	s_and_saveexec_b32 s4, s1
	s_delay_alu instid0(SALU_CYCLE_1)
	s_xor_b32 s1, exec_lo, s4
	s_cbranch_execz .LBB0_23
; %bb.22:                               ;   in Loop: Header=BB0_14 Depth=1
	ds_store_b32 v170, v146
.LBB0_23:                               ;   in Loop: Header=BB0_14 Depth=1
	s_and_not1_saveexec_b32 s1, s1
	s_cbranch_execz .LBB0_25
; %bb.24:                               ;   in Loop: Header=BB0_14 Depth=1
	v_mad_u64_u32 v[0:1], null, v230, s33, v[84:85]
	s_delay_alu instid0(VALU_DEP_1) | instskip(NEXT) | instid1(VALU_DEP_1)
	v_ashrrev_i32_e32 v1, 31, v0
	v_lshlrev_b64 v[0:1], 3, v[0:1]
	s_delay_alu instid0(VALU_DEP_1) | instskip(NEXT) | instid1(VALU_DEP_2)
	v_add_co_u32 v0, vcc_lo, s46, v0
	v_add_co_ci_u32_e32 v1, vcc_lo, s55, v1, vcc_lo
	global_load_b64 v[0:1], v[0:1], off
	s_waitcnt vmcnt(0)
	v_cvt_f16_f32_e32 v0, v0
	v_cvt_f16_f32_e32 v1, v1
	s_delay_alu instid0(VALU_DEP_1) | instskip(NEXT) | instid1(VALU_DEP_1)
	v_pack_b32_f16 v0, v0, v1
	v_pk_mul_f16 v0, v143, v0
	ds_store_b32 v170, v0
.LBB0_25:                               ;   in Loop: Header=BB0_14 Depth=1
	s_or_b32 exec_lo, exec_lo, s1
	v_add_nc_u32_e32 v229, s2, v171
	s_delay_alu instid0(VALU_DEP_1) | instskip(SKIP_1) | instid1(SALU_CYCLE_1)
	v_cmp_le_i32_e32 vcc_lo, s8, v229
	s_or_b32 s1, vcc_lo, s3
	s_and_saveexec_b32 s4, s1
	s_delay_alu instid0(SALU_CYCLE_1)
	;; [unrolled: 31-line block ×4, first 2 shown]
	s_xor_b32 s1, exec_lo, s4
	s_cbranch_execz .LBB0_35
; %bb.34:                               ;   in Loop: Header=BB0_14 Depth=1
	ds_store_b32 v174, v146 offset:576
.LBB0_35:                               ;   in Loop: Header=BB0_14 Depth=1
	s_and_not1_saveexec_b32 s1, s1
	s_cbranch_execz .LBB0_37
; %bb.36:                               ;   in Loop: Header=BB0_14 Depth=1
	v_mad_u64_u32 v[0:1], null, v227, s33, v[84:85]
	s_delay_alu instid0(VALU_DEP_1) | instskip(NEXT) | instid1(VALU_DEP_1)
	v_ashrrev_i32_e32 v1, 31, v0
	v_lshlrev_b64 v[0:1], 3, v[0:1]
	s_delay_alu instid0(VALU_DEP_1) | instskip(NEXT) | instid1(VALU_DEP_2)
	v_add_co_u32 v0, vcc_lo, s46, v0
	v_add_co_ci_u32_e32 v1, vcc_lo, s55, v1, vcc_lo
	global_load_b64 v[0:1], v[0:1], off
	s_waitcnt vmcnt(0)
	v_cvt_f16_f32_e32 v0, v0
	v_cvt_f16_f32_e32 v1, v1
	s_delay_alu instid0(VALU_DEP_1) | instskip(NEXT) | instid1(VALU_DEP_1)
	v_pack_b32_f16 v0, v0, v1
	v_pk_mul_f16 v0, v143, v0
	ds_store_b32 v174, v0 offset:576
.LBB0_37:                               ;   in Loop: Header=BB0_14 Depth=1
	s_or_b32 exec_lo, exec_lo, s1
	v_add_nc_u32_e32 v226, s2, v176
	s_delay_alu instid0(VALU_DEP_1) | instskip(SKIP_1) | instid1(SALU_CYCLE_1)
	v_cmp_le_i32_e32 vcc_lo, s8, v226
	s_or_b32 s1, vcc_lo, s3
	s_and_saveexec_b32 s4, s1
	s_delay_alu instid0(SALU_CYCLE_1)
	s_xor_b32 s1, exec_lo, s4
	s_cbranch_execz .LBB0_39
; %bb.38:                               ;   in Loop: Header=BB0_14 Depth=1
	ds_store_b32 v174, v146 offset:1152
.LBB0_39:                               ;   in Loop: Header=BB0_14 Depth=1
	s_and_not1_saveexec_b32 s1, s1
	s_cbranch_execz .LBB0_41
; %bb.40:                               ;   in Loop: Header=BB0_14 Depth=1
	v_mad_u64_u32 v[0:1], null, v226, s33, v[84:85]
	s_delay_alu instid0(VALU_DEP_1) | instskip(NEXT) | instid1(VALU_DEP_1)
	v_ashrrev_i32_e32 v1, 31, v0
	v_lshlrev_b64 v[0:1], 3, v[0:1]
	s_delay_alu instid0(VALU_DEP_1) | instskip(NEXT) | instid1(VALU_DEP_2)
	v_add_co_u32 v0, vcc_lo, s46, v0
	v_add_co_ci_u32_e32 v1, vcc_lo, s55, v1, vcc_lo
	global_load_b64 v[0:1], v[0:1], off
	s_waitcnt vmcnt(0)
	v_cvt_f16_f32_e32 v0, v0
	v_cvt_f16_f32_e32 v1, v1
	s_delay_alu instid0(VALU_DEP_1) | instskip(NEXT) | instid1(VALU_DEP_1)
	v_pack_b32_f16 v0, v0, v1
	v_pk_mul_f16 v0, v143, v0
	ds_store_b32 v174, v0 offset:1152
.LBB0_41:                               ;   in Loop: Header=BB0_14 Depth=1
	s_or_b32 exec_lo, exec_lo, s1
	v_add_nc_u32_e32 v225, s2, v177
	s_delay_alu instid0(VALU_DEP_1) | instskip(SKIP_1) | instid1(SALU_CYCLE_1)
	v_cmp_le_i32_e32 vcc_lo, s8, v225
	s_or_b32 s1, vcc_lo, s3
	s_and_saveexec_b32 s4, s1
	s_delay_alu instid0(SALU_CYCLE_1)
	;; [unrolled: 31-line block ×11, first 2 shown]
	s_xor_b32 s1, exec_lo, s3
	s_cbranch_execz .LBB0_79
; %bb.78:                               ;   in Loop: Header=BB0_14 Depth=1
	ds_store_b32 v174, v146 offset:6912
.LBB0_79:                               ;   in Loop: Header=BB0_14 Depth=1
	s_and_not1_saveexec_b32 s1, s1
	s_cbranch_execz .LBB0_81
; %bb.80:                               ;   in Loop: Header=BB0_14 Depth=1
	v_mad_u64_u32 v[0:1], null, v215, s33, v[84:85]
	s_delay_alu instid0(VALU_DEP_1) | instskip(NEXT) | instid1(VALU_DEP_1)
	v_ashrrev_i32_e32 v1, 31, v0
	v_lshlrev_b64 v[0:1], 3, v[0:1]
	s_delay_alu instid0(VALU_DEP_1) | instskip(NEXT) | instid1(VALU_DEP_2)
	v_add_co_u32 v0, vcc_lo, s46, v0
	v_add_co_ci_u32_e32 v1, vcc_lo, s55, v1, vcc_lo
	global_load_b64 v[0:1], v[0:1], off
	s_waitcnt vmcnt(0)
	v_cvt_f16_f32_e32 v0, v0
	v_cvt_f16_f32_e32 v1, v1
	s_delay_alu instid0(VALU_DEP_1) | instskip(NEXT) | instid1(VALU_DEP_1)
	v_pack_b32_f16 v0, v0, v1
	v_pk_mul_f16 v0, v143, v0
	ds_store_b32 v174, v0 offset:6912
.LBB0_81:                               ;   in Loop: Header=BB0_14 Depth=1
	s_or_b32 exec_lo, exec_lo, s1
	s_waitcnt lgkmcnt(0)
	s_waitcnt_vscnt null, 0x0
	s_barrier
	buffer_gl0_inv
	ds_load_b128 v[40:43], v151
	ds_load_b128 v[44:47], v151 offset:16
	ds_load_b128 v[16:19], v151 offset:32
	;; [unrolled: 1-line block ×7, first 2 shown]
	v_add_nc_u32_e32 v51, s2, v245
	v_add_nc_u32_e32 v49, s2, v243
	;; [unrolled: 1-line block ×4, first 2 shown]
	s_add_i32 s54, s101, -1
	v_mul_hi_u32 v55, s34, v51
	v_mul_hi_u32 v54, s34, v49
	;; [unrolled: 1-line block ×4, first 2 shown]
	s_cmp_gt_i32 s54, s102
	s_waitcnt lgkmcnt(0)
	s_barrier
	buffer_gl0_inv
	s_cbranch_scc1 .LBB0_84
; %bb.82:                               ;   in Loop: Header=BB0_14 Depth=1
	v_dual_mov_b32 v235, 32 :: v_dual_add_nc_u32 v0, v51, v55
	v_add_nc_u32_e32 v1, v49, v54
	v_add_nc_u32_e32 v2, v50, v52
	;; [unrolled: 1-line block ×3, first 2 shown]
	s_delay_alu instid0(VALU_DEP_4)
	v_lshrrev_b32_e32 v0, s35, v0
	v_xor_b32_e32 v234, 16, v214
	v_lshrrev_b32_e32 v1, s35, v1
	v_lshrrev_b32_e32 v2, s35, v2
	;; [unrolled: 1-line block ×3, first 2 shown]
	v_mul_lo_u32 v0, v0, s8
	s_mov_b32 s1, 0
	v_mul_lo_u32 v1, v1, s8
	v_mul_lo_u32 v2, v2, s8
	;; [unrolled: 1-line block ×3, first 2 shown]
	s_mov_b32 s2, 0xfeffffff
	s_delay_alu instid0(VALU_DEP_4) | instskip(NEXT) | instid1(VALU_DEP_4)
	v_sub_nc_u32_e32 v0, v51, v0
	v_sub_nc_u32_e32 v1, v49, v1
	s_delay_alu instid0(VALU_DEP_4) | instskip(NEXT) | instid1(VALU_DEP_4)
	v_sub_nc_u32_e32 v2, v50, v2
	v_sub_nc_u32_e32 v3, v48, v3
	s_delay_alu instid0(VALU_DEP_4) | instskip(NEXT) | instid1(VALU_DEP_4)
	v_mad_i64_i32 v[91:92], null, v0, s48, 0
	v_mad_i64_i32 v[89:90], null, v1, s48, 0
	s_delay_alu instid0(VALU_DEP_4) | instskip(NEXT) | instid1(VALU_DEP_4)
	v_mad_i64_i32 v[87:88], null, v2, s48, 0
	v_mad_i64_i32 v[85:86], null, v3, s48, 0
	s_branch .LBB0_85
.LBB0_83:                               ;   in Loop: Header=BB0_14 Depth=1
                                        ; implicit-def: $vgpr1
                                        ; implicit-def: $vgpr215
	s_cbranch_execnz .LBB0_185
	s_branch .LBB0_353
.LBB0_84:                               ;   in Loop: Header=BB0_14 Depth=1
	s_mov_b32 s1, -1
                                        ; implicit-def: $sgpr2
                                        ; implicit-def: $vgpr91_vgpr92
                                        ; implicit-def: $vgpr89_vgpr90
                                        ; implicit-def: $vgpr87_vgpr88
                                        ; implicit-def: $vgpr85_vgpr86
                                        ; implicit-def: $vgpr234
                                        ; implicit-def: $vgpr235
.LBB0_85:                               ;   in Loop: Header=BB0_14 Depth=1
	s_delay_alu instid0(SALU_CYCLE_1) | instskip(SKIP_2) | instid1(VALU_DEP_3)
	v_cndmask_b32_e64 v0, 0, 1, s1
	v_dual_mov_b32 v7, s1 :: v_dual_mov_b32 v232, s1
	v_dual_mov_b32 v233, s2 :: v_dual_mov_b32 v6, s1
	v_cmp_ne_u32_e32 vcc_lo, 1, v0
	v_dual_mov_b32 v5, s1 :: v_dual_mov_b32 v4, s1
	v_dual_mov_b32 v3, s1 :: v_dual_mov_b32 v2, s1
	;; [unrolled: 1-line block ×7, first 2 shown]
	s_cbranch_vccnz .LBB0_88
; %bb.86:                               ;   in Loop: Header=BB0_14 Depth=1
	v_dual_mov_b32 v8, 0 :: v_dual_add_nc_u32 v1, v49, v54
	v_xor_b32_e32 v234, 16, v214
	v_dual_mov_b32 v235, 32 :: v_dual_add_nc_u32 v2, v50, v52
	s_delay_alu instid0(VALU_DEP_3) | instskip(SKIP_1) | instid1(VALU_DEP_4)
	v_lshrrev_b32_e32 v1, s35, v1
	v_dual_mov_b32 v232, 0 :: v_dual_add_nc_u32 v3, v48, v53
	v_cmp_gt_i32_e32 vcc_lo, 32, v234
	v_add_nc_u32_e32 v0, v51, v55
	s_delay_alu instid0(VALU_DEP_4) | instskip(SKIP_4) | instid1(VALU_DEP_4)
	v_mul_lo_u32 v1, v1, s8
	v_lshrrev_b32_e32 v2, s35, v2
	v_lshrrev_b32_e32 v3, s35, v3
	v_dual_mov_b32 v233, 0xfeffffff :: v_dual_lshlrev_b32 v4, 1, v145
	v_mov_b32_e32 v10, v8
	v_mul_lo_u32 v2, v2, s8
	s_delay_alu instid0(VALU_DEP_4) | instskip(SKIP_2) | instid1(VALU_DEP_1)
	v_mul_lo_u32 v3, v3, s8
	v_sub_nc_u32_e32 v1, v49, v1
	v_add_co_u32 v236, s1, s99, v4
	v_add_co_ci_u32_e64 v237, null, s100, 0, s1
	s_delay_alu instid0(VALU_DEP_3) | instskip(SKIP_4) | instid1(VALU_DEP_4)
	v_mad_i64_i32 v[89:90], null, v1, s48, 0
	v_cndmask_b32_e32 v1, v214, v234, vcc_lo
	v_lshrrev_b32_e32 v0, s35, v0
	v_sub_nc_u32_e32 v2, v50, v2
	v_mov_b32_e32 v9, v8
	v_dual_mov_b32 v11, v8 :: v_dual_lshlrev_b32 v238, 2, v1
	s_delay_alu instid0(VALU_DEP_4) | instskip(NEXT) | instid1(VALU_DEP_4)
	v_mul_lo_u32 v0, v0, s8
	v_mad_i64_i32 v[87:88], null, v2, s48, 0
	v_mov_b32_e32 v12, v8
	v_mov_b32_e32 v13, v8
	;; [unrolled: 1-line block ×5, first 2 shown]
	v_sub_nc_u32_e32 v0, v51, v0
	v_mov_b32_e32 v2, v8
	v_mov_b32_e32 v4, v8
	;; [unrolled: 1-line block ×4, first 2 shown]
	v_mad_i64_i32 v[91:92], null, v0, s48, 0
	v_sub_nc_u32_e32 v0, v48, v3
	v_mov_b32_e32 v3, v8
	v_mov_b32_e32 v7, v8
	s_lshl_b32 s74, s102, 6
	s_delay_alu instid0(VALU_DEP_3)
	v_mad_i64_i32 v[85:86], null, v0, s48, 0
	v_mov_b32_e32 v0, v8
.LBB0_87:                               ;   Parent Loop BB0_14 Depth=1
                                        ; =>  This Inner Loop Header: Depth=2
	s_ashr_i32 s75, s74, 31
	v_lshlrev_b64 v[48:49], 1, v[91:92]
	s_lshl_b64 s[2:3], s[74:75], 1
	v_lshlrev_b64 v[50:51], 1, v[89:90]
	v_add_co_u32 v56, vcc_lo, v236, s2
	v_add_co_ci_u32_e32 v57, vcc_lo, s3, v237, vcc_lo
	v_lshlrev_b64 v[52:53], 1, v[87:88]
	s_delay_alu instid0(VALU_DEP_3) | instskip(NEXT) | instid1(VALU_DEP_3)
	v_add_co_u32 v48, vcc_lo, v56, v48
	v_add_co_ci_u32_e32 v49, vcc_lo, v57, v49, vcc_lo
	v_add_co_u32 v50, vcc_lo, v56, v50
	v_lshlrev_b64 v[54:55], 1, v[85:86]
	v_add_co_ci_u32_e32 v51, vcc_lo, v57, v51, vcc_lo
	v_add_co_u32 v52, vcc_lo, v56, v52
	v_add_co_ci_u32_e32 v53, vcc_lo, v57, v53, vcc_lo
	s_delay_alu instid0(VALU_DEP_4)
	v_add_co_u32 v54, vcc_lo, v56, v54
	v_add_co_ci_u32_e32 v55, vcc_lo, v57, v55, vcc_lo
	s_clause 0x3
	global_load_b32 v48, v[48:49], off
	global_load_b32 v49, v[50:51], off
	;; [unrolled: 1-line block ×4, first 2 shown]
	v_add_nc_u32_e32 v52, v154, v147
	v_dual_mov_b32 v116, s43 :: v_dual_mov_b32 v111, s38
	v_mov_b32_e32 v115, s42
	s_mul_hi_i32 s3, s74, s12
	s_delay_alu instid0(VALU_DEP_3)
	v_dual_mov_b32 v114, s41 :: v_dual_add_nc_u32 v53, 0x2400, v52
	s_mul_i32 s2, s74, s12
	v_dual_mov_b32 v112, s39 :: v_dual_mov_b32 v109, s36
	s_lshl_b64 s[2:3], s[2:3], 2
	v_mov_b32_e32 v110, s37
	s_add_u32 s1, s97, s2
	s_addc_u32 s2, s98, s3
	s_mul_hi_i32 s3, s74, s10
	v_add_nc_u32_e32 v137, 0x1000, v159
	v_dual_mov_b32 v113, s40 :: v_dual_add_nc_u32 v208, 0x800, v159
	s_waitcnt vmcnt(2)
	ds_store_2addr_b32 v53, v48, v49 offset1:144
	v_add_nc_u32_e32 v48, 0x2800, v52
	s_waitcnt vmcnt(0)
	ds_store_2addr_b32 v48, v50, v51 offset0:32 offset1:176
	v_add_co_u32 v48, vcc_lo, s1, v76
	v_add_co_ci_u32_e32 v49, vcc_lo, s2, v77, vcc_lo
	s_delay_alu instid0(VALU_DEP_2) | instskip(NEXT) | instid1(VALU_DEP_2)
	v_add_co_u32 v48, vcc_lo, v48, v195
	v_add_co_ci_u32_e32 v49, vcc_lo, 0, v49, vcc_lo
	v_add_co_u32 v50, vcc_lo, s1, v78
	v_add_co_ci_u32_e32 v51, vcc_lo, s2, v79, vcc_lo
	s_delay_alu instid0(VALU_DEP_2) | instskip(NEXT) | instid1(VALU_DEP_2)
	v_add_co_u32 v52, vcc_lo, v50, v195
	v_add_co_ci_u32_e32 v53, vcc_lo, 0, v51, vcc_lo
	s_clause 0x1
	global_load_b128 v[48:51], v[48:49], off
	global_load_b128 v[52:55], v[52:53], off
	s_waitcnt vmcnt(1)
	ds_store_b128 v153, v[48:51]
	s_waitcnt vmcnt(0)
	ds_store_b128 v155, v[52:55]
	v_add_co_u32 v48, vcc_lo, s1, v80
	v_add_co_ci_u32_e32 v49, vcc_lo, s2, v81, vcc_lo
	s_delay_alu instid0(VALU_DEP_2) | instskip(NEXT) | instid1(VALU_DEP_2)
	v_add_co_u32 v48, vcc_lo, v48, v195
	v_add_co_ci_u32_e32 v49, vcc_lo, 0, v49, vcc_lo
	v_add_co_u32 v50, vcc_lo, s1, v82
	v_add_co_ci_u32_e32 v51, vcc_lo, s2, v83, vcc_lo
	s_mul_i32 s2, s74, s10
	s_delay_alu instid0(VALU_DEP_2) | instskip(NEXT) | instid1(VALU_DEP_2)
	v_add_co_u32 v52, vcc_lo, v50, v195
	v_add_co_ci_u32_e32 v53, vcc_lo, 0, v51, vcc_lo
	s_clause 0x1
	global_load_b128 v[48:51], v[48:49], off
	global_load_b128 v[52:55], v[52:53], off
	s_waitcnt vmcnt(1)
	ds_store_b128 v156, v[48:51]
	s_waitcnt vmcnt(0)
	ds_store_b128 v157, v[52:55]
	s_waitcnt lgkmcnt(0)
	s_barrier
	buffer_gl0_inv
	ds_load_b128 v[48:51], v150
	ds_load_b128 v[52:55], v150 offset:16
	ds_load_b128 v[56:59], v150 offset:2304
	;; [unrolled: 1-line block ×7, first 2 shown]
	s_lshl_b64 s[2:3], s[2:3], 2
	s_delay_alu instid0(SALU_CYCLE_1)
	s_add_u32 s1, s95, s2
	s_addc_u32 s2, s96, s3
	v_cmp_eq_u32_e64 s3, 0, v149
	s_add_i32 s102, s102, 1
	s_add_i32 s74, s74, 64
	s_cmp_lt_i32 s102, s54
	s_waitcnt lgkmcnt(6)
	v_wmma_f32_16x16x16_f16 v[117:124], v[48:55], v[40:47], v[109:116]
	ds_load_b128 v[48:51], v150 offset:32
	ds_load_b128 v[52:55], v150 offset:48
	s_waitcnt lgkmcnt(6)
	v_wmma_f32_16x16x16_f16 v[125:132], v[56:63], v[40:47], v[109:116]
	s_waitcnt lgkmcnt(4)
	v_wmma_f32_16x16x16_f16 v[200:207], v[93:100], v[40:47], v[109:116]
	;; [unrolled: 2-line block ×4, first 2 shown]
	ds_load_b128 v[48:51], v150 offset:2336
	ds_load_b128 v[52:55], v150 offset:2352
	s_waitcnt lgkmcnt(0)
	v_wmma_f32_16x16x16_f16 v[125:132], v[48:55], v[16:23], v[125:132]
	ds_load_b128 v[48:51], v150 offset:4640
	ds_load_b128 v[52:55], v150 offset:4656
	s_waitcnt lgkmcnt(0)
	v_wmma_f32_16x16x16_f16 v[200:207], v[48:55], v[16:23], v[200:207]
	ds_load_b128 v[48:51], v150 offset:6944
	ds_load_b128 v[52:55], v150 offset:6960
	s_waitcnt lgkmcnt(0)
	v_wmma_f32_16x16x16_f16 v[93:100], v[48:55], v[16:23], v[93:100]
	ds_load_b128 v[48:51], v150 offset:64
	ds_load_b128 v[52:55], v150 offset:80
	s_waitcnt lgkmcnt(0)
	v_wmma_f32_16x16x16_f16 v[117:124], v[48:55], v[24:31], v[117:124]
	ds_load_b128 v[48:51], v150 offset:2368
	ds_load_b128 v[52:55], v150 offset:2384
	s_waitcnt lgkmcnt(0)
	v_wmma_f32_16x16x16_f16 v[125:132], v[48:55], v[24:31], v[125:132]
	ds_load_b128 v[48:51], v150 offset:4672
	ds_load_b128 v[52:55], v150 offset:4688
	s_waitcnt lgkmcnt(0)
	v_wmma_f32_16x16x16_f16 v[200:207], v[48:55], v[24:31], v[200:207]
	ds_load_b128 v[48:51], v150 offset:6976
	ds_load_b128 v[52:55], v150 offset:6992
	s_waitcnt lgkmcnt(0)
	v_wmma_f32_16x16x16_f16 v[93:100], v[48:55], v[24:31], v[93:100]
	ds_load_b128 v[48:51], v150 offset:96
	ds_load_b128 v[52:55], v150 offset:112
	s_waitcnt lgkmcnt(0)
	v_wmma_f32_16x16x16_f16 v[117:124], v[48:55], v[32:39], v[117:124]
	ds_load_b128 v[48:51], v150 offset:2400
	ds_load_b128 v[52:55], v150 offset:2416
	s_waitcnt lgkmcnt(0)
	v_wmma_f32_16x16x16_f16 v[125:132], v[48:55], v[32:39], v[125:132]
	ds_load_b128 v[48:51], v150 offset:4704
	ds_load_b128 v[52:55], v150 offset:4720
	s_waitcnt lgkmcnt(0)
	v_wmma_f32_16x16x16_f16 v[200:207], v[48:55], v[32:39], v[200:207]
	ds_load_b128 v[48:51], v150 offset:7008
	ds_load_b128 v[52:55], v150 offset:7024
	s_waitcnt lgkmcnt(0)
	s_barrier
	buffer_gl0_inv
	v_wmma_f32_16x16x16_f16 v[93:100], v[48:55], v[32:39], v[93:100]
	ds_load_u16 v48, v158
	ds_load_u16 v49, v158 offset:4
	ds_load_u16 v50, v158 offset:8
	;; [unrolled: 1-line block ×7, first 2 shown]
	s_waitcnt lgkmcnt(7)
	v_cvt_f32_f16_e32 v48, v48
	s_waitcnt lgkmcnt(6)
	v_cvt_f32_f16_e32 v49, v49
	s_waitcnt lgkmcnt(5)
	v_cvt_f32_f16_e32 v50, v50
	s_waitcnt lgkmcnt(4)
	v_cvt_f32_f16_e32 v51, v51
	s_waitcnt lgkmcnt(3)
	v_cvt_f32_f16_e32 v52, v52
	v_dual_add_f32 v56, v117, v48 :: v_dual_add_f32 v57, v118, v49
	ds_load_u16 v48, v158 offset:32
	ds_load_u16 v49, v158 offset:36
	;; [unrolled: 1-line block ×8, first 2 shown]
	v_add_f32_e32 v51, v120, v51
	s_waitcnt lgkmcnt(9)
	v_cvt_f32_f16_e32 v54, v54
	s_waitcnt lgkmcnt(8)
	v_cvt_f32_f16_e32 v55, v55
	v_cvt_f32_f16_e32 v53, v53
	v_add_f32_e32 v52, v121, v52
	s_delay_alu instid0(VALU_DEP_3) | instskip(NEXT) | instid1(VALU_DEP_3)
	v_dual_add_f32 v50, v119, v50 :: v_dual_add_f32 v55, v124, v55
	v_add_f32_e32 v53, v122, v53
	s_waitcnt lgkmcnt(7)
	v_cvt_f32_f16_e32 v48, v48
	s_waitcnt lgkmcnt(6)
	v_cvt_f32_f16_e32 v49, v49
	s_waitcnt lgkmcnt(5)
	v_cvt_f32_f16_e32 v58, v58
	s_waitcnt lgkmcnt(4)
	v_cvt_f32_f16_e32 v59, v59
	s_waitcnt lgkmcnt(3)
	v_cvt_f32_f16_e32 v60, v60
	s_waitcnt lgkmcnt(2)
	v_cvt_f32_f16_e32 v61, v61
	s_waitcnt lgkmcnt(1)
	v_cvt_f32_f16_e32 v62, v62
	s_waitcnt lgkmcnt(0)
	v_cvt_f32_f16_e32 v63, v63
	v_dual_add_f32 v54, v123, v54 :: v_dual_add_f32 v199, v126, v49
	v_dual_add_f32 v198, v125, v48 :: v_dual_add_f32 v193, v128, v59
	;; [unrolled: 1-line block ×3, first 2 shown]
	s_delay_alu instid0(VALU_DEP_4)
	v_dual_add_f32 v192, v129, v60 :: v_dual_add_f32 v189, v132, v63
	v_add_f32_e32 v190, v131, v62
	ds_load_u16 v48, v158 offset:64
	ds_load_u16 v49, v158 offset:68
	;; [unrolled: 1-line block ×8, first 2 shown]
	s_waitcnt lgkmcnt(7)
	v_cvt_f32_f16_e32 v48, v48
	s_waitcnt lgkmcnt(6)
	v_cvt_f32_f16_e32 v49, v49
	;; [unrolled: 2-line block ×8, first 2 shown]
	v_dual_add_f32 v138, v200, v48 :: v_dual_add_f32 v135, v203, v59
	v_add_f32_e32 v188, v201, v49
	v_add_f32_e32 v136, v202, v58
	v_dual_add_f32 v132, v204, v60 :: v_dual_add_f32 v127, v205, v61
	v_dual_add_f32 v134, v206, v62 :: v_dual_add_f32 v133, v207, v63
	ds_load_u16 v48, v158 offset:96
	ds_load_u16 v49, v158 offset:100
	;; [unrolled: 1-line block ×8, first 2 shown]
	s_waitcnt lgkmcnt(7)
	v_cvt_f32_f16_e32 v48, v48
	s_waitcnt lgkmcnt(6)
	v_cvt_f32_f16_e32 v49, v49
	;; [unrolled: 2-line block ×5, first 2 shown]
	v_add_f32_e32 v131, v93, v48
	v_add_co_u32 v48, vcc_lo, s1, v68
	v_add_f32_e32 v129, v96, v59
	v_add_f32_e32 v187, v94, v49
	v_add_co_ci_u32_e32 v49, vcc_lo, s2, v69, vcc_lo
	s_delay_alu instid0(VALU_DEP_4) | instskip(SKIP_2) | instid1(VALU_DEP_3)
	v_add_co_u32 v48, vcc_lo, v48, v195
	s_waitcnt lgkmcnt(1)
	v_cvt_f32_f16_e32 v62, v62
	v_add_co_ci_u32_e32 v49, vcc_lo, 0, v49, vcc_lo
	v_add_f32_e32 v130, v95, v58
	v_add_co_u32 v58, vcc_lo, s1, v70
	s_waitcnt lgkmcnt(0)
	v_cvt_f32_f16_e32 v63, v63
	v_add_co_ci_u32_e32 v59, vcc_lo, s2, v71, vcc_lo
	v_dual_add_f32 v128, v97, v60 :: v_dual_add_f32 v125, v99, v62
	v_add_co_u32 v62, vcc_lo, v58, v195
	v_cvt_f32_f16_e32 v61, v61
	v_add_f32_e32 v142, v100, v63
	v_add_co_ci_u32_e32 v63, vcc_lo, 0, v59, vcc_lo
	s_delay_alu instid0(VALU_DEP_3)
	v_add_f32_e32 v126, v98, v61
	s_clause 0x1
	global_load_b128 v[58:61], v[48:49], off
	global_load_b128 v[93:96], v[62:63], off
	v_add_co_u32 v48, vcc_lo, s1, v72
	v_add_co_ci_u32_e32 v49, vcc_lo, s2, v73, vcc_lo
	s_waitcnt vmcnt(1)
	ds_store_b128 v153, v[58:61]
	s_waitcnt vmcnt(0)
	ds_store_b128 v155, v[93:96]
	v_add_co_u32 v48, vcc_lo, v48, v195
	v_add_co_ci_u32_e32 v49, vcc_lo, 0, v49, vcc_lo
	v_add_co_u32 v58, vcc_lo, s1, v74
	v_add_co_ci_u32_e32 v59, vcc_lo, s2, v75, vcc_lo
	v_cmp_eq_u32_e64 s2, 1, v149
	s_delay_alu instid0(VALU_DEP_3) | instskip(NEXT) | instid1(VALU_DEP_3)
	v_add_co_u32 v62, vcc_lo, v58, v195
	v_add_co_ci_u32_e32 v63, vcc_lo, 0, v59, vcc_lo
	s_clause 0x1
	global_load_b128 v[58:61], v[48:49], off
	global_load_b128 v[93:96], v[62:63], off
	s_waitcnt vmcnt(1)
	ds_store_b128 v156, v[58:61]
	s_waitcnt vmcnt(0)
	ds_store_b128 v157, v[93:96]
	v_dual_mov_b32 v58, v233 :: v_dual_add_f32 v59, 0x40051340, v51
	v_dual_add_f32 v48, 0x40051340, v56 :: v_dual_add_f32 v49, 0x40051340, v57
	v_add_nc_u32_e32 v62, 0x400, v159
	s_waitcnt lgkmcnt(0)
	s_barrier
	buffer_gl0_inv
	v_max3_f32 v48, v58, v48, v49
	v_add_f32_e32 v49, 0x40051340, v50
	ds_load_2addr_b32 v[95:96], v159 offset1:16
	ds_load_2addr_b32 v[97:98], v159 offset0:36 offset1:52
	ds_load_2addr_b32 v[99:100], v159 offset0:72 offset1:88
	;; [unrolled: 1-line block ×9, first 2 shown]
	v_max3_f32 v48, v48, v49, v59
	v_add_f32_e32 v59, 0x40051340, v53
	v_add_f32_e32 v49, 0x40051340, v52
	ds_load_2addr_b32 v[115:116], v62 offset0:228 offset1:248
	ds_load_2addr_b32 v[117:118], v208 offset0:8 offset1:28
	;; [unrolled: 1-line block ×5, first 2 shown]
	v_max3_f32 v48, v48, v49, v59
	v_add_f32_e32 v49, 0x40051340, v54
	v_add_f32_e32 v59, 0x40051340, v55
	s_delay_alu instid0(VALU_DEP_1) | instskip(SKIP_2) | instid1(VALU_DEP_1)
	v_max3_f32 v48, v48, v49, v59
	v_add_f32_e32 v49, 0x40051340, v198
	v_add_f32_e32 v59, 0x40051340, v199
	v_max3_f32 v48, v48, v49, v59
	v_add_f32_e32 v49, 0x40051340, v196
	v_add_f32_e32 v59, 0x40051340, v193
	s_waitcnt lgkmcnt(3)
	v_perm_b32 v63, v118, v116, 0x5040100
	s_waitcnt lgkmcnt(1)
	v_perm_b32 v62, v122, v121, 0x5040100
	v_max3_f32 v48, v48, v49, v59
	v_add_f32_e32 v49, 0x40051340, v192
	v_add_f32_e32 v59, 0x40051340, v191
	s_delay_alu instid0(VALU_DEP_1) | instskip(SKIP_2) | instid1(VALU_DEP_1)
	v_max3_f32 v48, v48, v49, v59
	v_add_f32_e32 v49, 0x40051340, v190
	v_add_f32_e32 v59, 0x40051340, v189
	v_max3_f32 v48, v48, v49, v59
	v_add_f32_e32 v49, 0x40051340, v138
	v_add_f32_e32 v59, 0x40051340, v188
	s_delay_alu instid0(VALU_DEP_1) | instskip(SKIP_2) | instid1(VALU_DEP_1)
	v_max3_f32 v48, v48, v49, v59
	v_add_f32_e32 v49, 0x40051340, v136
	v_add_f32_e32 v59, 0x40051340, v135
	v_max3_f32 v48, v48, v49, v59
	v_add_f32_e32 v49, 0x40051340, v132
	v_add_f32_e32 v59, 0x40051340, v127
	s_delay_alu instid0(VALU_DEP_1) | instskip(SKIP_2) | instid1(VALU_DEP_1)
	v_max3_f32 v48, v48, v49, v59
	v_add_f32_e32 v49, 0x40051340, v134
	v_add_f32_e32 v59, 0x40051340, v133
	v_max3_f32 v48, v48, v49, v59
	v_add_f32_e32 v49, 0x40051340, v131
	v_add_f32_e32 v59, 0x40051340, v187
	s_delay_alu instid0(VALU_DEP_1) | instskip(SKIP_2) | instid1(VALU_DEP_1)
	v_max3_f32 v48, v48, v49, v59
	v_add_f32_e32 v49, 0x40051340, v130
	v_add_f32_e32 v59, 0x40051340, v129
	v_max3_f32 v48, v48, v49, v59
	v_add_f32_e32 v49, 0x40051340, v128
	v_add_f32_e32 v59, 0x40051340, v126
	s_delay_alu instid0(VALU_DEP_1) | instskip(SKIP_2) | instid1(VALU_DEP_1)
	v_max3_f32 v48, v48, v49, v59
	v_add_f32_e32 v49, 0x40051340, v125
	v_add_f32_e32 v59, 0x40051340, v142
	v_max3_f32 v48, v48, v49, v59
	ds_bpermute_b32 v49, v238, v48
	s_waitcnt lgkmcnt(0)
	v_max_f32_e32 v49, v49, v49
	s_delay_alu instid0(VALU_DEP_1) | instskip(NEXT) | instid1(VALU_DEP_1)
	v_max_f32_e32 v233, v48, v49
	v_sub_f32_e32 v48, v57, v233
	v_sub_f32_e32 v56, v56, v233
	s_delay_alu instid0(VALU_DEP_2) | instskip(SKIP_1) | instid1(VALU_DEP_3)
	v_dual_sub_f32 v50, v50, v233 :: v_dual_mul_f32 v49, 0x3fb8aa3b, v48
	v_cmp_ngt_f32_e32 vcc_lo, 0xc2ce8ed0, v48
	v_cmp_ngt_f32_e64 s1, 0xc2ce8ed0, v56
	s_delay_alu instid0(VALU_DEP_3) | instskip(NEXT) | instid1(VALU_DEP_4)
	v_cmp_ngt_f32_e64 s4, 0xc2ce8ed0, v50
	v_fma_f32 v57, 0x3fb8aa3b, v48, -v49
	v_rndne_f32_e32 v59, v49
	s_delay_alu instid0(VALU_DEP_2) | instskip(NEXT) | instid1(VALU_DEP_2)
	v_fmac_f32_e32 v57, 0x32a5705f, v48
	v_sub_f32_e32 v49, v49, v59
	v_cvt_i32_f32_e32 v59, v59
	s_delay_alu instid0(VALU_DEP_2) | instskip(SKIP_1) | instid1(VALU_DEP_2)
	v_add_f32_e32 v49, v49, v57
	v_mul_f32_e32 v57, 0x3fb8aa3b, v56
	v_exp_f32_e32 v49, v49
	s_delay_alu instid0(VALU_DEP_1) | instskip(SKIP_1) | instid1(VALU_DEP_1)
	v_fma_f32 v60, 0x3fb8aa3b, v56, -v57
	v_rndne_f32_e32 v61, v57
	v_dual_fmac_f32 v60, 0x32a5705f, v56 :: v_dual_sub_f32 v57, v57, v61
	s_waitcnt_depctr 0xfff
	v_ldexp_f32 v49, v49, v59
	v_cvt_i32_f32_e32 v59, v61
	v_add_f32_e32 v57, v57, v60
	s_delay_alu instid0(VALU_DEP_3) | instskip(SKIP_1) | instid1(VALU_DEP_3)
	v_cndmask_b32_e32 v49, 0, v49, vcc_lo
	v_cmp_nlt_f32_e32 vcc_lo, 0x42b17218, v48
	v_exp_f32_e32 v57, v57
	s_delay_alu instid0(VALU_DEP_2) | instskip(SKIP_3) | instid1(VALU_DEP_1)
	v_cndmask_b32_e32 v201, 0x7f800000, v49, vcc_lo
	v_cmp_eq_u32_e32 vcc_lo, 1, v152
	s_waitcnt_depctr 0xfff
	v_ldexp_f32 v57, v57, v59
	v_cndmask_b32_e64 v48, 0, v57, s1
	v_cmp_nlt_f32_e64 s1, 0x42b17218, v56
	ds_bpermute_b32 v56, v238, v201
	v_cndmask_b32_e64 v200, 0x7f800000, v48, s1
	v_cmp_eq_u32_e64 s1, 0, v152
	ds_bpermute_b32 v48, v238, v200
	s_waitcnt lgkmcnt(0)
	v_cndmask_b32_e32 v49, v200, v48, vcc_lo
	v_cndmask_b32_e64 v48, v200, v48, s1
	s_delay_alu instid0(VALU_DEP_2) | instskip(NEXT) | instid1(VALU_DEP_2)
	v_cndmask_b32_e64 v59, v49, v201, s2
	v_cndmask_b32_e64 v57, v48, v201, s3
	v_cvt_f16_f32_e32 v48, v48
	v_cvt_f16_f32_e32 v49, v49
	s_delay_alu instid0(VALU_DEP_3) | instskip(SKIP_1) | instid1(VALU_DEP_3)
	v_cndmask_b32_e64 v57, v57, v56, s1
	v_cndmask_b32_e32 v56, v59, v56, vcc_lo
	v_pack_b32_f16 v48, v48, v49
	s_delay_alu instid0(VALU_DEP_3) | instskip(NEXT) | instid1(VALU_DEP_3)
	v_cvt_f16_f32_e32 v59, v57
	v_cvt_f16_f32_e32 v60, v56
	s_delay_alu instid0(VALU_DEP_1) | instskip(SKIP_1) | instid1(VALU_DEP_1)
	v_pack_b32_f16 v49, v59, v60
	v_mul_f32_e32 v59, 0x3fb8aa3b, v50
	v_fma_f32 v60, 0x3fb8aa3b, v50, -v59
	v_rndne_f32_e32 v61, v59
	s_delay_alu instid0(VALU_DEP_1) | instskip(SKIP_3) | instid1(VALU_DEP_4)
	v_dual_fmac_f32 v60, 0x32a5705f, v50 :: v_dual_sub_f32 v59, v59, v61
	v_sub_f32_e32 v51, v51, v233
	v_sub_f32_e32 v52, v52, v233
	v_sub_f32_e32 v53, v53, v233
	v_dual_sub_f32 v54, v54, v233 :: v_dual_add_f32 v59, v59, v60
	v_cvt_i32_f32_e32 v60, v61
	v_sub_f32_e32 v55, v55, v233
	s_delay_alu instid0(VALU_DEP_3) | instskip(SKIP_2) | instid1(VALU_DEP_1)
	v_exp_f32_e32 v59, v59
	s_waitcnt_depctr 0xfff
	v_ldexp_f32 v59, v59, v60
	v_cndmask_b32_e64 v59, 0, v59, s4
	v_cmp_nlt_f32_e64 s4, 0x42b17218, v50
	s_delay_alu instid0(VALU_DEP_1) | instskip(SKIP_1) | instid1(VALU_DEP_2)
	v_cndmask_b32_e64 v202, 0x7f800000, v59, s4
	v_cmp_ngt_f32_e64 s4, 0xc2ce8ed0, v51
	v_cndmask_b32_e64 v50, v57, v202, s3
	ds_bpermute_b32 v57, v238, v202
	v_cndmask_b32_e64 v56, v56, v202, s2
	s_waitcnt lgkmcnt(0)
	v_cndmask_b32_e64 v59, v50, v57, s1
	s_delay_alu instid0(VALU_DEP_2) | instskip(NEXT) | instid1(VALU_DEP_2)
	v_cndmask_b32_e32 v56, v56, v57, vcc_lo
	v_cvt_f16_f32_e32 v50, v59
	s_delay_alu instid0(VALU_DEP_2) | instskip(NEXT) | instid1(VALU_DEP_1)
	v_cvt_f16_f32_e32 v57, v56
	v_pack_b32_f16 v50, v50, v57
	v_mul_f32_e32 v57, 0x3fb8aa3b, v51
	s_delay_alu instid0(VALU_DEP_1) | instskip(SKIP_1) | instid1(VALU_DEP_1)
	v_fma_f32 v60, 0x3fb8aa3b, v51, -v57
	v_rndne_f32_e32 v61, v57
	v_dual_fmac_f32 v60, 0x32a5705f, v51 :: v_dual_sub_f32 v57, v57, v61
	s_delay_alu instid0(VALU_DEP_1) | instskip(SKIP_1) | instid1(VALU_DEP_2)
	v_add_f32_e32 v57, v57, v60
	v_cvt_i32_f32_e32 v60, v61
	v_exp_f32_e32 v57, v57
	s_waitcnt_depctr 0xfff
	v_ldexp_f32 v57, v57, v60
	s_delay_alu instid0(VALU_DEP_1) | instskip(SKIP_1) | instid1(VALU_DEP_1)
	v_cndmask_b32_e64 v57, 0, v57, s4
	v_cmp_nlt_f32_e64 s4, 0x42b17218, v51
	v_cndmask_b32_e64 v203, 0x7f800000, v57, s4
	v_cmp_ngt_f32_e64 s4, 0xc2ce8ed0, v52
	ds_bpermute_b32 v57, v238, v203
	v_cndmask_b32_e64 v51, v59, v203, s3
	v_cndmask_b32_e64 v56, v56, v203, s2
	s_waitcnt lgkmcnt(0)
	s_delay_alu instid0(VALU_DEP_2) | instskip(NEXT) | instid1(VALU_DEP_2)
	v_cndmask_b32_e64 v59, v51, v57, s1
	v_cndmask_b32_e32 v56, v56, v57, vcc_lo
	s_delay_alu instid0(VALU_DEP_2) | instskip(NEXT) | instid1(VALU_DEP_2)
	v_cvt_f16_f32_e32 v51, v59
	v_cvt_f16_f32_e32 v57, v56
	s_delay_alu instid0(VALU_DEP_1) | instskip(SKIP_1) | instid1(VALU_DEP_1)
	v_pack_b32_f16 v51, v51, v57
	v_mul_f32_e32 v57, 0x3fb8aa3b, v52
	v_fma_f32 v60, 0x3fb8aa3b, v52, -v57
	v_rndne_f32_e32 v61, v57
	s_delay_alu instid0(VALU_DEP_1) | instskip(NEXT) | instid1(VALU_DEP_1)
	v_dual_fmac_f32 v60, 0x32a5705f, v52 :: v_dual_sub_f32 v57, v57, v61
	v_add_f32_e32 v57, v57, v60
	v_cvt_i32_f32_e32 v60, v61
	s_delay_alu instid0(VALU_DEP_2) | instskip(SKIP_2) | instid1(VALU_DEP_1)
	v_exp_f32_e32 v57, v57
	s_waitcnt_depctr 0xfff
	v_ldexp_f32 v57, v57, v60
	v_cndmask_b32_e64 v57, 0, v57, s4
	v_cmp_nlt_f32_e64 s4, 0x42b17218, v52
	s_delay_alu instid0(VALU_DEP_1)
	v_cndmask_b32_e64 v204, 0x7f800000, v57, s4
	v_cmp_ngt_f32_e64 s4, 0xc2ce8ed0, v53
	ds_bpermute_b32 v57, v238, v204
	v_cndmask_b32_e64 v52, v59, v204, s3
	v_cndmask_b32_e64 v56, v56, v204, s2
	s_waitcnt lgkmcnt(0)
	s_delay_alu instid0(VALU_DEP_2) | instskip(NEXT) | instid1(VALU_DEP_2)
	v_cndmask_b32_e64 v59, v52, v57, s1
	v_cndmask_b32_e32 v56, v56, v57, vcc_lo
	s_delay_alu instid0(VALU_DEP_2) | instskip(NEXT) | instid1(VALU_DEP_2)
	v_cvt_f16_f32_e32 v52, v59
	v_cvt_f16_f32_e32 v57, v56
	s_delay_alu instid0(VALU_DEP_1) | instskip(SKIP_1) | instid1(VALU_DEP_1)
	v_pack_b32_f16 v52, v52, v57
	v_mul_f32_e32 v57, 0x3fb8aa3b, v53
	v_fma_f32 v60, 0x3fb8aa3b, v53, -v57
	v_rndne_f32_e32 v61, v57
	s_delay_alu instid0(VALU_DEP_2) | instskip(NEXT) | instid1(VALU_DEP_2)
	v_fmac_f32_e32 v60, 0x32a5705f, v53
	v_sub_f32_e32 v57, v57, v61
	s_delay_alu instid0(VALU_DEP_1) | instskip(SKIP_1) | instid1(VALU_DEP_2)
	v_add_f32_e32 v57, v57, v60
	v_cvt_i32_f32_e32 v60, v61
	v_exp_f32_e32 v57, v57
	s_waitcnt_depctr 0xfff
	v_ldexp_f32 v57, v57, v60
	s_delay_alu instid0(VALU_DEP_1) | instskip(SKIP_1) | instid1(VALU_DEP_1)
	v_cndmask_b32_e64 v57, 0, v57, s4
	v_cmp_nlt_f32_e64 s4, 0x42b17218, v53
	v_cndmask_b32_e64 v205, 0x7f800000, v57, s4
	v_cmp_ngt_f32_e64 s4, 0xc2ce8ed0, v54
	ds_bpermute_b32 v57, v238, v205
	v_cndmask_b32_e64 v53, v59, v205, s3
	v_cndmask_b32_e64 v56, v56, v205, s2
	s_waitcnt lgkmcnt(0)
	s_delay_alu instid0(VALU_DEP_2) | instskip(NEXT) | instid1(VALU_DEP_2)
	v_cndmask_b32_e64 v59, v53, v57, s1
	v_cndmask_b32_e32 v56, v56, v57, vcc_lo
	s_delay_alu instid0(VALU_DEP_2) | instskip(NEXT) | instid1(VALU_DEP_2)
	v_cvt_f16_f32_e32 v53, v59
	v_cvt_f16_f32_e32 v57, v56
	s_delay_alu instid0(VALU_DEP_1) | instskip(SKIP_1) | instid1(VALU_DEP_1)
	v_pack_b32_f16 v53, v53, v57
	v_mul_f32_e32 v57, 0x3fb8aa3b, v54
	v_fma_f32 v60, 0x3fb8aa3b, v54, -v57
	v_rndne_f32_e32 v61, v57
	s_delay_alu instid0(VALU_DEP_1) | instskip(NEXT) | instid1(VALU_DEP_1)
	v_dual_fmac_f32 v60, 0x32a5705f, v54 :: v_dual_sub_f32 v57, v57, v61
	v_add_f32_e32 v57, v57, v60
	v_cvt_i32_f32_e32 v60, v61
	s_delay_alu instid0(VALU_DEP_2) | instskip(SKIP_2) | instid1(VALU_DEP_1)
	v_exp_f32_e32 v57, v57
	s_waitcnt_depctr 0xfff
	v_ldexp_f32 v57, v57, v60
	v_cndmask_b32_e64 v57, 0, v57, s4
	v_cmp_nlt_f32_e64 s4, 0x42b17218, v54
	s_delay_alu instid0(VALU_DEP_1)
	v_cndmask_b32_e64 v206, 0x7f800000, v57, s4
	v_cmp_ngt_f32_e64 s4, 0xc2ce8ed0, v55
	ds_bpermute_b32 v57, v238, v206
	v_cndmask_b32_e64 v54, v59, v206, s3
	v_cndmask_b32_e64 v56, v56, v206, s2
	s_waitcnt lgkmcnt(0)
	s_delay_alu instid0(VALU_DEP_2) | instskip(NEXT) | instid1(VALU_DEP_2)
	v_cndmask_b32_e64 v59, v54, v57, s1
	v_cndmask_b32_e32 v56, v56, v57, vcc_lo
	s_delay_alu instid0(VALU_DEP_2) | instskip(NEXT) | instid1(VALU_DEP_2)
	v_cvt_f16_f32_e32 v54, v59
	v_cvt_f16_f32_e32 v57, v56
	s_delay_alu instid0(VALU_DEP_1) | instskip(SKIP_1) | instid1(VALU_DEP_1)
	v_pack_b32_f16 v54, v54, v57
	v_mul_f32_e32 v57, 0x3fb8aa3b, v55
	v_fma_f32 v60, 0x3fb8aa3b, v55, -v57
	v_rndne_f32_e32 v61, v57
	s_delay_alu instid0(VALU_DEP_1) | instskip(NEXT) | instid1(VALU_DEP_1)
	v_dual_fmac_f32 v60, 0x32a5705f, v55 :: v_dual_sub_f32 v57, v57, v61
	v_add_f32_e32 v57, v57, v60
	v_cvt_i32_f32_e32 v60, v61
	v_perm_b32 v61, v113, v111, 0x5040100
	s_delay_alu instid0(VALU_DEP_3) | instskip(SKIP_3) | instid1(VALU_DEP_2)
	v_exp_f32_e32 v57, v57
	s_waitcnt_depctr 0xfff
	v_ldexp_f32 v57, v57, v60
	v_perm_b32 v60, v107, v110, 0x5040100
	v_cndmask_b32_e64 v57, 0, v57, s4
	v_cmp_nlt_f32_e64 s4, 0x42b17218, v55
	s_delay_alu instid0(VALU_DEP_1) | instskip(SKIP_4) | instid1(VALU_DEP_2)
	v_cndmask_b32_e64 v207, 0x7f800000, v57, s4
	ds_bpermute_b32 v57, v238, v207
	v_cndmask_b32_e64 v55, v59, v207, s3
	v_cndmask_b32_e64 v56, v56, v207, s2
	s_waitcnt lgkmcnt(0)
	v_cndmask_b32_e64 v55, v55, v57, s1
	s_delay_alu instid0(VALU_DEP_2) | instskip(NEXT) | instid1(VALU_DEP_2)
	v_cndmask_b32_e32 v56, v56, v57, vcc_lo
	v_cvt_f16_f32_e32 v55, v55
	s_delay_alu instid0(VALU_DEP_2) | instskip(NEXT) | instid1(VALU_DEP_1)
	v_cvt_f16_f32_e32 v56, v56
	v_pack_b32_f16 v55, v55, v56
	v_sub_f32_e32 v56, v58, v233
	s_delay_alu instid0(VALU_DEP_1) | instskip(SKIP_1) | instid1(VALU_DEP_2)
	v_mul_f32_e32 v57, 0x3fb8aa3b, v56
	v_cmp_ngt_f32_e64 s4, 0xc2ce8ed0, v56
	v_fma_f32 v58, 0x3fb8aa3b, v56, -v57
	v_rndne_f32_e32 v59, v57
	s_delay_alu instid0(VALU_DEP_1) | instskip(NEXT) | instid1(VALU_DEP_1)
	v_dual_fmac_f32 v58, 0x32a5705f, v56 :: v_dual_sub_f32 v57, v57, v59
	v_add_f32_e32 v57, v57, v58
	v_cvt_i32_f32_e32 v58, v59
	v_perm_b32 v59, v106, v104, 0x5040100
	s_delay_alu instid0(VALU_DEP_3) | instskip(SKIP_3) | instid1(VALU_DEP_2)
	v_exp_f32_e32 v57, v57
	s_waitcnt_depctr 0xfff
	v_ldexp_f32 v57, v57, v58
	v_perm_b32 v58, v120, v119, 0x5040100
	v_cndmask_b32_e64 v57, 0, v57, s4
	v_cmp_nlt_f32_e64 s4, 0x42b17218, v56
	s_delay_alu instid0(VALU_DEP_1) | instskip(SKIP_2) | instid1(VALU_DEP_2)
	v_cndmask_b32_e64 v57, 0x7f800000, v57, s4
	v_cmp_le_f32_e64 s4, 0xc1a00000, v56
	v_perm_b32 v56, v97, v95, 0x5040100
	v_cndmask_b32_e64 v239, 0, v57, s4
	v_perm_b32 v57, v101, v99, 0x5040100
	s_delay_alu instid0(VALU_DEP_2) | instskip(NEXT) | instid1(VALU_DEP_1)
	v_cvt_f16_f32_e64 v66, v239
	v_pk_mul_f16 v8, v66, v8 op_sel_hi:[0,1]
	v_pk_mul_f16 v9, v66, v9 op_sel_hi:[0,1]
	;; [unrolled: 1-line block ×12, first 2 shown]
	v_wmma_f16_16x16x16_f16 v[8:15], v[56:63], v[48:55], v[8:15]
	v_add_nc_u32_e32 v58, 0x200, v163
	v_pk_mul_f16 v4, v66, v4 op_sel_hi:[0,1]
	v_pk_mul_f16 v5, v66, v5 op_sel_hi:[0,1]
	;; [unrolled: 1-line block ×4, first 2 shown]
	ds_load_2addr_b32 v[123:124], v58 offset0:16 offset1:160
	ds_load_b32 v209, v163 offset:1728
	ds_load_b32 v240, v164 offset:1728
	;; [unrolled: 1-line block ×5, first 2 shown]
	v_perm_b32 v56, v98, v96, 0x5040100
	v_perm_b32 v57, v102, v100, 0x5040100
	;; [unrolled: 1-line block ×5, first 2 shown]
	s_waitcnt lgkmcnt(4)
	v_perm_b32 v62, v115, v209, 0x5040100
	v_perm_b32 v58, v103, v123, 0x5040100
	;; [unrolled: 1-line block ×3, first 2 shown]
	s_delay_alu instid0(VALU_DEP_1)
	v_wmma_f16_16x16x16_f16 v[0:7], v[56:63], v[48:55], v[0:7]
	v_perm_b32 v58, v120, v119, 0x7060302
	v_perm_b32 v62, v122, v121, 0x7060302
	;; [unrolled: 1-line block ×8, first 2 shown]
	s_delay_alu instid0(VALU_DEP_1)
	v_wmma_f16_16x16x16_f16 v[8:15], v[56:63], v[48:55], v[8:15] op_sel:[0,0,1]
	v_perm_b32 v56, v98, v96, 0x7060302
	v_perm_b32 v57, v102, v100, 0x7060302
	;; [unrolled: 1-line block ×8, first 2 shown]
	v_add_nc_u32_e32 v93, 0x200, v164
	s_delay_alu instid0(VALU_DEP_2) | instskip(SKIP_1) | instid1(VALU_DEP_1)
	v_wmma_f16_16x16x16_f16 v[0:7], v[56:63], v[48:55], v[0:7] op_sel:[0,0,1]
	v_sub_f32_e32 v48, v199, v233
	v_mul_f32_e32 v49, 0x3fb8aa3b, v48
	v_cmp_ngt_f32_e64 s4, 0xc2ce8ed0, v48
	s_delay_alu instid0(VALU_DEP_2) | instskip(SKIP_1) | instid1(VALU_DEP_1)
	v_fma_f32 v50, 0x3fb8aa3b, v48, -v49
	v_rndne_f32_e32 v51, v49
	v_dual_fmac_f32 v50, 0x32a5705f, v48 :: v_dual_sub_f32 v49, v49, v51
	v_cvt_i32_f32_e32 v51, v51
	s_delay_alu instid0(VALU_DEP_2) | instskip(NEXT) | instid1(VALU_DEP_1)
	v_dual_add_f32 v49, v49, v50 :: v_dual_sub_f32 v50, v198, v233
	v_exp_f32_e32 v49, v49
	s_delay_alu instid0(VALU_DEP_1) | instskip(SKIP_1) | instid1(VALU_DEP_2)
	v_mul_f32_e32 v52, 0x3fb8aa3b, v50
	v_cmp_ngt_f32_e64 s5, 0xc2ce8ed0, v50
	v_fma_f32 v53, 0x3fb8aa3b, v50, -v52
	v_rndne_f32_e32 v54, v52
	s_waitcnt_depctr 0xfff
	v_ldexp_f32 v49, v49, v51
	v_fmac_f32_e32 v53, 0x32a5705f, v50
	v_sub_f32_e32 v52, v52, v54
	v_cvt_i32_f32_e32 v51, v54
	s_delay_alu instid0(VALU_DEP_4) | instskip(SKIP_1) | instid1(VALU_DEP_4)
	v_cndmask_b32_e64 v49, 0, v49, s4
	v_cmp_nlt_f32_e64 s4, 0x42b17218, v48
	v_add_f32_e32 v52, v52, v53
	s_delay_alu instid0(VALU_DEP_2) | instskip(NEXT) | instid1(VALU_DEP_2)
	v_cndmask_b32_e64 v49, 0x7f800000, v49, s4
	v_exp_f32_e32 v52, v52
	s_waitcnt_depctr 0xfff
	v_ldexp_f32 v51, v52, v51
	ds_bpermute_b32 v52, v238, v49
	v_cndmask_b32_e64 v48, 0, v51, s5
	v_cmp_nlt_f32_e64 s5, 0x42b17218, v50
	s_delay_alu instid0(VALU_DEP_1) | instskip(SKIP_4) | instid1(VALU_DEP_2)
	v_cndmask_b32_e64 v48, 0x7f800000, v48, s5
	ds_bpermute_b32 v50, v238, v48
	s_waitcnt lgkmcnt(0)
	v_cndmask_b32_e32 v51, v48, v50, vcc_lo
	v_cndmask_b32_e64 v50, v48, v50, s1
	v_cndmask_b32_e64 v54, v51, v49, s2
	s_delay_alu instid0(VALU_DEP_2) | instskip(SKIP_2) | instid1(VALU_DEP_3)
	v_cndmask_b32_e64 v53, v50, v49, s3
	v_cvt_f16_f32_e32 v50, v50
	v_cvt_f16_f32_e32 v51, v51
	v_cndmask_b32_e64 v53, v53, v52, s1
	v_cndmask_b32_e32 v52, v54, v52, vcc_lo
	s_delay_alu instid0(VALU_DEP_3) | instskip(SKIP_1) | instid1(VALU_DEP_4)
	v_pack_b32_f16 v95, v50, v51
	v_sub_f32_e32 v50, v196, v233
	v_cvt_f16_f32_e32 v54, v53
	s_delay_alu instid0(VALU_DEP_4) | instskip(NEXT) | instid1(VALU_DEP_3)
	v_cvt_f16_f32_e32 v55, v52
	v_mul_f32_e32 v51, 0x3fb8aa3b, v50
	v_cmp_ngt_f32_e64 s4, 0xc2ce8ed0, v50
	s_delay_alu instid0(VALU_DEP_3) | instskip(NEXT) | instid1(VALU_DEP_3)
	v_pack_b32_f16 v96, v54, v55
	v_fma_f32 v54, 0x3fb8aa3b, v50, -v51
	v_rndne_f32_e32 v55, v51
	s_delay_alu instid0(VALU_DEP_1) | instskip(NEXT) | instid1(VALU_DEP_1)
	v_dual_fmac_f32 v54, 0x32a5705f, v50 :: v_dual_sub_f32 v51, v51, v55
	v_add_f32_e32 v51, v51, v54
	v_cvt_i32_f32_e32 v54, v55
	s_delay_alu instid0(VALU_DEP_2) | instskip(SKIP_2) | instid1(VALU_DEP_1)
	v_exp_f32_e32 v51, v51
	s_waitcnt_depctr 0xfff
	v_ldexp_f32 v51, v51, v54
	v_cndmask_b32_e64 v51, 0, v51, s4
	v_cmp_nlt_f32_e64 s4, 0x42b17218, v50
	s_delay_alu instid0(VALU_DEP_1) | instskip(NEXT) | instid1(VALU_DEP_1)
	v_cndmask_b32_e64 v50, 0x7f800000, v51, s4
	v_cndmask_b32_e64 v51, v53, v50, s3
	ds_bpermute_b32 v53, v238, v50
	v_cndmask_b32_e64 v52, v52, v50, s2
	s_waitcnt lgkmcnt(0)
	v_cndmask_b32_e64 v54, v51, v53, s1
	s_delay_alu instid0(VALU_DEP_2) | instskip(NEXT) | instid1(VALU_DEP_2)
	v_cndmask_b32_e32 v52, v52, v53, vcc_lo
	v_cvt_f16_f32_e32 v51, v54
	s_delay_alu instid0(VALU_DEP_2) | instskip(NEXT) | instid1(VALU_DEP_1)
	v_cvt_f16_f32_e32 v53, v52
	v_pack_b32_f16 v97, v51, v53
	v_sub_f32_e32 v51, v193, v233
	s_delay_alu instid0(VALU_DEP_1) | instskip(SKIP_1) | instid1(VALU_DEP_2)
	v_mul_f32_e32 v53, 0x3fb8aa3b, v51
	v_cmp_ngt_f32_e64 s4, 0xc2ce8ed0, v51
	v_fma_f32 v55, 0x3fb8aa3b, v51, -v53
	v_rndne_f32_e32 v56, v53
	s_delay_alu instid0(VALU_DEP_2) | instskip(NEXT) | instid1(VALU_DEP_2)
	v_fmac_f32_e32 v55, 0x32a5705f, v51
	v_sub_f32_e32 v53, v53, v56
	s_delay_alu instid0(VALU_DEP_1) | instskip(SKIP_1) | instid1(VALU_DEP_2)
	v_add_f32_e32 v53, v53, v55
	v_cvt_i32_f32_e32 v55, v56
	v_exp_f32_e32 v53, v53
	s_waitcnt_depctr 0xfff
	v_ldexp_f32 v53, v53, v55
	s_delay_alu instid0(VALU_DEP_1) | instskip(SKIP_1) | instid1(VALU_DEP_1)
	v_cndmask_b32_e64 v53, 0, v53, s4
	v_cmp_nlt_f32_e64 s4, 0x42b17218, v51
	v_cndmask_b32_e64 v51, 0x7f800000, v53, s4
	s_delay_alu instid0(VALU_DEP_1) | instskip(SKIP_4) | instid1(VALU_DEP_2)
	v_cndmask_b32_e64 v53, v54, v51, s3
	ds_bpermute_b32 v54, v238, v51
	v_cndmask_b32_e64 v52, v52, v51, s2
	s_waitcnt lgkmcnt(0)
	v_cndmask_b32_e64 v53, v53, v54, s1
	v_cndmask_b32_e32 v54, v52, v54, vcc_lo
	s_delay_alu instid0(VALU_DEP_2) | instskip(NEXT) | instid1(VALU_DEP_2)
	v_cvt_f16_f32_e32 v52, v53
	v_cvt_f16_f32_e32 v55, v54
	s_delay_alu instid0(VALU_DEP_1) | instskip(SKIP_1) | instid1(VALU_DEP_1)
	v_pack_b32_f16 v98, v52, v55
	v_sub_f32_e32 v52, v192, v233
	v_mul_f32_e32 v55, 0x3fb8aa3b, v52
	v_cmp_ngt_f32_e64 s4, 0xc2ce8ed0, v52
	s_delay_alu instid0(VALU_DEP_2) | instskip(SKIP_1) | instid1(VALU_DEP_1)
	v_fma_f32 v56, 0x3fb8aa3b, v52, -v55
	v_rndne_f32_e32 v57, v55
	v_dual_fmac_f32 v56, 0x32a5705f, v52 :: v_dual_sub_f32 v55, v55, v57
	s_delay_alu instid0(VALU_DEP_1) | instskip(SKIP_1) | instid1(VALU_DEP_2)
	v_add_f32_e32 v55, v55, v56
	v_cvt_i32_f32_e32 v56, v57
	v_exp_f32_e32 v55, v55
	s_waitcnt_depctr 0xfff
	v_ldexp_f32 v55, v55, v56
	s_delay_alu instid0(VALU_DEP_1) | instskip(SKIP_1) | instid1(VALU_DEP_1)
	v_cndmask_b32_e64 v55, 0, v55, s4
	v_cmp_nlt_f32_e64 s4, 0x42b17218, v52
	v_cndmask_b32_e64 v52, 0x7f800000, v55, s4
	ds_bpermute_b32 v55, v238, v52
	v_cndmask_b32_e64 v53, v53, v52, s3
	v_cndmask_b32_e64 v54, v54, v52, s2
	s_waitcnt lgkmcnt(0)
	s_delay_alu instid0(VALU_DEP_2) | instskip(NEXT) | instid1(VALU_DEP_2)
	v_cndmask_b32_e64 v56, v53, v55, s1
	v_cndmask_b32_e32 v54, v54, v55, vcc_lo
	s_delay_alu instid0(VALU_DEP_2) | instskip(NEXT) | instid1(VALU_DEP_2)
	v_cvt_f16_f32_e32 v53, v56
	v_cvt_f16_f32_e32 v55, v54
	s_delay_alu instid0(VALU_DEP_1) | instskip(SKIP_1) | instid1(VALU_DEP_1)
	v_pack_b32_f16 v99, v53, v55
	v_sub_f32_e32 v53, v191, v233
	v_mul_f32_e32 v55, 0x3fb8aa3b, v53
	v_cmp_ngt_f32_e64 s4, 0xc2ce8ed0, v53
	s_delay_alu instid0(VALU_DEP_2) | instskip(SKIP_1) | instid1(VALU_DEP_2)
	v_fma_f32 v57, 0x3fb8aa3b, v53, -v55
	v_rndne_f32_e32 v58, v55
	v_fmac_f32_e32 v57, 0x32a5705f, v53
	s_delay_alu instid0(VALU_DEP_2) | instskip(NEXT) | instid1(VALU_DEP_1)
	v_sub_f32_e32 v55, v55, v58
	v_add_f32_e32 v55, v55, v57
	v_cvt_i32_f32_e32 v57, v58
	s_delay_alu instid0(VALU_DEP_2) | instskip(SKIP_2) | instid1(VALU_DEP_1)
	v_exp_f32_e32 v55, v55
	s_waitcnt_depctr 0xfff
	v_ldexp_f32 v55, v55, v57
	v_cndmask_b32_e64 v55, 0, v55, s4
	v_cmp_nlt_f32_e64 s4, 0x42b17218, v53
	s_delay_alu instid0(VALU_DEP_1) | instskip(NEXT) | instid1(VALU_DEP_1)
	v_cndmask_b32_e64 v53, 0x7f800000, v55, s4
	v_cndmask_b32_e64 v55, v56, v53, s3
	ds_bpermute_b32 v56, v238, v53
	v_cndmask_b32_e64 v54, v54, v53, s2
	s_waitcnt lgkmcnt(0)
	v_cndmask_b32_e64 v55, v55, v56, s1
	s_delay_alu instid0(VALU_DEP_2) | instskip(NEXT) | instid1(VALU_DEP_2)
	v_cndmask_b32_e32 v56, v54, v56, vcc_lo
	v_cvt_f16_f32_e32 v54, v55
	s_delay_alu instid0(VALU_DEP_2) | instskip(NEXT) | instid1(VALU_DEP_1)
	v_cvt_f16_f32_e32 v57, v56
	v_pack_b32_f16 v100, v54, v57
	v_sub_f32_e32 v54, v190, v233
	s_delay_alu instid0(VALU_DEP_1) | instskip(SKIP_1) | instid1(VALU_DEP_2)
	v_mul_f32_e32 v57, 0x3fb8aa3b, v54
	v_cmp_ngt_f32_e64 s4, 0xc2ce8ed0, v54
	v_fma_f32 v58, 0x3fb8aa3b, v54, -v57
	v_rndne_f32_e32 v59, v57
	s_delay_alu instid0(VALU_DEP_1) | instskip(NEXT) | instid1(VALU_DEP_1)
	v_dual_fmac_f32 v58, 0x32a5705f, v54 :: v_dual_sub_f32 v57, v57, v59
	v_add_f32_e32 v57, v57, v58
	v_cvt_i32_f32_e32 v58, v59
	s_delay_alu instid0(VALU_DEP_2) | instskip(SKIP_2) | instid1(VALU_DEP_1)
	v_exp_f32_e32 v57, v57
	s_waitcnt_depctr 0xfff
	v_ldexp_f32 v57, v57, v58
	v_cndmask_b32_e64 v57, 0, v57, s4
	v_cmp_nlt_f32_e64 s4, 0x42b17218, v54
	s_delay_alu instid0(VALU_DEP_1) | instskip(SKIP_4) | instid1(VALU_DEP_2)
	v_cndmask_b32_e64 v54, 0x7f800000, v57, s4
	ds_bpermute_b32 v57, v238, v54
	v_cndmask_b32_e64 v55, v55, v54, s3
	v_cndmask_b32_e64 v56, v56, v54, s2
	s_waitcnt lgkmcnt(0)
	v_cndmask_b32_e64 v58, v55, v57, s1
	s_delay_alu instid0(VALU_DEP_2) | instskip(NEXT) | instid1(VALU_DEP_2)
	v_cndmask_b32_e32 v56, v56, v57, vcc_lo
	v_cvt_f16_f32_e32 v55, v58
	s_delay_alu instid0(VALU_DEP_2) | instskip(NEXT) | instid1(VALU_DEP_1)
	v_cvt_f16_f32_e32 v57, v56
	v_pack_b32_f16 v101, v55, v57
	v_sub_f32_e32 v55, v189, v233
	s_delay_alu instid0(VALU_DEP_1) | instskip(SKIP_1) | instid1(VALU_DEP_2)
	v_mul_f32_e32 v57, 0x3fb8aa3b, v55
	v_cmp_ngt_f32_e64 s4, 0xc2ce8ed0, v55
	v_fma_f32 v59, 0x3fb8aa3b, v55, -v57
	v_rndne_f32_e32 v60, v57
	s_delay_alu instid0(VALU_DEP_2) | instskip(NEXT) | instid1(VALU_DEP_2)
	v_fmac_f32_e32 v59, 0x32a5705f, v55
	v_sub_f32_e32 v57, v57, v60
	s_delay_alu instid0(VALU_DEP_1) | instskip(SKIP_1) | instid1(VALU_DEP_2)
	v_add_f32_e32 v57, v57, v59
	v_cvt_i32_f32_e32 v59, v60
	v_exp_f32_e32 v57, v57
	s_waitcnt_depctr 0xfff
	v_ldexp_f32 v57, v57, v59
	s_delay_alu instid0(VALU_DEP_1) | instskip(SKIP_1) | instid1(VALU_DEP_1)
	v_cndmask_b32_e64 v57, 0, v57, s4
	v_cmp_nlt_f32_e64 s4, 0x42b17218, v55
	v_cndmask_b32_e64 v55, 0x7f800000, v57, s4
	s_delay_alu instid0(VALU_DEP_1) | instskip(SKIP_4) | instid1(VALU_DEP_2)
	v_cndmask_b32_e64 v57, v58, v55, s3
	ds_bpermute_b32 v58, v238, v55
	v_cndmask_b32_e64 v56, v56, v55, s2
	s_waitcnt lgkmcnt(0)
	v_cndmask_b32_e64 v57, v57, v58, s1
	v_cndmask_b32_e32 v56, v56, v58, vcc_lo
	s_delay_alu instid0(VALU_DEP_2) | instskip(NEXT) | instid1(VALU_DEP_2)
	v_cvt_f16_f32_e32 v57, v57
	v_cvt_f16_f32_e32 v56, v56
	s_delay_alu instid0(VALU_DEP_1)
	v_pack_b32_f16 v102, v57, v56
	v_add_nc_u32_e32 v56, 0x200, v160
	ds_load_2addr_b32 v[57:58], v208 offset0:80 offset1:100
	ds_load_2addr_b32 v[59:60], v208 offset0:116 offset1:136
	;; [unrolled: 1-line block ×5, first 2 shown]
	v_add_nc_u32_e32 v56, 0xc00, v159
	ds_load_2addr_b32 v[113:114], v56 offset0:76 offset1:132
	ds_load_2addr_b32 v[115:116], v56 offset0:4 offset1:24
	;; [unrolled: 1-line block ×5, first 2 shown]
	v_add_nc_u32_e32 v56, 0xe00, v159
	ds_load_2addr_b32 v[123:124], v56 offset0:92 offset1:148
	ds_load_b32 v63, v160 offset:1728
	ds_load_b32 v193, v161 offset:1728
	ds_load_b32 v56, v159 offset:9136
	ds_load_2addr_b32 v[139:140], v137 offset0:72 offset1:92
	ds_load_2addr_b32 v[189:190], v137 offset0:36 offset1:56
	;; [unrolled: 1-line block ×4, first 2 shown]
	s_waitcnt lgkmcnt(17)
	v_perm_b32 v103, v58, v94, 0x5040100
	s_waitcnt lgkmcnt(15)
	v_perm_b32 v104, v62, v60, 0x5040100
	;; [unrolled: 2-line block ×8, first 2 shown]
	s_delay_alu instid0(VALU_DEP_1)
	v_wmma_f16_16x16x16_f16 v[8:15], v[103:110], v[95:102], v[8:15]
	v_perm_b32 v103, v59, v57, 0x5040100
	v_perm_b32 v104, v111, v61, 0x5040100
	s_waitcnt lgkmcnt(1)
	v_perm_b32 v105, v115, v191, 0x5040100
	v_perm_b32 v106, v113, v117, 0x5040100
	;; [unrolled: 1-line block ×4, first 2 shown]
	s_waitcnt lgkmcnt(0)
	v_perm_b32 v110, v198, v139, 0x5040100
	v_perm_b32 v109, v189, v240, 0x5040100
	s_delay_alu instid0(VALU_DEP_1)
	v_wmma_f16_16x16x16_f16 v[0:7], v[103:110], v[95:102], v[0:7]
	v_perm_b32 v103, v58, v94, 0x7060302
	v_perm_b32 v105, v112, v66, 0x7060302
	;; [unrolled: 1-line block ×8, first 2 shown]
	s_delay_alu instid0(VALU_DEP_1)
	v_wmma_f16_16x16x16_f16 v[8:15], v[103:110], v[95:102], v[8:15] op_sel:[0,0,1]
	v_perm_b32 v103, v59, v57, 0x7060302
	v_sub_f32_e32 v57, v188, v233
	v_perm_b32 v104, v111, v61, 0x7060302
	v_perm_b32 v110, v198, v139, 0x7060302
	;; [unrolled: 1-line block ×4, first 2 shown]
	v_mul_f32_e32 v58, 0x3fb8aa3b, v57
	v_cmp_ngt_f32_e64 s4, 0xc2ce8ed0, v57
	v_perm_b32 v107, v119, v192, 0x7060302
	v_perm_b32 v108, v123, v121, 0x7060302
	;; [unrolled: 1-line block ×3, first 2 shown]
	v_fma_f32 v59, 0x3fb8aa3b, v57, -v58
	v_rndne_f32_e32 v60, v58
	s_delay_alu instid0(VALU_DEP_3) | instskip(NEXT) | instid1(VALU_DEP_2)
	v_wmma_f16_16x16x16_f16 v[0:7], v[103:110], v[95:102], v[0:7] op_sel:[0,0,1]
	v_dual_fmac_f32 v59, 0x32a5705f, v57 :: v_dual_sub_f32 v58, v58, v60
	v_cvt_i32_f32_e32 v60, v60
	v_add_nc_u32_e32 v101, 0x1400, v159
	v_add_nc_u32_e32 v106, 0x1600, v159
	s_delay_alu instid0(VALU_DEP_4) | instskip(SKIP_1) | instid1(VALU_DEP_2)
	v_add_f32_e32 v58, v58, v59
	v_sub_f32_e32 v59, v138, v233
	v_exp_f32_e32 v58, v58
	s_delay_alu instid0(VALU_DEP_1) | instskip(SKIP_1) | instid1(VALU_DEP_2)
	v_mul_f32_e32 v61, 0x3fb8aa3b, v59
	v_cmp_ngt_f32_e64 s5, 0xc2ce8ed0, v59
	v_fma_f32 v62, 0x3fb8aa3b, v59, -v61
	v_rndne_f32_e32 v63, v61
	s_waitcnt_depctr 0xfff
	v_ldexp_f32 v58, v58, v60
	v_fmac_f32_e32 v62, 0x32a5705f, v59
	v_sub_f32_e32 v61, v61, v63
	v_cvt_i32_f32_e32 v60, v63
	s_delay_alu instid0(VALU_DEP_4) | instskip(SKIP_1) | instid1(VALU_DEP_4)
	v_cndmask_b32_e64 v58, 0, v58, s4
	v_cmp_nlt_f32_e64 s4, 0x42b17218, v57
	v_add_f32_e32 v61, v61, v62
	s_delay_alu instid0(VALU_DEP_2) | instskip(NEXT) | instid1(VALU_DEP_2)
	v_cndmask_b32_e64 v138, 0x7f800000, v58, s4
	v_exp_f32_e32 v61, v61
	s_waitcnt_depctr 0xfff
	v_ldexp_f32 v60, v61, v60
	s_delay_alu instid0(VALU_DEP_1)
	v_cndmask_b32_e64 v57, 0, v60, s5
	v_cmp_nlt_f32_e64 s5, 0x42b17218, v59
	ds_bpermute_b32 v59, v238, v138
	v_cndmask_b32_e64 v63, 0x7f800000, v57, s5
	ds_bpermute_b32 v57, v238, v63
	s_waitcnt lgkmcnt(0)
	v_cndmask_b32_e32 v58, v63, v57, vcc_lo
	v_cndmask_b32_e64 v57, v63, v57, s1
	s_delay_alu instid0(VALU_DEP_2) | instskip(NEXT) | instid1(VALU_DEP_2)
	v_cndmask_b32_e64 v61, v58, v138, s2
	v_cndmask_b32_e64 v60, v57, v138, s3
	v_cvt_f16_f32_e32 v57, v57
	v_cvt_f16_f32_e32 v58, v58
	s_delay_alu instid0(VALU_DEP_3) | instskip(SKIP_1) | instid1(VALU_DEP_3)
	v_cndmask_b32_e64 v60, v60, v59, s1
	v_cndmask_b32_e32 v59, v61, v59, vcc_lo
	v_pack_b32_f16 v93, v57, v58
	v_sub_f32_e32 v57, v136, v233
	s_delay_alu instid0(VALU_DEP_4) | instskip(NEXT) | instid1(VALU_DEP_4)
	v_cvt_f16_f32_e32 v61, v60
	v_cvt_f16_f32_e32 v62, v59
	s_delay_alu instid0(VALU_DEP_3) | instskip(SKIP_1) | instid1(VALU_DEP_3)
	v_mul_f32_e32 v58, 0x3fb8aa3b, v57
	v_cmp_ngt_f32_e64 s4, 0xc2ce8ed0, v57
	v_pack_b32_f16 v94, v61, v62
	s_delay_alu instid0(VALU_DEP_3) | instskip(SKIP_1) | instid1(VALU_DEP_1)
	v_fma_f32 v61, 0x3fb8aa3b, v57, -v58
	v_rndne_f32_e32 v62, v58
	v_dual_fmac_f32 v61, 0x32a5705f, v57 :: v_dual_sub_f32 v58, v58, v62
	s_delay_alu instid0(VALU_DEP_1) | instskip(SKIP_1) | instid1(VALU_DEP_2)
	v_add_f32_e32 v58, v58, v61
	v_cvt_i32_f32_e32 v61, v62
	v_exp_f32_e32 v58, v58
	s_waitcnt_depctr 0xfff
	v_ldexp_f32 v58, v58, v61
	s_delay_alu instid0(VALU_DEP_1) | instskip(SKIP_1) | instid1(VALU_DEP_1)
	v_cndmask_b32_e64 v58, 0, v58, s4
	v_cmp_nlt_f32_e64 s4, 0x42b17218, v57
	v_cndmask_b32_e64 v139, 0x7f800000, v58, s4
	s_delay_alu instid0(VALU_DEP_1) | instskip(SKIP_3) | instid1(VALU_DEP_1)
	v_cndmask_b32_e64 v58, v59, v139, s2
	ds_bpermute_b32 v59, v238, v139
	v_cndmask_b32_e64 v57, v60, v139, s3
	s_waitcnt lgkmcnt(0)
	v_cndmask_b32_e64 v57, v57, v59, s1
	v_cndmask_b32_e32 v58, v58, v59, vcc_lo
	s_delay_alu instid0(VALU_DEP_2) | instskip(NEXT) | instid1(VALU_DEP_2)
	v_cvt_f16_f32_e32 v59, v57
	v_cvt_f16_f32_e32 v60, v58
	s_delay_alu instid0(VALU_DEP_1) | instskip(SKIP_1) | instid1(VALU_DEP_1)
	v_pack_b32_f16 v95, v59, v60
	v_sub_f32_e32 v59, v135, v233
	v_mul_f32_e32 v60, 0x3fb8aa3b, v59
	v_cmp_ngt_f32_e64 s4, 0xc2ce8ed0, v59
	s_delay_alu instid0(VALU_DEP_2) | instskip(SKIP_1) | instid1(VALU_DEP_1)
	v_fma_f32 v61, 0x3fb8aa3b, v59, -v60
	v_rndne_f32_e32 v62, v60
	v_dual_fmac_f32 v61, 0x32a5705f, v59 :: v_dual_sub_f32 v60, v60, v62
	s_delay_alu instid0(VALU_DEP_1) | instskip(SKIP_1) | instid1(VALU_DEP_2)
	v_add_f32_e32 v60, v60, v61
	v_cvt_i32_f32_e32 v61, v62
	v_exp_f32_e32 v60, v60
	s_waitcnt_depctr 0xfff
	v_ldexp_f32 v60, v60, v61
	s_delay_alu instid0(VALU_DEP_1) | instskip(SKIP_1) | instid1(VALU_DEP_1)
	v_cndmask_b32_e64 v60, 0, v60, s4
	v_cmp_nlt_f32_e64 s4, 0x42b17218, v59
	v_cndmask_b32_e64 v140, 0x7f800000, v60, s4
	ds_bpermute_b32 v59, v238, v140
	v_cndmask_b32_e64 v57, v57, v140, s3
	v_cndmask_b32_e64 v58, v58, v140, s2
	s_waitcnt lgkmcnt(0)
	s_delay_alu instid0(VALU_DEP_2) | instskip(NEXT) | instid1(VALU_DEP_2)
	v_cndmask_b32_e64 v57, v57, v59, s1
	v_cndmask_b32_e32 v58, v58, v59, vcc_lo
	s_delay_alu instid0(VALU_DEP_2) | instskip(NEXT) | instid1(VALU_DEP_2)
	v_cvt_f16_f32_e32 v59, v57
	v_cvt_f16_f32_e32 v60, v58
	s_delay_alu instid0(VALU_DEP_1) | instskip(SKIP_1) | instid1(VALU_DEP_1)
	v_pack_b32_f16 v96, v59, v60
	v_sub_f32_e32 v59, v132, v233
	v_mul_f32_e32 v60, 0x3fb8aa3b, v59
	v_cmp_ngt_f32_e64 s4, 0xc2ce8ed0, v59
	s_delay_alu instid0(VALU_DEP_2) | instskip(SKIP_1) | instid1(VALU_DEP_1)
	v_fma_f32 v61, 0x3fb8aa3b, v59, -v60
	v_rndne_f32_e32 v62, v60
	v_dual_fmac_f32 v61, 0x32a5705f, v59 :: v_dual_sub_f32 v60, v60, v62
	s_delay_alu instid0(VALU_DEP_1) | instskip(SKIP_1) | instid1(VALU_DEP_2)
	v_add_f32_e32 v60, v60, v61
	v_cvt_i32_f32_e32 v61, v62
	v_exp_f32_e32 v60, v60
	s_waitcnt_depctr 0xfff
	v_ldexp_f32 v60, v60, v61
	s_delay_alu instid0(VALU_DEP_1) | instskip(SKIP_1) | instid1(VALU_DEP_1)
	v_cndmask_b32_e64 v60, 0, v60, s4
	v_cmp_nlt_f32_e64 s4, 0x42b17218, v59
	v_cndmask_b32_e64 v188, 0x7f800000, v60, s4
	ds_bpermute_b32 v59, v238, v188
	v_cndmask_b32_e64 v57, v57, v188, s3
	v_cndmask_b32_e64 v58, v58, v188, s2
	s_waitcnt lgkmcnt(0)
	s_delay_alu instid0(VALU_DEP_2) | instskip(NEXT) | instid1(VALU_DEP_2)
	v_cndmask_b32_e64 v57, v57, v59, s1
	v_cndmask_b32_e32 v58, v58, v59, vcc_lo
	s_delay_alu instid0(VALU_DEP_2) | instskip(NEXT) | instid1(VALU_DEP_2)
	v_cvt_f16_f32_e32 v59, v57
	v_cvt_f16_f32_e32 v60, v58
	s_delay_alu instid0(VALU_DEP_1) | instskip(SKIP_2) | instid1(VALU_DEP_2)
	v_pack_b32_f16 v97, v59, v60
	v_sub_f32_e32 v59, v127, v233
	v_add_nc_u32_e32 v127, 0x1800, v159
	v_mul_f32_e32 v60, 0x3fb8aa3b, v59
	v_cmp_ngt_f32_e64 s4, 0xc2ce8ed0, v59
	s_delay_alu instid0(VALU_DEP_2) | instskip(SKIP_1) | instid1(VALU_DEP_1)
	v_fma_f32 v61, 0x3fb8aa3b, v59, -v60
	v_rndne_f32_e32 v62, v60
	v_dual_fmac_f32 v61, 0x32a5705f, v59 :: v_dual_sub_f32 v60, v60, v62
	s_delay_alu instid0(VALU_DEP_1) | instskip(SKIP_1) | instid1(VALU_DEP_2)
	v_add_f32_e32 v60, v60, v61
	v_cvt_i32_f32_e32 v61, v62
	v_exp_f32_e32 v60, v60
	s_waitcnt_depctr 0xfff
	v_ldexp_f32 v60, v60, v61
	s_delay_alu instid0(VALU_DEP_1) | instskip(SKIP_1) | instid1(VALU_DEP_1)
	v_cndmask_b32_e64 v60, 0, v60, s4
	v_cmp_nlt_f32_e64 s4, 0x42b17218, v59
	v_cndmask_b32_e64 v189, 0x7f800000, v60, s4
	ds_bpermute_b32 v59, v238, v189
	v_cndmask_b32_e64 v57, v57, v189, s3
	v_cndmask_b32_e64 v58, v58, v189, s2
	s_waitcnt lgkmcnt(0)
	s_delay_alu instid0(VALU_DEP_2) | instskip(NEXT) | instid1(VALU_DEP_2)
	v_cndmask_b32_e64 v57, v57, v59, s1
	v_cndmask_b32_e32 v58, v58, v59, vcc_lo
	s_delay_alu instid0(VALU_DEP_2) | instskip(NEXT) | instid1(VALU_DEP_2)
	v_cvt_f16_f32_e32 v59, v57
	v_cvt_f16_f32_e32 v60, v58
	s_delay_alu instid0(VALU_DEP_1) | instskip(SKIP_1) | instid1(VALU_DEP_1)
	v_pack_b32_f16 v98, v59, v60
	v_sub_f32_e32 v59, v134, v233
	v_mul_f32_e32 v60, 0x3fb8aa3b, v59
	v_cmp_ngt_f32_e64 s4, 0xc2ce8ed0, v59
	s_delay_alu instid0(VALU_DEP_2) | instskip(SKIP_1) | instid1(VALU_DEP_1)
	v_fma_f32 v61, 0x3fb8aa3b, v59, -v60
	v_rndne_f32_e32 v62, v60
	v_dual_fmac_f32 v61, 0x32a5705f, v59 :: v_dual_sub_f32 v60, v60, v62
	s_delay_alu instid0(VALU_DEP_1) | instskip(SKIP_1) | instid1(VALU_DEP_2)
	v_add_f32_e32 v60, v60, v61
	v_cvt_i32_f32_e32 v61, v62
	v_exp_f32_e32 v60, v60
	s_waitcnt_depctr 0xfff
	v_ldexp_f32 v60, v60, v61
	s_delay_alu instid0(VALU_DEP_1) | instskip(SKIP_1) | instid1(VALU_DEP_1)
	v_cndmask_b32_e64 v60, 0, v60, s4
	v_cmp_nlt_f32_e64 s4, 0x42b17218, v59
	v_cndmask_b32_e64 v190, 0x7f800000, v60, s4
	ds_bpermute_b32 v59, v238, v190
	v_cndmask_b32_e64 v57, v57, v190, s3
	v_cndmask_b32_e64 v58, v58, v190, s2
	s_waitcnt lgkmcnt(0)
	s_delay_alu instid0(VALU_DEP_2) | instskip(NEXT) | instid1(VALU_DEP_2)
	v_cndmask_b32_e64 v57, v57, v59, s1
	v_cndmask_b32_e32 v58, v58, v59, vcc_lo
	s_delay_alu instid0(VALU_DEP_2) | instskip(NEXT) | instid1(VALU_DEP_2)
	v_cvt_f16_f32_e32 v59, v57
	v_cvt_f16_f32_e32 v60, v58
	s_delay_alu instid0(VALU_DEP_1) | instskip(SKIP_1) | instid1(VALU_DEP_1)
	v_pack_b32_f16 v99, v59, v60
	v_sub_f32_e32 v59, v133, v233
	v_mul_f32_e32 v60, 0x3fb8aa3b, v59
	v_cmp_ngt_f32_e64 s4, 0xc2ce8ed0, v59
	s_delay_alu instid0(VALU_DEP_2) | instskip(SKIP_1) | instid1(VALU_DEP_1)
	v_fma_f32 v61, 0x3fb8aa3b, v59, -v60
	v_rndne_f32_e32 v62, v60
	v_dual_fmac_f32 v61, 0x32a5705f, v59 :: v_dual_sub_f32 v60, v60, v62
	s_delay_alu instid0(VALU_DEP_1) | instskip(SKIP_1) | instid1(VALU_DEP_2)
	v_add_f32_e32 v60, v60, v61
	v_cvt_i32_f32_e32 v61, v62
	v_exp_f32_e32 v60, v60
	s_waitcnt_depctr 0xfff
	v_ldexp_f32 v60, v60, v61
	s_delay_alu instid0(VALU_DEP_1) | instskip(SKIP_1) | instid1(VALU_DEP_1)
	v_cndmask_b32_e64 v60, 0, v60, s4
	v_cmp_nlt_f32_e64 s4, 0x42b17218, v59
	v_cndmask_b32_e64 v191, 0x7f800000, v60, s4
	ds_bpermute_b32 v59, v238, v191
	v_cndmask_b32_e64 v57, v57, v191, s3
	v_cndmask_b32_e64 v58, v58, v191, s2
	s_waitcnt lgkmcnt(0)
	s_delay_alu instid0(VALU_DEP_2) | instskip(NEXT) | instid1(VALU_DEP_2)
	v_cndmask_b32_e64 v57, v57, v59, s1
	v_cndmask_b32_e32 v58, v58, v59, vcc_lo
	v_add_nc_u32_e32 v59, 0x1200, v159
	s_delay_alu instid0(VALU_DEP_3) | instskip(NEXT) | instid1(VALU_DEP_3)
	v_cvt_f16_f32_e32 v57, v57
	v_cvt_f16_f32_e32 v58, v58
	s_delay_alu instid0(VALU_DEP_1)
	v_pack_b32_f16 v100, v57, v58
	v_add_nc_u32_e32 v57, 0x200, v161
	ds_load_2addr_b32 v[57:58], v57 offset0:16 offset1:160
	ds_load_2addr_b32 v[59:60], v59 offset0:124 offset1:180
	;; [unrolled: 1-line block ×14, first 2 shown]
	s_waitcnt lgkmcnt(12)
	v_perm_b32 v103, v60, v57, 0x5040100
	s_waitcnt lgkmcnt(11)
	v_perm_b32 v105, v62, v58, 0x5040100
	;; [unrolled: 2-line block ×8, first 2 shown]
	s_delay_alu instid0(VALU_DEP_1)
	v_wmma_f16_16x16x16_f16 v[8:15], v[101:108], v[93:100], v[8:15]
	v_add_nc_u32_e32 v101, 0x200, v165
	v_perm_b32 v102, v59, v109, 0x5040100
	v_perm_b32 v104, v61, v113, 0x5040100
	;; [unrolled: 1-line block ×4, first 2 shown]
	ds_load_2addr_b32 v[134:135], v101 offset0:16 offset1:160
	v_perm_b32 v101, v66, v121, 0x5040100
	s_waitcnt lgkmcnt(1)
	v_perm_b32 v108, v136, v132, 0x5040100
	s_waitcnt lgkmcnt(0)
	v_perm_b32 v103, v111, v134, 0x5040100
	v_perm_b32 v105, v115, v135, 0x5040100
	s_delay_alu instid0(VALU_DEP_1)
	v_wmma_f16_16x16x16_f16 v[0:7], v[101:108], v[93:100], v[0:7]
	v_perm_b32 v103, v60, v57, 0x7060302
	v_sub_f32_e32 v57, v187, v233
	v_perm_b32 v105, v62, v58, 0x7060302
	v_perm_b32 v101, v122, v199, 0x7060302
	v_perm_b32 v107, v120, v193, 0x7060302
	v_perm_b32 v102, v110, v67, 0x7060302
	v_perm_b32 v104, v114, v112, 0x7060302
	v_perm_b32 v106, v118, v116, 0x7060302
	v_perm_b32 v108, v133, v124, 0x7060302
	v_mul_f32_e32 v58, 0x3fb8aa3b, v57
	v_cmp_ngt_f32_e64 s4, 0xc2ce8ed0, v57
	s_delay_alu instid0(VALU_DEP_3) | instskip(SKIP_1) | instid1(VALU_DEP_4)
	v_wmma_f16_16x16x16_f16 v[8:15], v[101:108], v[93:100], v[8:15] op_sel:[0,0,1]
	v_perm_b32 v102, v59, v109, 0x7060302
	v_fma_f32 v59, 0x3fb8aa3b, v57, -v58
	v_rndne_f32_e32 v60, v58
	v_perm_b32 v104, v61, v113, 0x7060302
	v_perm_b32 v101, v66, v121, 0x7060302
	;; [unrolled: 1-line block ×3, first 2 shown]
	s_delay_alu instid0(VALU_DEP_4)
	v_dual_fmac_f32 v59, 0x32a5705f, v57 :: v_dual_sub_f32 v58, v58, v60
	v_cvt_i32_f32_e32 v60, v60
	v_perm_b32 v103, v111, v134, 0x7060302
	v_perm_b32 v105, v115, v135, 0x7060302
	v_perm_b32 v106, v119, v117, 0x7060302
	v_dual_add_f32 v58, v58, v59 :: v_dual_sub_f32 v59, v131, v233
	v_perm_b32 v107, v123, v241, 0x7060302
	s_delay_alu instid0(VALU_DEP_2) | instskip(NEXT) | instid1(VALU_DEP_2)
	v_exp_f32_e32 v58, v58
	v_mul_f32_e32 v61, 0x3fb8aa3b, v59
	v_cmp_ngt_f32_e64 s5, 0xc2ce8ed0, v59
	s_delay_alu instid0(VALU_DEP_3)
	v_wmma_f16_16x16x16_f16 v[0:7], v[101:108], v[93:100], v[0:7] op_sel:[0,0,1]
	v_add_nc_u32_e32 v104, 0x1c00, v159
	v_add_nc_u32_e32 v102, 0x1a00, v159
	v_fma_f32 v62, 0x3fb8aa3b, v59, -v61
	v_rndne_f32_e32 v66, v61
	v_add_nc_u32_e32 v108, 0x2000, v159
	s_delay_alu instid0(TRANS32_DEP_1) | instskip(NEXT) | instid1(VALU_DEP_3)
	v_ldexp_f32 v58, v58, v60
	v_dual_fmac_f32 v62, 0x32a5705f, v59 :: v_dual_sub_f32 v61, v61, v66
	v_cvt_i32_f32_e32 v60, v66
	v_add_nc_u32_e32 v66, 0x1e00, v159
	s_delay_alu instid0(VALU_DEP_4) | instskip(SKIP_2) | instid1(VALU_DEP_2)
	v_cndmask_b32_e64 v58, 0, v58, s4
	v_cmp_nlt_f32_e64 s4, 0x42b17218, v57
	v_add_f32_e32 v61, v61, v62
	v_cndmask_b32_e64 v132, 0x7f800000, v58, s4
	s_delay_alu instid0(VALU_DEP_2) | instskip(SKIP_2) | instid1(VALU_DEP_1)
	v_exp_f32_e32 v61, v61
	s_waitcnt_depctr 0xfff
	v_ldexp_f32 v60, v61, v60
	v_cndmask_b32_e64 v57, 0, v60, s5
	v_cmp_nlt_f32_e64 s5, 0x42b17218, v59
	ds_bpermute_b32 v59, v238, v132
	v_cndmask_b32_e64 v131, 0x7f800000, v57, s5
	ds_bpermute_b32 v57, v238, v131
	s_waitcnt lgkmcnt(0)
	v_cndmask_b32_e32 v58, v131, v57, vcc_lo
	v_cndmask_b32_e64 v57, v131, v57, s1
	s_delay_alu instid0(VALU_DEP_2) | instskip(NEXT) | instid1(VALU_DEP_2)
	v_cndmask_b32_e64 v61, v58, v132, s2
	v_cndmask_b32_e64 v60, v57, v132, s3
	v_cvt_f16_f32_e32 v57, v57
	v_cvt_f16_f32_e32 v58, v58
	s_delay_alu instid0(VALU_DEP_3) | instskip(SKIP_1) | instid1(VALU_DEP_3)
	v_cndmask_b32_e64 v60, v60, v59, s1
	v_cndmask_b32_e32 v59, v61, v59, vcc_lo
	v_pack_b32_f16 v93, v57, v58
	v_sub_f32_e32 v57, v130, v233
	s_delay_alu instid0(VALU_DEP_4) | instskip(NEXT) | instid1(VALU_DEP_4)
	v_cvt_f16_f32_e32 v61, v60
	v_cvt_f16_f32_e32 v62, v59
	s_delay_alu instid0(VALU_DEP_3) | instskip(SKIP_1) | instid1(VALU_DEP_3)
	v_mul_f32_e32 v58, 0x3fb8aa3b, v57
	v_cmp_ngt_f32_e64 s4, 0xc2ce8ed0, v57
	v_pack_b32_f16 v94, v61, v62
	s_delay_alu instid0(VALU_DEP_3) | instskip(SKIP_1) | instid1(VALU_DEP_1)
	v_fma_f32 v61, 0x3fb8aa3b, v57, -v58
	v_rndne_f32_e32 v62, v58
	v_dual_fmac_f32 v61, 0x32a5705f, v57 :: v_dual_sub_f32 v58, v58, v62
	s_delay_alu instid0(VALU_DEP_1) | instskip(SKIP_1) | instid1(VALU_DEP_2)
	v_add_f32_e32 v58, v58, v61
	v_cvt_i32_f32_e32 v61, v62
	v_exp_f32_e32 v58, v58
	s_waitcnt_depctr 0xfff
	v_ldexp_f32 v58, v58, v61
	s_delay_alu instid0(VALU_DEP_1) | instskip(SKIP_1) | instid1(VALU_DEP_1)
	v_cndmask_b32_e64 v58, 0, v58, s4
	v_cmp_nlt_f32_e64 s4, 0x42b17218, v57
	v_cndmask_b32_e64 v130, 0x7f800000, v58, s4
	s_delay_alu instid0(VALU_DEP_1) | instskip(SKIP_3) | instid1(VALU_DEP_1)
	v_cndmask_b32_e64 v58, v59, v130, s2
	ds_bpermute_b32 v59, v238, v130
	v_cndmask_b32_e64 v57, v60, v130, s3
	s_waitcnt lgkmcnt(0)
	v_cndmask_b32_e64 v57, v57, v59, s1
	v_cndmask_b32_e32 v58, v58, v59, vcc_lo
	s_delay_alu instid0(VALU_DEP_2) | instskip(NEXT) | instid1(VALU_DEP_2)
	v_cvt_f16_f32_e32 v59, v57
	v_cvt_f16_f32_e32 v60, v58
	s_delay_alu instid0(VALU_DEP_1) | instskip(SKIP_1) | instid1(VALU_DEP_1)
	v_pack_b32_f16 v95, v59, v60
	v_sub_f32_e32 v59, v129, v233
	v_mul_f32_e32 v60, 0x3fb8aa3b, v59
	v_cmp_ngt_f32_e64 s4, 0xc2ce8ed0, v59
	s_delay_alu instid0(VALU_DEP_2) | instskip(SKIP_1) | instid1(VALU_DEP_1)
	v_fma_f32 v61, 0x3fb8aa3b, v59, -v60
	v_rndne_f32_e32 v62, v60
	v_dual_fmac_f32 v61, 0x32a5705f, v59 :: v_dual_sub_f32 v60, v60, v62
	s_delay_alu instid0(VALU_DEP_1) | instskip(SKIP_1) | instid1(VALU_DEP_2)
	v_add_f32_e32 v60, v60, v61
	v_cvt_i32_f32_e32 v61, v62
	v_exp_f32_e32 v60, v60
	s_waitcnt_depctr 0xfff
	v_ldexp_f32 v60, v60, v61
	s_delay_alu instid0(VALU_DEP_1) | instskip(SKIP_1) | instid1(VALU_DEP_1)
	v_cndmask_b32_e64 v60, 0, v60, s4
	v_cmp_nlt_f32_e64 s4, 0x42b17218, v59
	v_cndmask_b32_e64 v129, 0x7f800000, v60, s4
	ds_bpermute_b32 v59, v238, v129
	v_cndmask_b32_e64 v57, v57, v129, s3
	v_cndmask_b32_e64 v58, v58, v129, s2
	s_waitcnt lgkmcnt(0)
	s_delay_alu instid0(VALU_DEP_2) | instskip(NEXT) | instid1(VALU_DEP_2)
	v_cndmask_b32_e64 v57, v57, v59, s1
	v_cndmask_b32_e32 v58, v58, v59, vcc_lo
	s_delay_alu instid0(VALU_DEP_2) | instskip(NEXT) | instid1(VALU_DEP_2)
	v_cvt_f16_f32_e32 v59, v57
	v_cvt_f16_f32_e32 v60, v58
	s_delay_alu instid0(VALU_DEP_1) | instskip(SKIP_1) | instid1(VALU_DEP_1)
	v_pack_b32_f16 v96, v59, v60
	v_sub_f32_e32 v59, v128, v233
	v_mul_f32_e32 v60, 0x3fb8aa3b, v59
	v_cmp_ngt_f32_e64 s4, 0xc2ce8ed0, v59
	s_delay_alu instid0(VALU_DEP_2) | instskip(SKIP_1) | instid1(VALU_DEP_1)
	v_fma_f32 v61, 0x3fb8aa3b, v59, -v60
	v_rndne_f32_e32 v62, v60
	v_dual_fmac_f32 v61, 0x32a5705f, v59 :: v_dual_sub_f32 v60, v60, v62
	s_delay_alu instid0(VALU_DEP_1) | instskip(SKIP_1) | instid1(VALU_DEP_2)
	v_add_f32_e32 v60, v60, v61
	v_cvt_i32_f32_e32 v61, v62
	v_exp_f32_e32 v60, v60
	s_waitcnt_depctr 0xfff
	v_ldexp_f32 v60, v60, v61
	s_delay_alu instid0(VALU_DEP_1) | instskip(SKIP_1) | instid1(VALU_DEP_1)
	v_cndmask_b32_e64 v60, 0, v60, s4
	v_cmp_nlt_f32_e64 s4, 0x42b17218, v59
	v_cndmask_b32_e64 v133, 0x7f800000, v60, s4
	ds_bpermute_b32 v59, v238, v133
	v_cndmask_b32_e64 v57, v57, v133, s3
	v_cndmask_b32_e64 v58, v58, v133, s2
	s_waitcnt lgkmcnt(0)
	s_delay_alu instid0(VALU_DEP_2) | instskip(NEXT) | instid1(VALU_DEP_2)
	;; [unrolled: 29-line block ×5, first 2 shown]
	v_cndmask_b32_e64 v57, v57, v59, s1
	v_dual_cndmask_b32 v58, v58, v59 :: v_dual_add_nc_u32 v59, 0x200, v162
	s_delay_alu instid0(VALU_DEP_2) | instskip(NEXT) | instid1(VALU_DEP_2)
	v_cvt_f16_f32_e32 v57, v57
	v_cvt_f16_f32_e32 v58, v58
	s_delay_alu instid0(VALU_DEP_1)
	v_pack_b32_f16 v100, v57, v58
	ds_load_2addr_b32 v[57:58], v127 offset0:208 offset1:228
	ds_load_2addr_b32 v[59:60], v59 offset0:16 offset1:160
	;; [unrolled: 1-line block ×13, first 2 shown]
	s_waitcnt lgkmcnt(12)
	v_perm_b32 v101, v58, v137, 0x5040100
	s_waitcnt lgkmcnt(10)
	v_perm_b32 v103, v62, v59, 0x5040100
	;; [unrolled: 2-line block ×8, first 2 shown]
	s_delay_alu instid0(VALU_DEP_1)
	v_wmma_f16_16x16x16_f16 v[8:15], v[101:108], v[93:100], v[8:15]
	v_add_nc_u32_e32 v103, 0x200, v166
	v_perm_b32 v101, v109, v57, 0x5040100
	v_perm_b32 v102, v61, v111, 0x5040100
	;; [unrolled: 1-line block ×4, first 2 shown]
	ds_load_2addr_b32 v[127:128], v103 offset0:16 offset1:160
	v_perm_b32 v107, v123, v210, 0x5040100
	v_perm_b32 v108, v56, v125, 0x5040100
	s_waitcnt lgkmcnt(0)
	s_barrier
	buffer_gl0_inv
	v_perm_b32 v103, v113, v127, 0x5040100
	v_perm_b32 v105, v117, v128, 0x5040100
	s_delay_alu instid0(VALU_DEP_1)
	v_wmma_f16_16x16x16_f16 v[0:7], v[101:108], v[93:100], v[0:7]
	v_perm_b32 v101, v58, v137, 0x7060302
	v_perm_b32 v103, v62, v59, 0x7060302
	v_perm_b32 v105, v67, v60, 0x7060302
	v_perm_b32 v107, v122, v211, 0x7060302
	v_perm_b32 v102, v112, v110, 0x7060302
	v_perm_b32 v104, v116, v114, 0x7060302
	v_perm_b32 v106, v120, v118, 0x7060302
	v_perm_b32 v108, v126, v124, 0x7060302
	s_delay_alu instid0(VALU_DEP_1)
	v_wmma_f16_16x16x16_f16 v[8:15], v[101:108], v[93:100], v[8:15] op_sel:[0,0,1]
	v_perm_b32 v108, v56, v125, 0x7060302
	v_add_f32_e32 v56, v200, v201
	v_perm_b32 v101, v109, v57, 0x7060302
	v_perm_b32 v102, v61, v111, 0x7060302
	;; [unrolled: 1-line block ×4, first 2 shown]
	v_add_f32_e32 v56, v202, v56
	v_perm_b32 v105, v117, v128, 0x7060302
	v_perm_b32 v106, v121, v119, 0x7060302
	;; [unrolled: 1-line block ×3, first 2 shown]
	s_delay_alu instid0(VALU_DEP_4) | instskip(NEXT) | instid1(VALU_DEP_2)
	v_add_f32_e32 v56, v203, v56
	v_wmma_f16_16x16x16_f16 v[0:7], v[101:108], v[93:100], v[0:7] op_sel:[0,0,1]
	s_delay_alu instid0(VALU_DEP_2) | instskip(NEXT) | instid1(VALU_DEP_1)
	v_add_f32_e32 v56, v204, v56
	v_add_f32_e32 v56, v205, v56
	s_delay_alu instid0(VALU_DEP_1) | instskip(NEXT) | instid1(VALU_DEP_1)
	v_add_f32_e32 v56, v206, v56
	v_add_f32_e32 v56, v207, v56
	s_delay_alu instid0(VALU_DEP_1) | instskip(NEXT) | instid1(VALU_DEP_1)
	v_add_f32_e32 v48, v48, v56
	v_dual_add_f32 v48, v49, v48 :: v_dual_mov_b32 v49, v232
	s_delay_alu instid0(VALU_DEP_1) | instskip(NEXT) | instid1(VALU_DEP_1)
	v_add_f32_e32 v48, v50, v48
	v_add_f32_e32 v48, v51, v48
	s_delay_alu instid0(VALU_DEP_1) | instskip(NEXT) | instid1(VALU_DEP_1)
	v_add_f32_e32 v48, v52, v48
	v_add_f32_e32 v48, v53, v48
	;; [unrolled: 3-line block ×11, first 2 shown]
	s_delay_alu instid0(VALU_DEP_1)
	v_fmac_f32_e32 v232, v49, v239
	s_cbranch_scc1 .LBB0_87
.LBB0_88:                               ;   in Loop: Header=BB0_14 Depth=1
	s_lshl_b32 s2, s102, 6
	v_lshlrev_b32_e32 v50, 1, v145
	s_ashr_i32 s3, s2, 31
	v_lshlrev_b64 v[48:49], 1, v[91:92]
	s_lshl_b64 s[4:5], s[2:3], 1
	v_dual_mov_b32 v108, s43 :: v_dual_mov_b32 v101, s36
	s_add_u32 s1, s99, s4
	s_addc_u32 s3, s100, s5
	v_mov_b32_e32 v107, s42
	v_add_co_u32 v56, s1, s1, v50
	s_delay_alu instid0(VALU_DEP_1) | instskip(SKIP_1) | instid1(VALU_DEP_3)
	v_add_co_ci_u32_e64 v57, null, s3, 0, s1
	v_lshlrev_b64 v[50:51], 1, v[89:90]
	v_add_co_u32 v48, vcc_lo, v56, v48
	v_lshlrev_b64 v[52:53], 1, v[87:88]
	s_delay_alu instid0(VALU_DEP_4) | instskip(NEXT) | instid1(VALU_DEP_4)
	v_add_co_ci_u32_e32 v49, vcc_lo, v57, v49, vcc_lo
	v_add_co_u32 v50, vcc_lo, v56, v50
	v_lshlrev_b64 v[54:55], 1, v[85:86]
	v_add_co_ci_u32_e32 v51, vcc_lo, v57, v51, vcc_lo
	v_add_co_u32 v52, vcc_lo, v56, v52
	v_add_co_ci_u32_e32 v53, vcc_lo, v57, v53, vcc_lo
	s_delay_alu instid0(VALU_DEP_4)
	v_add_co_u32 v54, vcc_lo, v56, v54
	v_add_co_ci_u32_e32 v55, vcc_lo, v57, v55, vcc_lo
	s_clause 0x3
	global_load_b32 v48, v[48:49], off
	global_load_b32 v49, v[50:51], off
	;; [unrolled: 1-line block ×4, first 2 shown]
	v_dual_mov_b32 v105, s40 :: v_dual_add_nc_u32 v52, v154, v147
	s_mul_hi_i32 s5, s12, s2
	s_mul_i32 s4, s12, s2
	s_delay_alu instid0(VALU_DEP_1)
	v_dual_mov_b32 v106, s41 :: v_dual_add_nc_u32 v53, 0x2400, v52
	s_lshl_b64 s[4:5], s[4:5], 2
	v_mov_b32_e32 v104, s39
	s_add_u32 s1, s97, s4
	s_addc_u32 s3, s98, s5
	v_dual_mov_b32 v102, s37 :: v_dual_mov_b32 v103, s38
	s_waitcnt vmcnt(2)
	ds_store_2addr_b32 v53, v48, v49 offset1:144
	v_add_nc_u32_e32 v48, 0x2800, v52
	s_waitcnt vmcnt(0)
	ds_store_2addr_b32 v48, v50, v51 offset0:32 offset1:176
	v_add_co_u32 v48, vcc_lo, s1, v76
	v_add_co_ci_u32_e32 v49, vcc_lo, s3, v77, vcc_lo
	s_delay_alu instid0(VALU_DEP_2) | instskip(NEXT) | instid1(VALU_DEP_2)
	v_add_co_u32 v48, vcc_lo, v48, v195
	v_add_co_ci_u32_e32 v49, vcc_lo, 0, v49, vcc_lo
	v_add_co_u32 v50, vcc_lo, s1, v78
	v_add_co_ci_u32_e32 v51, vcc_lo, s3, v79, vcc_lo
	s_delay_alu instid0(VALU_DEP_2) | instskip(NEXT) | instid1(VALU_DEP_2)
	v_add_co_u32 v52, vcc_lo, v50, v195
	v_add_co_ci_u32_e32 v53, vcc_lo, 0, v51, vcc_lo
	s_clause 0x1
	global_load_b128 v[48:51], v[48:49], off
	global_load_b128 v[52:55], v[52:53], off
	s_waitcnt vmcnt(1)
	ds_store_b128 v153, v[48:51]
	s_waitcnt vmcnt(0)
	ds_store_b128 v155, v[52:55]
	v_add_co_u32 v48, vcc_lo, s1, v80
	v_add_co_ci_u32_e32 v49, vcc_lo, s3, v81, vcc_lo
	s_delay_alu instid0(VALU_DEP_2) | instskip(NEXT) | instid1(VALU_DEP_2)
	v_add_co_u32 v48, vcc_lo, v48, v195
	v_add_co_ci_u32_e32 v49, vcc_lo, 0, v49, vcc_lo
	v_add_co_u32 v50, vcc_lo, s1, v82
	v_add_co_ci_u32_e32 v51, vcc_lo, s3, v83, vcc_lo
	s_mul_hi_i32 s3, s10, s2
	s_delay_alu instid0(VALU_DEP_2) | instskip(NEXT) | instid1(VALU_DEP_2)
	v_add_co_u32 v52, vcc_lo, v50, v195
	v_add_co_ci_u32_e32 v53, vcc_lo, 0, v51, vcc_lo
	s_clause 0x1
	global_load_b128 v[48:51], v[48:49], off
	global_load_b128 v[52:55], v[52:53], off
	v_cmp_lt_i32_e32 vcc_lo, v234, v235
	s_mul_i32 s2, s10, s2
	s_waitcnt vmcnt(1)
	ds_store_b128 v156, v[48:51]
	s_waitcnt vmcnt(0)
	ds_store_b128 v157, v[52:55]
	s_waitcnt lgkmcnt(0)
	s_barrier
	buffer_gl0_inv
	ds_load_b128 v[48:51], v150
	ds_load_b128 v[52:55], v150 offset:16
	ds_load_b128 v[56:59], v150 offset:2304
	;; [unrolled: 1-line block ×7, first 2 shown]
	s_lshl_b64 s[2:3], s[2:3], 2
	s_delay_alu instid0(SALU_CYCLE_1)
	s_add_u32 s1, s95, s2
	s_addc_u32 s2, s96, s3
	v_cmp_eq_u32_e64 s3, 1, v149
	s_cmp_eq_u64 s[72:73], 0
	s_waitcnt lgkmcnt(6)
	v_wmma_f32_16x16x16_f16 v[109:116], v[48:55], v[40:47], v[101:108]
	s_waitcnt lgkmcnt(4)
	v_wmma_f32_16x16x16_f16 v[48:55], v[56:63], v[40:47], v[101:108]
	;; [unrolled: 2-line block ×4, first 2 shown]
	ds_load_b128 v[40:43], v150 offset:32
	ds_load_b128 v[44:47], v150 offset:48
	s_waitcnt lgkmcnt(0)
	v_wmma_f32_16x16x16_f16 v[109:116], v[40:47], v[16:23], v[109:116]
	ds_load_b128 v[40:43], v150 offset:2336
	ds_load_b128 v[44:47], v150 offset:2352
	s_waitcnt lgkmcnt(0)
	v_wmma_f32_16x16x16_f16 v[48:55], v[40:47], v[16:23], v[48:55]
	;; [unrolled: 4-line block ×11, first 2 shown]
	ds_load_b128 v[16:19], v150 offset:7008
	ds_load_b128 v[20:23], v150 offset:7024
	s_waitcnt lgkmcnt(0)
	s_barrier
	buffer_gl0_inv
	v_wmma_f32_16x16x16_f16 v[117:124], v[16:23], v[32:39], v[117:124]
	ds_load_u16 v16, v158
	ds_load_u16 v17, v158 offset:4
	ds_load_u16 v18, v158 offset:8
	;; [unrolled: 1-line block ×15, first 2 shown]
	s_waitcnt lgkmcnt(15)
	v_cvt_f32_f16_e32 v16, v16
	s_waitcnt lgkmcnt(7)
	v_cvt_f32_f16_e32 v24, v24
	;; [unrolled: 2-line block ×4, first 2 shown]
	v_cvt_f32_f16_e32 v20, v20
	s_waitcnt lgkmcnt(4)
	v_cvt_f32_f16_e32 v27, v27
	v_cvt_f32_f16_e32 v22, v22
	s_waitcnt lgkmcnt(3)
	v_cvt_f32_f16_e32 v28, v28
	s_waitcnt lgkmcnt(2)
	v_cvt_f32_f16_e32 v29, v29
	s_waitcnt lgkmcnt(1)
	v_cvt_f32_f16_e32 v30, v30
	s_waitcnt lgkmcnt(0)
	v_cvt_f32_f16_e32 v31, v31
	v_dual_add_f32 v20, v113, v20 :: v_dual_add_f32 v105, v51, v27
	v_dual_add_f32 v22, v115, v22 :: v_dual_add_f32 v107, v48, v24
	s_delay_alu instid0(VALU_DEP_3)
	v_dual_add_f32 v108, v49, v25 :: v_dual_add_f32 v101, v55, v31
	v_dual_add_f32 v106, v50, v26 :: v_dual_add_f32 v103, v53, v29
	v_add_f32_e32 v104, v52, v28
	v_add_f32_e32 v102, v54, v30
	ds_load_u16 v24, v158 offset:64
	ds_load_u16 v25, v158 offset:68
	;; [unrolled: 1-line block ×8, first 2 shown]
	v_cvt_f32_f16_e32 v17, v17
	v_cvt_f32_f16_e32 v18, v18
	;; [unrolled: 1-line block ×5, first 2 shown]
	v_dual_add_f32 v16, v109, v16 :: v_dual_add_f32 v17, v110, v17
	s_delay_alu instid0(VALU_DEP_4) | instskip(NEXT) | instid1(VALU_DEP_3)
	v_dual_add_f32 v18, v111, v18 :: v_dual_add_f32 v19, v112, v19
	v_add_f32_e32 v23, v116, v23
	v_add_f32_e32 v21, v114, v21
	s_waitcnt lgkmcnt(7)
	v_cvt_f32_f16_e32 v24, v24
	s_waitcnt lgkmcnt(6)
	v_cvt_f32_f16_e32 v25, v25
	;; [unrolled: 2-line block ×8, first 2 shown]
	v_dual_add_f32 v99, v56, v24 :: v_dual_add_f32 v100, v57, v25
	v_dual_add_f32 v98, v58, v26 :: v_dual_add_f32 v95, v61, v29
	v_dual_add_f32 v97, v59, v27 :: v_dual_add_f32 v96, v60, v28
	s_delay_alu instid0(VALU_DEP_4)
	v_dual_add_f32 v94, v62, v30 :: v_dual_add_f32 v93, v63, v31
	ds_load_u16 v24, v158 offset:96
	ds_load_u16 v25, v158 offset:100
	;; [unrolled: 1-line block ×8, first 2 shown]
	s_waitcnt lgkmcnt(7)
	v_cvt_f32_f16_e32 v24, v24
	s_waitcnt lgkmcnt(6)
	v_cvt_f32_f16_e32 v25, v25
	;; [unrolled: 2-line block ×5, first 2 shown]
	v_dual_add_f32 v91, v117, v24 :: v_dual_add_f32 v92, v118, v25
	v_dual_add_f32 v24, 0x40051340, v16 :: v_dual_add_f32 v25, 0x40051340, v17
	s_delay_alu instid0(VALU_DEP_3)
	v_add_f32_e32 v88, v121, v28
	s_waitcnt lgkmcnt(1)
	v_cvt_f32_f16_e32 v30, v30
	s_waitcnt lgkmcnt(0)
	v_cvt_f32_f16_e32 v31, v31
	v_add_f32_e32 v90, v119, v26
	v_max3_f32 v24, v233, v24, v25
	v_dual_add_f32 v25, 0x40051340, v18 :: v_dual_add_f32 v26, 0x40051340, v19
	v_add_f32_e32 v86, v123, v30
	v_cvt_f32_f16_e32 v29, v29
	v_add_f32_e32 v85, v124, v31
	v_add_f32_e32 v89, v120, v27
	v_max3_f32 v24, v24, v25, v26
	v_dual_add_f32 v25, 0x40051340, v20 :: v_dual_add_f32 v26, 0x40051340, v21
	v_dual_add_f32 v87, v122, v29 :: v_dual_add_nc_u32 v118, 0x800, v159
	s_delay_alu instid0(VALU_DEP_2) | instskip(SKIP_1) | instid1(VALU_DEP_1)
	v_max3_f32 v24, v24, v25, v26
	v_dual_add_f32 v25, 0x40051340, v22 :: v_dual_add_f32 v26, 0x40051340, v23
	v_max3_f32 v24, v24, v25, v26
	v_dual_add_f32 v25, 0x40051340, v107 :: v_dual_add_f32 v26, 0x40051340, v108
	s_delay_alu instid0(VALU_DEP_1) | instskip(SKIP_1) | instid1(VALU_DEP_1)
	v_max3_f32 v24, v24, v25, v26
	v_dual_add_f32 v25, 0x40051340, v106 :: v_dual_add_f32 v26, 0x40051340, v105
	v_max3_f32 v24, v24, v25, v26
	v_dual_add_f32 v25, 0x40051340, v104 :: v_dual_add_f32 v26, 0x40051340, v103
	s_delay_alu instid0(VALU_DEP_1) | instskip(SKIP_1) | instid1(VALU_DEP_1)
	;; [unrolled: 5-line block ×6, first 2 shown]
	v_max3_f32 v24, v24, v25, v26
	v_dual_add_f32 v25, 0x40051340, v86 :: v_dual_add_f32 v26, 0x40051340, v85
	v_max3_f32 v24, v24, v25, v26
	v_cndmask_b32_e32 v25, v214, v234, vcc_lo
	s_delay_alu instid0(VALU_DEP_1) | instskip(SKIP_3) | instid1(VALU_DEP_1)
	v_lshlrev_b32_e32 v63, 2, v25
	ds_bpermute_b32 v25, v63, v24
	s_waitcnt lgkmcnt(0)
	v_max_f32_e32 v25, v25, v25
	v_max_f32_e32 v32, v24, v25
	s_delay_alu instid0(VALU_DEP_1) | instskip(NEXT) | instid1(VALU_DEP_1)
	v_sub_f32_e32 v24, v233, v32
	v_mul_f32_e32 v25, 0x3fb8aa3b, v24
	v_sub_f32_e32 v17, v17, v32
	v_cmp_ngt_f32_e32 vcc_lo, 0xc2ce8ed0, v24
	v_sub_f32_e32 v16, v16, v32
	v_sub_f32_e32 v20, v20, v32
	v_fma_f32 v26, 0x3fb8aa3b, v24, -v25
	v_rndne_f32_e32 v27, v25
	v_sub_f32_e32 v22, v22, v32
	s_delay_alu instid0(VALU_DEP_2) | instskip(NEXT) | instid1(VALU_DEP_1)
	v_dual_fmac_f32 v26, 0x32a5705f, v24 :: v_dual_sub_f32 v25, v25, v27
	v_add_f32_e32 v25, v25, v26
	v_cvt_i32_f32_e32 v26, v27
	s_delay_alu instid0(VALU_DEP_2) | instskip(SKIP_2) | instid1(VALU_DEP_1)
	v_exp_f32_e32 v25, v25
	s_waitcnt_depctr 0xfff
	v_ldexp_f32 v25, v25, v26
	v_cndmask_b32_e32 v25, 0, v25, vcc_lo
	v_cmp_nlt_f32_e32 vcc_lo, 0x42b17218, v24
	s_delay_alu instid0(VALU_DEP_2) | instskip(SKIP_1) | instid1(VALU_DEP_2)
	v_cndmask_b32_e32 v25, 0x7f800000, v25, vcc_lo
	v_cmp_le_f32_e32 vcc_lo, 0xc1a00000, v24
	v_cndmask_b32_e32 v109, 0, v25, vcc_lo
	s_delay_alu instid0(VALU_DEP_1) | instskip(NEXT) | instid1(VALU_DEP_1)
	v_cvt_f16_f32_e32 v24, v109
	v_pk_mul_f16 v8, v24, v8 op_sel_hi:[0,1]
	v_pk_mul_f16 v9, v24, v9 op_sel_hi:[0,1]
	;; [unrolled: 1-line block ×16, first 2 shown]
	v_add_co_u32 v24, vcc_lo, s1, v68
	v_add_co_ci_u32_e32 v25, vcc_lo, s2, v69, vcc_lo
	s_delay_alu instid0(VALU_DEP_2) | instskip(NEXT) | instid1(VALU_DEP_2)
	v_add_co_u32 v24, vcc_lo, v24, v195
	v_add_co_ci_u32_e32 v25, vcc_lo, 0, v25, vcc_lo
	v_add_co_u32 v26, vcc_lo, s1, v70
	v_add_co_ci_u32_e32 v27, vcc_lo, s2, v71, vcc_lo
	s_delay_alu instid0(VALU_DEP_2) | instskip(NEXT) | instid1(VALU_DEP_2)
	v_add_co_u32 v28, vcc_lo, v26, v195
	v_add_co_ci_u32_e32 v29, vcc_lo, 0, v27, vcc_lo
	s_clause 0x1
	global_load_b128 v[24:27], v[24:25], off
	global_load_b128 v[28:31], v[28:29], off
	s_waitcnt vmcnt(1)
	ds_store_b128 v153, v[24:27]
	s_waitcnt vmcnt(0)
	ds_store_b128 v155, v[28:31]
	v_add_co_u32 v24, vcc_lo, s1, v72
	v_add_co_ci_u32_e32 v25, vcc_lo, s2, v73, vcc_lo
	s_delay_alu instid0(VALU_DEP_2) | instskip(NEXT) | instid1(VALU_DEP_2)
	v_add_co_u32 v24, vcc_lo, v24, v195
	v_add_co_ci_u32_e32 v25, vcc_lo, 0, v25, vcc_lo
	v_add_co_u32 v26, vcc_lo, s1, v74
	v_add_co_ci_u32_e32 v27, vcc_lo, s2, v75, vcc_lo
	v_cmp_ngt_f32_e64 s1, 0xc2ce8ed0, v16
	s_delay_alu instid0(VALU_DEP_3) | instskip(NEXT) | instid1(VALU_DEP_3)
	v_add_co_u32 v28, vcc_lo, v26, v195
	v_add_co_ci_u32_e32 v29, vcc_lo, 0, v27, vcc_lo
	s_clause 0x1
	global_load_b128 v[24:27], v[24:25], off
	global_load_b128 v[28:31], v[28:29], off
	s_waitcnt vmcnt(1)
	ds_store_b128 v156, v[24:27]
	s_waitcnt vmcnt(0)
	ds_store_b128 v157, v[28:31]
	v_mul_f32_e32 v24, 0x3fb8aa3b, v17
	v_cmp_eq_u32_e64 s2, 0, v149
	s_waitcnt lgkmcnt(0)
	s_barrier
	buffer_gl0_inv
	v_fma_f32 v25, 0x3fb8aa3b, v17, -v24
	v_rndne_f32_e32 v26, v24
	ds_load_2addr_b32 v[33:34], v159 offset1:16
	ds_load_2addr_b32 v[35:36], v159 offset0:36 offset1:52
	ds_load_2addr_b32 v[37:38], v159 offset0:72 offset1:88
	;; [unrolled: 1-line block ×6, first 2 shown]
	v_dual_fmac_f32 v25, 0x32a5705f, v17 :: v_dual_sub_f32 v24, v24, v26
	v_cvt_i32_f32_e32 v26, v26
	s_delay_alu instid0(VALU_DEP_2) | instskip(SKIP_1) | instid1(VALU_DEP_2)
	v_add_f32_e32 v24, v24, v25
	v_cmp_ngt_f32_e32 vcc_lo, 0xc2ce8ed0, v17
	v_exp_f32_e32 v24, v24
	s_waitcnt_depctr 0xfff
	v_ldexp_f32 v24, v24, v26
	s_delay_alu instid0(VALU_DEP_1) | instskip(SKIP_1) | instid1(VALU_DEP_2)
	v_cndmask_b32_e32 v24, 0, v24, vcc_lo
	v_cmp_nlt_f32_e32 vcc_lo, 0x42b17218, v17
	v_cndmask_b32_e32 v111, 0x7f800000, v24, vcc_lo
	v_cmp_eq_u32_e32 vcc_lo, 1, v152
	v_sub_f32_e32 v19, v19, v32
	v_sub_f32_e32 v18, v18, v32
	v_mul_f32_e32 v25, 0x3fb8aa3b, v16
	ds_bpermute_b32 v24, v63, v111
	v_sub_f32_e32 v21, v21, v32
	v_sub_f32_e32 v23, v23, v32
	v_cmp_ngt_f32_e64 s4, 0xc2ce8ed0, v18
	v_fma_f32 v27, 0x3fb8aa3b, v16, -v25
	v_rndne_f32_e32 v28, v25
	v_add_nc_u32_e32 v31, 0x400, v159
	ds_load_2addr_b32 v[47:48], v31 offset0:12 offset1:32
	ds_load_2addr_b32 v[45:46], v31 offset0:68 offset1:84
	v_fmac_f32_e32 v27, 0x32a5705f, v16
	v_sub_f32_e32 v25, v25, v28
	v_cvt_i32_f32_e32 v26, v28
	ds_load_2addr_b32 v[49:50], v31 offset0:104 offset1:120
	ds_load_2addr_b32 v[51:52], v31 offset0:140 offset1:156
	;; [unrolled: 1-line block ×5, first 2 shown]
	v_add_f32_e32 v25, v25, v27
	s_delay_alu instid0(VALU_DEP_1)
	v_exp_f32_e32 v25, v25
	s_waitcnt_depctr 0xfff
	v_ldexp_f32 v25, v25, v26
	s_waitcnt lgkmcnt(3)
	v_perm_b32 v29, v51, v49, 0x5040100
	s_waitcnt lgkmcnt(2)
	v_perm_b32 v30, v56, v55, 0x5040100
	;; [unrolled: 2-line block ×3, first 2 shown]
	v_cndmask_b32_e64 v17, 0, v25, s1
	v_cmp_nlt_f32_e64 s1, 0x42b17218, v16
	s_delay_alu instid0(VALU_DEP_1)
	v_cndmask_b32_e64 v110, 0x7f800000, v17, s1
	v_cmp_eq_u32_e64 s1, 0, v152
	ds_bpermute_b32 v16, v63, v110
	s_waitcnt lgkmcnt(0)
	v_cndmask_b32_e64 v17, v110, v16, s1
	v_cndmask_b32_e32 v16, v110, v16, vcc_lo
	s_delay_alu instid0(VALU_DEP_2) | instskip(NEXT) | instid1(VALU_DEP_2)
	v_cndmask_b32_e64 v25, v17, v111, s2
	v_cndmask_b32_e64 v26, v16, v111, s3
	v_cvt_f16_f32_e32 v17, v17
	v_cvt_f16_f32_e32 v16, v16
	s_delay_alu instid0(VALU_DEP_4) | instskip(NEXT) | instid1(VALU_DEP_4)
	v_cndmask_b32_e64 v25, v25, v24, s1
	v_cndmask_b32_e32 v24, v26, v24, vcc_lo
	s_delay_alu instid0(VALU_DEP_3) | instskip(NEXT) | instid1(VALU_DEP_3)
	v_pack_b32_f16 v16, v17, v16
	v_cvt_f16_f32_e32 v26, v25
	s_delay_alu instid0(VALU_DEP_3) | instskip(NEXT) | instid1(VALU_DEP_1)
	v_cvt_f16_f32_e32 v27, v24
	v_pack_b32_f16 v17, v26, v27
	v_mul_f32_e32 v26, 0x3fb8aa3b, v18
	s_delay_alu instid0(VALU_DEP_1) | instskip(SKIP_1) | instid1(VALU_DEP_1)
	v_fma_f32 v27, 0x3fb8aa3b, v18, -v26
	v_rndne_f32_e32 v28, v26
	v_dual_fmac_f32 v27, 0x32a5705f, v18 :: v_dual_sub_f32 v26, v26, v28
	s_delay_alu instid0(VALU_DEP_1) | instskip(SKIP_1) | instid1(VALU_DEP_2)
	v_add_f32_e32 v26, v26, v27
	v_cvt_i32_f32_e32 v27, v28
	v_exp_f32_e32 v26, v26
	s_waitcnt_depctr 0xfff
	v_ldexp_f32 v26, v26, v27
	s_delay_alu instid0(VALU_DEP_1) | instskip(SKIP_1) | instid1(VALU_DEP_1)
	v_cndmask_b32_e64 v26, 0, v26, s4
	v_cmp_nlt_f32_e64 s4, 0x42b17218, v18
	v_cndmask_b32_e64 v112, 0x7f800000, v26, s4
	v_cmp_ngt_f32_e64 s4, 0xc2ce8ed0, v19
	s_delay_alu instid0(VALU_DEP_2) | instskip(SKIP_4) | instid1(VALU_DEP_2)
	v_cndmask_b32_e64 v18, v25, v112, s2
	ds_bpermute_b32 v25, v63, v112
	v_cndmask_b32_e64 v24, v24, v112, s3
	s_waitcnt lgkmcnt(0)
	v_cndmask_b32_e64 v26, v18, v25, s1
	v_cndmask_b32_e32 v24, v24, v25, vcc_lo
	s_delay_alu instid0(VALU_DEP_2) | instskip(NEXT) | instid1(VALU_DEP_2)
	v_cvt_f16_f32_e32 v18, v26
	v_cvt_f16_f32_e32 v25, v24
	s_delay_alu instid0(VALU_DEP_1) | instskip(SKIP_1) | instid1(VALU_DEP_1)
	v_pack_b32_f16 v18, v18, v25
	v_mul_f32_e32 v25, 0x3fb8aa3b, v19
	v_fma_f32 v27, 0x3fb8aa3b, v19, -v25
	v_rndne_f32_e32 v28, v25
	s_delay_alu instid0(VALU_DEP_2) | instskip(NEXT) | instid1(VALU_DEP_2)
	v_fmac_f32_e32 v27, 0x32a5705f, v19
	v_sub_f32_e32 v25, v25, v28
	s_delay_alu instid0(VALU_DEP_1) | instskip(SKIP_1) | instid1(VALU_DEP_2)
	v_add_f32_e32 v25, v25, v27
	v_cvt_i32_f32_e32 v27, v28
	v_exp_f32_e32 v25, v25
	s_waitcnt_depctr 0xfff
	v_ldexp_f32 v25, v25, v27
	s_delay_alu instid0(VALU_DEP_1) | instskip(SKIP_1) | instid1(VALU_DEP_1)
	v_cndmask_b32_e64 v25, 0, v25, s4
	v_cmp_nlt_f32_e64 s4, 0x42b17218, v19
	v_cndmask_b32_e64 v113, 0x7f800000, v25, s4
	v_cmp_ngt_f32_e64 s4, 0xc2ce8ed0, v20
	ds_bpermute_b32 v25, v63, v113
	v_cndmask_b32_e64 v19, v26, v113, s2
	v_cndmask_b32_e64 v24, v24, v113, s3
	s_waitcnt lgkmcnt(0)
	s_delay_alu instid0(VALU_DEP_2) | instskip(NEXT) | instid1(VALU_DEP_2)
	v_cndmask_b32_e64 v26, v19, v25, s1
	v_cndmask_b32_e32 v24, v24, v25, vcc_lo
	s_delay_alu instid0(VALU_DEP_2) | instskip(NEXT) | instid1(VALU_DEP_2)
	v_cvt_f16_f32_e32 v19, v26
	v_cvt_f16_f32_e32 v25, v24
	s_delay_alu instid0(VALU_DEP_1) | instskip(SKIP_1) | instid1(VALU_DEP_1)
	v_pack_b32_f16 v19, v19, v25
	v_mul_f32_e32 v25, 0x3fb8aa3b, v20
	v_fma_f32 v27, 0x3fb8aa3b, v20, -v25
	v_rndne_f32_e32 v28, v25
	s_delay_alu instid0(VALU_DEP_2) | instskip(NEXT) | instid1(VALU_DEP_2)
	v_fmac_f32_e32 v27, 0x32a5705f, v20
	v_sub_f32_e32 v25, v25, v28
	s_delay_alu instid0(VALU_DEP_1) | instskip(SKIP_1) | instid1(VALU_DEP_2)
	v_add_f32_e32 v25, v25, v27
	v_cvt_i32_f32_e32 v27, v28
	v_exp_f32_e32 v25, v25
	s_waitcnt_depctr 0xfff
	v_ldexp_f32 v25, v25, v27
	s_delay_alu instid0(VALU_DEP_1) | instskip(SKIP_1) | instid1(VALU_DEP_1)
	v_cndmask_b32_e64 v25, 0, v25, s4
	v_cmp_nlt_f32_e64 s4, 0x42b17218, v20
	v_cndmask_b32_e64 v114, 0x7f800000, v25, s4
	v_cmp_ngt_f32_e64 s4, 0xc2ce8ed0, v21
	ds_bpermute_b32 v25, v63, v114
	v_cndmask_b32_e64 v20, v26, v114, s2
	v_cndmask_b32_e64 v24, v24, v114, s3
	s_waitcnt lgkmcnt(0)
	s_delay_alu instid0(VALU_DEP_2) | instskip(NEXT) | instid1(VALU_DEP_2)
	;; [unrolled: 29-line block ×4, first 2 shown]
	v_cndmask_b32_e64 v26, v22, v25, s1
	v_cndmask_b32_e32 v24, v24, v25, vcc_lo
	s_delay_alu instid0(VALU_DEP_2) | instskip(NEXT) | instid1(VALU_DEP_2)
	v_cvt_f16_f32_e32 v22, v26
	v_cvt_f16_f32_e32 v25, v24
	s_delay_alu instid0(VALU_DEP_1) | instskip(SKIP_1) | instid1(VALU_DEP_1)
	v_pack_b32_f16 v22, v22, v25
	v_mul_f32_e32 v25, 0x3fb8aa3b, v23
	v_fma_f32 v27, 0x3fb8aa3b, v23, -v25
	v_rndne_f32_e32 v28, v25
	s_delay_alu instid0(VALU_DEP_2) | instskip(NEXT) | instid1(VALU_DEP_2)
	v_fmac_f32_e32 v27, 0x32a5705f, v23
	v_sub_f32_e32 v25, v25, v28
	s_delay_alu instid0(VALU_DEP_1) | instskip(SKIP_2) | instid1(VALU_DEP_3)
	v_add_f32_e32 v25, v25, v27
	v_cvt_i32_f32_e32 v27, v28
	v_perm_b32 v28, v45, v48, 0x5040100
	v_exp_f32_e32 v25, v25
	s_waitcnt_depctr 0xfff
	v_ldexp_f32 v25, v25, v27
	v_perm_b32 v27, v44, v42, 0x5040100
	s_delay_alu instid0(VALU_DEP_2) | instskip(SKIP_1) | instid1(VALU_DEP_1)
	v_cndmask_b32_e64 v25, 0, v25, s4
	v_cmp_nlt_f32_e64 s4, 0x42b17218, v23
	v_cndmask_b32_e64 v117, 0x7f800000, v25, s4
	ds_bpermute_b32 v25, v63, v117
	v_cndmask_b32_e64 v23, v24, v117, s3
	v_cndmask_b32_e64 v24, v26, v117, s2
	v_perm_b32 v26, v54, v53, 0x5040100
	s_waitcnt lgkmcnt(0)
	s_delay_alu instid0(VALU_DEP_2) | instskip(SKIP_2) | instid1(VALU_DEP_3)
	v_cndmask_b32_e64 v24, v24, v25, s1
	v_cndmask_b32_e32 v23, v23, v25, vcc_lo
	v_perm_b32 v25, v39, v37, 0x5040100
	v_cvt_f16_f32_e32 v24, v24
	s_delay_alu instid0(VALU_DEP_3) | instskip(NEXT) | instid1(VALU_DEP_1)
	v_cvt_f16_f32_e32 v23, v23
	v_pack_b32_f16 v23, v24, v23
	v_perm_b32 v24, v35, v33, 0x5040100
	s_delay_alu instid0(VALU_DEP_1)
	v_wmma_f16_16x16x16_f16 v[8:15], v[24:31], v[16:23], v[8:15]
	v_add_nc_u32_e32 v26, 0x200, v163
	v_perm_b32 v24, v36, v34, 0x5040100
	v_perm_b32 v25, v40, v38, 0x5040100
	;; [unrolled: 1-line block ×4, first 2 shown]
	ds_load_2addr_b32 v[61:62], v26 offset0:16 offset1:160
	ds_load_b32 v119, v163 offset:1728
	ds_load_b32 v120, v164 offset:1728
	;; [unrolled: 1-line block ×5, first 2 shown]
	ds_load_2addr_b32 v[66:67], v118 offset0:44 offset1:64
	s_waitcnt lgkmcnt(5)
	v_perm_b32 v30, v57, v119, 0x5040100
	v_perm_b32 v26, v41, v61, 0x5040100
	v_perm_b32 v28, v46, v62, 0x5040100
	s_waitcnt lgkmcnt(0)
	v_perm_b32 v31, v66, v59, 0x5040100
	s_delay_alu instid0(VALU_DEP_1)
	v_wmma_f16_16x16x16_f16 v[0:7], v[24:31], v[16:23], v[0:7]
	v_perm_b32 v26, v54, v53, 0x7060302
	v_perm_b32 v30, v56, v55, 0x7060302
	;; [unrolled: 1-line block ×8, first 2 shown]
	v_add_nc_u32_e32 v39, 0xe00, v159
	s_delay_alu instid0(VALU_DEP_2)
	v_wmma_f16_16x16x16_f16 v[8:15], v[24:31], v[16:23], v[8:15] op_sel:[0,0,1]
	v_perm_b32 v24, v36, v34, 0x7060302
	v_perm_b32 v25, v40, v38, 0x7060302
	;; [unrolled: 1-line block ×8, first 2 shown]
	v_add_nc_u32_e32 v38, 0xc00, v159
	ds_load_2addr_b32 v[41:42], v118 offset0:80 offset1:100
	ds_load_2addr_b32 v[43:44], v118 offset0:116 offset1:136
	ds_load_2addr_b32 v[45:46], v118 offset0:152 offset1:172
	v_wmma_f16_16x16x16_f16 v[0:7], v[24:31], v[16:23], v[0:7] op_sel:[0,0,1]
	v_sub_f32_e32 v16, v108, v32
	s_delay_alu instid0(VALU_DEP_1) | instskip(SKIP_1) | instid1(VALU_DEP_2)
	v_mul_f32_e32 v17, 0x3fb8aa3b, v16
	v_cmp_ngt_f32_e64 s4, 0xc2ce8ed0, v16
	v_fma_f32 v18, 0x3fb8aa3b, v16, -v17
	v_rndne_f32_e32 v19, v17
	s_delay_alu instid0(VALU_DEP_1) | instskip(SKIP_1) | instid1(VALU_DEP_2)
	v_dual_fmac_f32 v18, 0x32a5705f, v16 :: v_dual_sub_f32 v17, v17, v19
	v_cvt_i32_f32_e32 v19, v19
	v_dual_add_f32 v17, v17, v18 :: v_dual_sub_f32 v18, v107, v32
	v_add_nc_u32_e32 v107, 0x1000, v159
	s_delay_alu instid0(VALU_DEP_2) | instskip(NEXT) | instid1(VALU_DEP_2)
	v_exp_f32_e32 v17, v17
	v_mul_f32_e32 v20, 0x3fb8aa3b, v18
	v_cmp_ngt_f32_e64 s5, 0xc2ce8ed0, v18
	s_delay_alu instid0(VALU_DEP_2)
	v_fma_f32 v21, 0x3fb8aa3b, v18, -v20
	v_rndne_f32_e32 v22, v20
	s_waitcnt_depctr 0xfff
	v_ldexp_f32 v17, v17, v19
	v_fmac_f32_e32 v21, 0x32a5705f, v18
	v_sub_f32_e32 v20, v20, v22
	s_delay_alu instid0(VALU_DEP_3) | instskip(SKIP_1) | instid1(VALU_DEP_3)
	v_cndmask_b32_e64 v17, 0, v17, s4
	v_cmp_nlt_f32_e64 s4, 0x42b17218, v16
	v_add_f32_e32 v20, v20, v21
	s_delay_alu instid0(VALU_DEP_2) | instskip(NEXT) | instid1(VALU_DEP_2)
	v_cndmask_b32_e64 v17, 0x7f800000, v17, s4
	v_exp_f32_e32 v19, v20
	v_cvt_i32_f32_e32 v20, v22
	s_waitcnt_depctr 0xfff
	v_ldexp_f32 v19, v19, v20
	ds_bpermute_b32 v20, v63, v17
	v_cndmask_b32_e64 v16, 0, v19, s5
	v_cmp_nlt_f32_e64 s5, 0x42b17218, v18
	s_delay_alu instid0(VALU_DEP_1) | instskip(SKIP_4) | instid1(VALU_DEP_2)
	v_cndmask_b32_e64 v16, 0x7f800000, v16, s5
	ds_bpermute_b32 v18, v63, v16
	s_waitcnt lgkmcnt(0)
	v_cndmask_b32_e64 v19, v16, v18, s1
	v_cndmask_b32_e32 v18, v16, v18, vcc_lo
	v_cndmask_b32_e64 v21, v19, v17, s2
	s_delay_alu instid0(VALU_DEP_2) | instskip(SKIP_2) | instid1(VALU_DEP_4)
	v_cndmask_b32_e64 v22, v18, v17, s3
	v_cvt_f16_f32_e32 v19, v19
	v_cvt_f16_f32_e32 v18, v18
	v_cndmask_b32_e64 v21, v21, v20, s1
	s_delay_alu instid0(VALU_DEP_4) | instskip(NEXT) | instid1(VALU_DEP_3)
	v_cndmask_b32_e32 v20, v22, v20, vcc_lo
	v_pack_b32_f16 v24, v19, v18
	v_sub_f32_e32 v18, v106, v32
	s_delay_alu instid0(VALU_DEP_4) | instskip(NEXT) | instid1(VALU_DEP_4)
	v_cvt_f16_f32_e32 v22, v21
	v_cvt_f16_f32_e32 v23, v20
	s_delay_alu instid0(VALU_DEP_3) | instskip(SKIP_1) | instid1(VALU_DEP_3)
	v_mul_f32_e32 v19, 0x3fb8aa3b, v18
	v_cmp_ngt_f32_e64 s4, 0xc2ce8ed0, v18
	v_pack_b32_f16 v25, v22, v23
	s_delay_alu instid0(VALU_DEP_3) | instskip(SKIP_1) | instid1(VALU_DEP_1)
	v_fma_f32 v22, 0x3fb8aa3b, v18, -v19
	v_rndne_f32_e32 v23, v19
	v_dual_fmac_f32 v22, 0x32a5705f, v18 :: v_dual_sub_f32 v19, v19, v23
	s_delay_alu instid0(VALU_DEP_1) | instskip(SKIP_1) | instid1(VALU_DEP_2)
	v_add_f32_e32 v19, v19, v22
	v_cvt_i32_f32_e32 v22, v23
	v_exp_f32_e32 v19, v19
	s_waitcnt_depctr 0xfff
	v_ldexp_f32 v19, v19, v22
	s_delay_alu instid0(VALU_DEP_1) | instskip(SKIP_1) | instid1(VALU_DEP_1)
	v_cndmask_b32_e64 v19, 0, v19, s4
	v_cmp_nlt_f32_e64 s4, 0x42b17218, v18
	v_cndmask_b32_e64 v18, 0x7f800000, v19, s4
	s_delay_alu instid0(VALU_DEP_1) | instskip(SKIP_4) | instid1(VALU_DEP_2)
	v_cndmask_b32_e64 v19, v21, v18, s2
	ds_bpermute_b32 v21, v63, v18
	v_cndmask_b32_e64 v20, v20, v18, s3
	s_waitcnt lgkmcnt(0)
	v_cndmask_b32_e64 v22, v19, v21, s1
	v_cndmask_b32_e32 v20, v20, v21, vcc_lo
	s_delay_alu instid0(VALU_DEP_2) | instskip(NEXT) | instid1(VALU_DEP_2)
	v_cvt_f16_f32_e32 v19, v22
	v_cvt_f16_f32_e32 v21, v20
	s_delay_alu instid0(VALU_DEP_1) | instskip(SKIP_1) | instid1(VALU_DEP_1)
	v_pack_b32_f16 v26, v19, v21
	v_sub_f32_e32 v19, v105, v32
	v_mul_f32_e32 v21, 0x3fb8aa3b, v19
	v_cmp_ngt_f32_e64 s4, 0xc2ce8ed0, v19
	s_delay_alu instid0(VALU_DEP_2) | instskip(SKIP_1) | instid1(VALU_DEP_2)
	v_fma_f32 v23, 0x3fb8aa3b, v19, -v21
	v_rndne_f32_e32 v27, v21
	v_fmac_f32_e32 v23, 0x32a5705f, v19
	s_delay_alu instid0(VALU_DEP_2) | instskip(NEXT) | instid1(VALU_DEP_1)
	v_sub_f32_e32 v21, v21, v27
	v_add_f32_e32 v21, v21, v23
	v_cvt_i32_f32_e32 v23, v27
	s_delay_alu instid0(VALU_DEP_2) | instskip(SKIP_2) | instid1(VALU_DEP_1)
	v_exp_f32_e32 v21, v21
	s_waitcnt_depctr 0xfff
	v_ldexp_f32 v21, v21, v23
	v_cndmask_b32_e64 v21, 0, v21, s4
	v_cmp_nlt_f32_e64 s4, 0x42b17218, v19
	s_delay_alu instid0(VALU_DEP_1) | instskip(NEXT) | instid1(VALU_DEP_1)
	v_cndmask_b32_e64 v19, 0x7f800000, v21, s4
	v_cndmask_b32_e64 v21, v22, v19, s2
	ds_bpermute_b32 v22, v63, v19
	v_cndmask_b32_e64 v20, v20, v19, s3
	s_waitcnt lgkmcnt(0)
	v_cndmask_b32_e64 v21, v21, v22, s1
	s_delay_alu instid0(VALU_DEP_2) | instskip(NEXT) | instid1(VALU_DEP_2)
	v_cndmask_b32_e32 v22, v20, v22, vcc_lo
	v_cvt_f16_f32_e32 v20, v21
	s_delay_alu instid0(VALU_DEP_2) | instskip(NEXT) | instid1(VALU_DEP_1)
	v_cvt_f16_f32_e32 v23, v22
	v_pack_b32_f16 v27, v20, v23
	v_sub_f32_e32 v20, v104, v32
	s_delay_alu instid0(VALU_DEP_1) | instskip(SKIP_1) | instid1(VALU_DEP_2)
	v_mul_f32_e32 v23, 0x3fb8aa3b, v20
	v_cmp_ngt_f32_e64 s4, 0xc2ce8ed0, v20
	v_fma_f32 v28, 0x3fb8aa3b, v20, -v23
	v_rndne_f32_e32 v29, v23
	s_delay_alu instid0(VALU_DEP_1) | instskip(NEXT) | instid1(VALU_DEP_1)
	v_dual_fmac_f32 v28, 0x32a5705f, v20 :: v_dual_sub_f32 v23, v23, v29
	v_add_f32_e32 v23, v23, v28
	v_cvt_i32_f32_e32 v28, v29
	s_delay_alu instid0(VALU_DEP_2) | instskip(SKIP_2) | instid1(VALU_DEP_1)
	v_exp_f32_e32 v23, v23
	s_waitcnt_depctr 0xfff
	v_ldexp_f32 v23, v23, v28
	v_cndmask_b32_e64 v23, 0, v23, s4
	v_cmp_nlt_f32_e64 s4, 0x42b17218, v20
	s_delay_alu instid0(VALU_DEP_1) | instskip(SKIP_4) | instid1(VALU_DEP_2)
	v_cndmask_b32_e64 v20, 0x7f800000, v23, s4
	ds_bpermute_b32 v23, v63, v20
	v_cndmask_b32_e64 v21, v21, v20, s2
	v_cndmask_b32_e64 v22, v22, v20, s3
	s_waitcnt lgkmcnt(0)
	v_cndmask_b32_e64 v29, v21, v23, s1
	s_delay_alu instid0(VALU_DEP_2) | instskip(NEXT) | instid1(VALU_DEP_2)
	v_cndmask_b32_e32 v22, v22, v23, vcc_lo
	v_cvt_f16_f32_e32 v21, v29
	s_delay_alu instid0(VALU_DEP_2) | instskip(NEXT) | instid1(VALU_DEP_1)
	v_cvt_f16_f32_e32 v23, v22
	v_pack_b32_f16 v28, v21, v23
	v_sub_f32_e32 v21, v103, v32
	s_delay_alu instid0(VALU_DEP_1) | instskip(SKIP_1) | instid1(VALU_DEP_2)
	v_mul_f32_e32 v23, 0x3fb8aa3b, v21
	v_cmp_ngt_f32_e64 s4, 0xc2ce8ed0, v21
	v_fma_f32 v30, 0x3fb8aa3b, v21, -v23
	v_rndne_f32_e32 v31, v23
	s_delay_alu instid0(VALU_DEP_1) | instskip(NEXT) | instid1(VALU_DEP_1)
	v_dual_fmac_f32 v30, 0x32a5705f, v21 :: v_dual_sub_f32 v23, v23, v31
	v_add_f32_e32 v23, v23, v30
	v_cvt_i32_f32_e32 v30, v31
	s_delay_alu instid0(VALU_DEP_2) | instskip(SKIP_2) | instid1(VALU_DEP_1)
	v_exp_f32_e32 v23, v23
	s_waitcnt_depctr 0xfff
	v_ldexp_f32 v23, v23, v30
	v_cndmask_b32_e64 v23, 0, v23, s4
	v_cmp_nlt_f32_e64 s4, 0x42b17218, v21
	s_delay_alu instid0(VALU_DEP_1) | instskip(NEXT) | instid1(VALU_DEP_1)
	v_cndmask_b32_e64 v21, 0x7f800000, v23, s4
	v_cndmask_b32_e64 v23, v29, v21, s2
	ds_bpermute_b32 v29, v63, v21
	v_cndmask_b32_e64 v22, v22, v21, s3
	s_waitcnt lgkmcnt(0)
	v_cndmask_b32_e64 v23, v23, v29, s1
	s_delay_alu instid0(VALU_DEP_2) | instskip(NEXT) | instid1(VALU_DEP_2)
	v_cndmask_b32_e32 v30, v22, v29, vcc_lo
	v_cvt_f16_f32_e32 v22, v23
	s_delay_alu instid0(VALU_DEP_2) | instskip(NEXT) | instid1(VALU_DEP_1)
	v_cvt_f16_f32_e32 v29, v30
	v_pack_b32_f16 v29, v22, v29
	v_sub_f32_e32 v22, v102, v32
	s_delay_alu instid0(VALU_DEP_1) | instskip(SKIP_1) | instid1(VALU_DEP_2)
	v_mul_f32_e32 v31, 0x3fb8aa3b, v22
	v_cmp_ngt_f32_e64 s4, 0xc2ce8ed0, v22
	v_fma_f32 v33, 0x3fb8aa3b, v22, -v31
	v_rndne_f32_e32 v34, v31
	s_delay_alu instid0(VALU_DEP_2) | instskip(NEXT) | instid1(VALU_DEP_2)
	v_fmac_f32_e32 v33, 0x32a5705f, v22
	v_sub_f32_e32 v31, v31, v34
	s_delay_alu instid0(VALU_DEP_1) | instskip(SKIP_1) | instid1(VALU_DEP_2)
	v_add_f32_e32 v31, v31, v33
	v_cvt_i32_f32_e32 v33, v34
	v_exp_f32_e32 v31, v31
	s_waitcnt_depctr 0xfff
	v_ldexp_f32 v31, v31, v33
	s_delay_alu instid0(VALU_DEP_1) | instskip(SKIP_1) | instid1(VALU_DEP_1)
	v_cndmask_b32_e64 v31, 0, v31, s4
	v_cmp_nlt_f32_e64 s4, 0x42b17218, v22
	v_cndmask_b32_e64 v22, 0x7f800000, v31, s4
	ds_bpermute_b32 v31, v63, v22
	v_cndmask_b32_e64 v23, v23, v22, s2
	v_cndmask_b32_e64 v30, v30, v22, s3
	s_waitcnt lgkmcnt(0)
	s_delay_alu instid0(VALU_DEP_2) | instskip(NEXT) | instid1(VALU_DEP_2)
	v_cndmask_b32_e64 v33, v23, v31, s1
	v_cndmask_b32_e32 v31, v30, v31, vcc_lo
	s_delay_alu instid0(VALU_DEP_2) | instskip(NEXT) | instid1(VALU_DEP_2)
	v_cvt_f16_f32_e32 v23, v33
	v_cvt_f16_f32_e32 v30, v31
	s_delay_alu instid0(VALU_DEP_1) | instskip(SKIP_1) | instid1(VALU_DEP_1)
	v_pack_b32_f16 v30, v23, v30
	v_sub_f32_e32 v23, v101, v32
	v_mul_f32_e32 v34, 0x3fb8aa3b, v23
	v_cmp_ngt_f32_e64 s4, 0xc2ce8ed0, v23
	s_delay_alu instid0(VALU_DEP_2) | instskip(SKIP_1) | instid1(VALU_DEP_1)
	v_fma_f32 v35, 0x3fb8aa3b, v23, -v34
	v_rndne_f32_e32 v36, v34
	v_dual_fmac_f32 v35, 0x32a5705f, v23 :: v_dual_sub_f32 v34, v34, v36
	s_delay_alu instid0(VALU_DEP_1) | instskip(SKIP_1) | instid1(VALU_DEP_2)
	v_add_f32_e32 v34, v34, v35
	v_cvt_i32_f32_e32 v35, v36
	v_exp_f32_e32 v34, v34
	s_waitcnt_depctr 0xfff
	v_ldexp_f32 v34, v34, v35
	v_add_nc_u32_e32 v35, 0x200, v160
	ds_load_2addr_b32 v[47:48], v35 offset0:16 offset1:160
	ds_load_2addr_b32 v[49:50], v118 offset0:188 offset1:244
	v_cndmask_b32_e64 v34, 0, v34, s4
	v_cmp_nlt_f32_e64 s4, 0x42b17218, v23
	ds_load_2addr_b32 v[51:52], v38 offset0:4 offset1:24
	ds_load_2addr_b32 v[53:54], v38 offset0:40 offset1:60
	;; [unrolled: 1-line block ×6, first 2 shown]
	ds_load_b32 v66, v160 offset:1728
	ds_load_b32 v105, v161 offset:1728
	;; [unrolled: 1-line block ×3, first 2 shown]
	v_cndmask_b32_e64 v23, 0x7f800000, v34, s4
	ds_load_2addr_b32 v[101:102], v107 offset0:36 offset1:56
	ds_load_2addr_b32 v[103:104], v107 offset0:72 offset1:92
	ds_bpermute_b32 v34, v63, v23
	v_cndmask_b32_e64 v33, v33, v23, s2
	v_cndmask_b32_e64 v31, v31, v23, s3
	s_waitcnt lgkmcnt(12)
	v_perm_b32 v35, v50, v47, 0x5040100
	s_waitcnt lgkmcnt(10)
	v_perm_b32 v36, v54, v52, 0x5040100
	;; [unrolled: 2-line block ×6, first 2 shown]
	s_waitcnt lgkmcnt(0)
	v_cndmask_b32_e64 v33, v33, v34, s1
	v_cndmask_b32_e32 v31, v31, v34, vcc_lo
	v_perm_b32 v34, v46, v44, 0x5040100
	s_delay_alu instid0(VALU_DEP_3) | instskip(NEXT) | instid1(VALU_DEP_3)
	v_cvt_f16_f32_e32 v33, v33
	v_cvt_f16_f32_e32 v31, v31
	s_delay_alu instid0(VALU_DEP_1) | instskip(SKIP_1) | instid1(VALU_DEP_1)
	v_pack_b32_f16 v31, v33, v31
	v_perm_b32 v33, v42, v67, 0x5040100
	v_wmma_f16_16x16x16_f16 v[8:15], v[33:40], v[24:31], v[8:15]
	v_perm_b32 v33, v42, v67, 0x7060302
	v_perm_b32 v35, v50, v47, 0x7060302
	v_perm_b32 v37, v56, v48, 0x7060302
	v_perm_b32 v39, v62, v66, 0x7060302
	v_perm_b32 v34, v46, v44, 0x7060302
	v_perm_b32 v36, v54, v52, 0x7060302
	v_perm_b32 v38, v60, v58, 0x7060302
	v_perm_b32 v40, v104, v102, 0x7060302
	ds_load_2addr_b32 v[66:67], v107 offset0:108 offset1:128
	v_wmma_f16_16x16x16_f16 v[8:15], v[33:40], v[24:31], v[8:15] op_sel:[0,0,1]
	v_add_nc_u32_e32 v35, 0x200, v164
	v_perm_b32 v33, v43, v41, 0x5040100
	v_perm_b32 v34, v49, v45, 0x5040100
	;; [unrolled: 1-line block ×4, first 2 shown]
	ds_load_2addr_b32 v[46:47], v35 offset0:16 offset1:160
	v_perm_b32 v39, v101, v120, 0x5040100
	s_waitcnt lgkmcnt(1)
	v_perm_b32 v40, v66, v103, 0x5040100
	s_waitcnt lgkmcnt(0)
	v_perm_b32 v35, v51, v46, 0x5040100
	v_perm_b32 v37, v57, v47, 0x5040100
	s_delay_alu instid0(VALU_DEP_1)
	v_wmma_f16_16x16x16_f16 v[0:7], v[33:40], v[24:31], v[0:7]
	v_perm_b32 v33, v43, v41, 0x7060302
	v_perm_b32 v34, v49, v45, 0x7060302
	;; [unrolled: 1-line block ×8, first 2 shown]
	ds_load_2addr_b32 v[41:42], v107 offset0:144 offset1:164
	ds_load_2addr_b32 v[43:44], v107 offset0:180 offset1:200
	;; [unrolled: 1-line block ×3, first 2 shown]
	v_add_nc_u32_e32 v107, 0x1800, v159
	v_wmma_f16_16x16x16_f16 v[0:7], v[33:40], v[24:31], v[0:7] op_sel:[0,0,1]
	v_sub_f32_e32 v24, v100, v32
	v_add_nc_u32_e32 v38, 0x1400, v159
	v_add_nc_u32_e32 v39, 0x1600, v159
	s_delay_alu instid0(VALU_DEP_3) | instskip(SKIP_1) | instid1(VALU_DEP_2)
	v_mul_f32_e32 v25, 0x3fb8aa3b, v24
	v_cmp_ngt_f32_e64 s4, 0xc2ce8ed0, v24
	v_fma_f32 v26, 0x3fb8aa3b, v24, -v25
	v_rndne_f32_e32 v27, v25
	s_delay_alu instid0(VALU_DEP_1) | instskip(SKIP_1) | instid1(VALU_DEP_2)
	v_dual_fmac_f32 v26, 0x32a5705f, v24 :: v_dual_sub_f32 v25, v25, v27
	v_cvt_i32_f32_e32 v27, v27
	v_dual_add_f32 v25, v25, v26 :: v_dual_sub_f32 v26, v99, v32
	s_delay_alu instid0(VALU_DEP_1) | instskip(NEXT) | instid1(VALU_DEP_1)
	v_exp_f32_e32 v25, v25
	v_mul_f32_e32 v28, 0x3fb8aa3b, v26
	v_cmp_ngt_f32_e64 s5, 0xc2ce8ed0, v26
	s_delay_alu instid0(VALU_DEP_2)
	v_fma_f32 v29, 0x3fb8aa3b, v26, -v28
	v_rndne_f32_e32 v30, v28
	s_waitcnt_depctr 0xfff
	v_ldexp_f32 v25, v25, v27
	v_fmac_f32_e32 v29, 0x32a5705f, v26
	v_sub_f32_e32 v28, v28, v30
	s_delay_alu instid0(VALU_DEP_3) | instskip(SKIP_1) | instid1(VALU_DEP_3)
	v_cndmask_b32_e64 v25, 0, v25, s4
	v_cmp_nlt_f32_e64 s4, 0x42b17218, v24
	v_add_f32_e32 v28, v28, v29
	s_delay_alu instid0(VALU_DEP_2) | instskip(NEXT) | instid1(VALU_DEP_2)
	v_cndmask_b32_e64 v100, 0x7f800000, v25, s4
	v_exp_f32_e32 v27, v28
	v_cvt_i32_f32_e32 v28, v30
	s_waitcnt_depctr 0xfff
	v_ldexp_f32 v27, v27, v28
	s_delay_alu instid0(VALU_DEP_1)
	v_cndmask_b32_e64 v24, 0, v27, s5
	v_cmp_nlt_f32_e64 s5, 0x42b17218, v26
	ds_bpermute_b32 v26, v63, v100
	v_cndmask_b32_e64 v99, 0x7f800000, v24, s5
	ds_bpermute_b32 v24, v63, v99
	s_waitcnt lgkmcnt(0)
	v_cndmask_b32_e64 v25, v99, v24, s1
	v_cndmask_b32_e32 v24, v99, v24, vcc_lo
	s_delay_alu instid0(VALU_DEP_2) | instskip(NEXT) | instid1(VALU_DEP_2)
	v_cndmask_b32_e64 v27, v25, v100, s2
	v_cndmask_b32_e64 v28, v24, v100, s3
	v_cvt_f16_f32_e32 v25, v25
	v_cvt_f16_f32_e32 v24, v24
	s_delay_alu instid0(VALU_DEP_4) | instskip(NEXT) | instid1(VALU_DEP_4)
	v_cndmask_b32_e64 v27, v27, v26, s1
	v_cndmask_b32_e32 v26, v28, v26, vcc_lo
	s_delay_alu instid0(VALU_DEP_3) | instskip(NEXT) | instid1(VALU_DEP_3)
	v_pack_b32_f16 v24, v25, v24
	v_cvt_f16_f32_e32 v28, v27
	s_delay_alu instid0(VALU_DEP_3) | instskip(NEXT) | instid1(VALU_DEP_1)
	v_cvt_f16_f32_e32 v29, v26
	v_pack_b32_f16 v25, v28, v29
	v_sub_f32_e32 v28, v98, v32
	s_delay_alu instid0(VALU_DEP_1) | instskip(SKIP_1) | instid1(VALU_DEP_2)
	v_mul_f32_e32 v29, 0x3fb8aa3b, v28
	v_cmp_ngt_f32_e64 s4, 0xc2ce8ed0, v28
	v_fma_f32 v30, 0x3fb8aa3b, v28, -v29
	v_rndne_f32_e32 v31, v29
	s_delay_alu instid0(VALU_DEP_1) | instskip(NEXT) | instid1(VALU_DEP_1)
	v_dual_fmac_f32 v30, 0x32a5705f, v28 :: v_dual_sub_f32 v29, v29, v31
	v_add_f32_e32 v29, v29, v30
	v_cvt_i32_f32_e32 v30, v31
	s_delay_alu instid0(VALU_DEP_2) | instskip(SKIP_2) | instid1(VALU_DEP_1)
	v_exp_f32_e32 v29, v29
	s_waitcnt_depctr 0xfff
	v_ldexp_f32 v29, v29, v30
	v_cndmask_b32_e64 v29, 0, v29, s4
	v_cmp_nlt_f32_e64 s4, 0x42b17218, v28
	s_delay_alu instid0(VALU_DEP_1) | instskip(SKIP_4) | instid1(VALU_DEP_2)
	v_cndmask_b32_e64 v98, 0x7f800000, v29, s4
	ds_bpermute_b32 v28, v63, v98
	v_cndmask_b32_e64 v27, v27, v98, s2
	v_cndmask_b32_e64 v26, v26, v98, s3
	s_waitcnt lgkmcnt(0)
	v_cndmask_b32_e64 v27, v27, v28, s1
	s_delay_alu instid0(VALU_DEP_2) | instskip(NEXT) | instid1(VALU_DEP_2)
	v_cndmask_b32_e32 v28, v26, v28, vcc_lo
	v_cvt_f16_f32_e32 v26, v27
	s_delay_alu instid0(VALU_DEP_2) | instskip(NEXT) | instid1(VALU_DEP_1)
	v_cvt_f16_f32_e32 v29, v28
	v_pack_b32_f16 v26, v26, v29
	v_sub_f32_e32 v29, v97, v32
	s_delay_alu instid0(VALU_DEP_1) | instskip(SKIP_1) | instid1(VALU_DEP_2)
	v_mul_f32_e32 v30, 0x3fb8aa3b, v29
	v_cmp_ngt_f32_e64 s4, 0xc2ce8ed0, v29
	v_fma_f32 v31, 0x3fb8aa3b, v29, -v30
	v_rndne_f32_e32 v33, v30
	s_delay_alu instid0(VALU_DEP_2) | instskip(NEXT) | instid1(VALU_DEP_2)
	v_fmac_f32_e32 v31, 0x32a5705f, v29
	v_sub_f32_e32 v30, v30, v33
	s_delay_alu instid0(VALU_DEP_1) | instskip(SKIP_1) | instid1(VALU_DEP_2)
	v_add_f32_e32 v30, v30, v31
	v_cvt_i32_f32_e32 v31, v33
	v_exp_f32_e32 v30, v30
	s_waitcnt_depctr 0xfff
	v_ldexp_f32 v30, v30, v31
	s_delay_alu instid0(VALU_DEP_1) | instskip(SKIP_1) | instid1(VALU_DEP_1)
	v_cndmask_b32_e64 v30, 0, v30, s4
	v_cmp_nlt_f32_e64 s4, 0x42b17218, v29
	v_cndmask_b32_e64 v97, 0x7f800000, v30, s4
	ds_bpermute_b32 v29, v63, v97
	v_cndmask_b32_e64 v27, v27, v97, s2
	v_cndmask_b32_e64 v28, v28, v97, s3
	s_waitcnt lgkmcnt(0)
	s_delay_alu instid0(VALU_DEP_2) | instskip(NEXT) | instid1(VALU_DEP_2)
	v_cndmask_b32_e64 v30, v27, v29, s1
	v_cndmask_b32_e32 v28, v28, v29, vcc_lo
	s_delay_alu instid0(VALU_DEP_2) | instskip(NEXT) | instid1(VALU_DEP_2)
	v_cvt_f16_f32_e32 v27, v30
	v_cvt_f16_f32_e32 v29, v28
	s_delay_alu instid0(VALU_DEP_1) | instskip(SKIP_1) | instid1(VALU_DEP_1)
	v_pack_b32_f16 v27, v27, v29
	v_sub_f32_e32 v29, v96, v32
	v_mul_f32_e32 v31, 0x3fb8aa3b, v29
	v_cmp_ngt_f32_e64 s4, 0xc2ce8ed0, v29
	s_delay_alu instid0(VALU_DEP_2) | instskip(SKIP_1) | instid1(VALU_DEP_2)
	v_fma_f32 v33, 0x3fb8aa3b, v29, -v31
	v_rndne_f32_e32 v34, v31
	v_fmac_f32_e32 v33, 0x32a5705f, v29
	s_delay_alu instid0(VALU_DEP_2) | instskip(NEXT) | instid1(VALU_DEP_1)
	v_sub_f32_e32 v31, v31, v34
	v_add_f32_e32 v31, v31, v33
	v_cvt_i32_f32_e32 v33, v34
	s_delay_alu instid0(VALU_DEP_2) | instskip(SKIP_2) | instid1(VALU_DEP_1)
	v_exp_f32_e32 v31, v31
	s_waitcnt_depctr 0xfff
	v_ldexp_f32 v31, v31, v33
	v_cndmask_b32_e64 v31, 0, v31, s4
	v_cmp_nlt_f32_e64 s4, 0x42b17218, v29
	s_delay_alu instid0(VALU_DEP_1) | instskip(NEXT) | instid1(VALU_DEP_1)
	v_cndmask_b32_e64 v101, 0x7f800000, v31, s4
	v_cndmask_b32_e64 v29, v30, v101, s2
	ds_bpermute_b32 v30, v63, v101
	v_cndmask_b32_e64 v28, v28, v101, s3
	s_waitcnt lgkmcnt(0)
	v_cndmask_b32_e64 v29, v29, v30, s1
	s_delay_alu instid0(VALU_DEP_2) | instskip(NEXT) | instid1(VALU_DEP_2)
	v_cndmask_b32_e32 v30, v28, v30, vcc_lo
	v_cvt_f16_f32_e32 v28, v29
	s_delay_alu instid0(VALU_DEP_2) | instskip(NEXT) | instid1(VALU_DEP_1)
	v_cvt_f16_f32_e32 v31, v30
	v_pack_b32_f16 v28, v28, v31
	v_sub_f32_e32 v31, v95, v32
	s_delay_alu instid0(VALU_DEP_1) | instskip(SKIP_1) | instid1(VALU_DEP_2)
	v_mul_f32_e32 v33, 0x3fb8aa3b, v31
	v_cmp_ngt_f32_e64 s4, 0xc2ce8ed0, v31
	v_fma_f32 v34, 0x3fb8aa3b, v31, -v33
	v_rndne_f32_e32 v35, v33
	s_delay_alu instid0(VALU_DEP_2) | instskip(NEXT) | instid1(VALU_DEP_2)
	v_fmac_f32_e32 v34, 0x32a5705f, v31
	v_sub_f32_e32 v33, v33, v35
	s_delay_alu instid0(VALU_DEP_1) | instskip(SKIP_1) | instid1(VALU_DEP_2)
	v_add_f32_e32 v33, v33, v34
	v_cvt_i32_f32_e32 v34, v35
	v_exp_f32_e32 v33, v33
	s_waitcnt_depctr 0xfff
	v_ldexp_f32 v33, v33, v34
	s_delay_alu instid0(VALU_DEP_1) | instskip(SKIP_1) | instid1(VALU_DEP_1)
	v_cndmask_b32_e64 v33, 0, v33, s4
	v_cmp_nlt_f32_e64 s4, 0x42b17218, v31
	v_cndmask_b32_e64 v102, 0x7f800000, v33, s4
	ds_bpermute_b32 v31, v63, v102
	v_cndmask_b32_e64 v29, v29, v102, s2
	v_cndmask_b32_e64 v30, v30, v102, s3
	s_waitcnt lgkmcnt(0)
	s_delay_alu instid0(VALU_DEP_2) | instskip(NEXT) | instid1(VALU_DEP_2)
	v_cndmask_b32_e64 v33, v29, v31, s1
	v_cndmask_b32_e32 v30, v30, v31, vcc_lo
	s_delay_alu instid0(VALU_DEP_2) | instskip(NEXT) | instid1(VALU_DEP_2)
	v_cvt_f16_f32_e32 v29, v33
	v_cvt_f16_f32_e32 v31, v30
	s_delay_alu instid0(VALU_DEP_1) | instskip(SKIP_1) | instid1(VALU_DEP_1)
	v_pack_b32_f16 v29, v29, v31
	v_sub_f32_e32 v31, v94, v32
	v_mul_f32_e32 v34, 0x3fb8aa3b, v31
	v_cmp_ngt_f32_e64 s4, 0xc2ce8ed0, v31
	s_delay_alu instid0(VALU_DEP_2) | instskip(SKIP_1) | instid1(VALU_DEP_1)
	v_fma_f32 v35, 0x3fb8aa3b, v31, -v34
	v_rndne_f32_e32 v36, v34
	v_dual_fmac_f32 v35, 0x32a5705f, v31 :: v_dual_sub_f32 v34, v34, v36
	s_delay_alu instid0(VALU_DEP_1) | instskip(SKIP_1) | instid1(VALU_DEP_2)
	v_add_f32_e32 v34, v34, v35
	v_cvt_i32_f32_e32 v35, v36
	v_exp_f32_e32 v34, v34
	s_waitcnt_depctr 0xfff
	v_ldexp_f32 v34, v34, v35
	s_delay_alu instid0(VALU_DEP_1) | instskip(SKIP_1) | instid1(VALU_DEP_1)
	v_cndmask_b32_e64 v34, 0, v34, s4
	v_cmp_nlt_f32_e64 s4, 0x42b17218, v31
	v_cndmask_b32_e64 v103, 0x7f800000, v34, s4
	s_delay_alu instid0(VALU_DEP_1) | instskip(SKIP_4) | instid1(VALU_DEP_2)
	v_cndmask_b32_e64 v31, v33, v103, s2
	ds_bpermute_b32 v33, v63, v103
	v_cndmask_b32_e64 v30, v30, v103, s3
	s_waitcnt lgkmcnt(0)
	v_cndmask_b32_e64 v31, v31, v33, s1
	v_cndmask_b32_e32 v33, v30, v33, vcc_lo
	s_delay_alu instid0(VALU_DEP_2) | instskip(NEXT) | instid1(VALU_DEP_2)
	v_cvt_f16_f32_e32 v30, v31
	v_cvt_f16_f32_e32 v34, v33
	s_delay_alu instid0(VALU_DEP_1) | instskip(SKIP_1) | instid1(VALU_DEP_1)
	v_pack_b32_f16 v30, v30, v34
	v_sub_f32_e32 v34, v93, v32
	v_mul_f32_e32 v35, 0x3fb8aa3b, v34
	v_cmp_ngt_f32_e64 s4, 0xc2ce8ed0, v34
	s_delay_alu instid0(VALU_DEP_2) | instskip(SKIP_1) | instid1(VALU_DEP_1)
	v_fma_f32 v36, 0x3fb8aa3b, v34, -v35
	v_rndne_f32_e32 v37, v35
	v_dual_fmac_f32 v36, 0x32a5705f, v34 :: v_dual_sub_f32 v35, v35, v37
	s_delay_alu instid0(VALU_DEP_1) | instskip(SKIP_1) | instid1(VALU_DEP_2)
	v_add_f32_e32 v35, v35, v36
	v_cvt_i32_f32_e32 v36, v37
	v_exp_f32_e32 v35, v35
	s_waitcnt_depctr 0xfff
	v_ldexp_f32 v35, v35, v36
	v_add_nc_u32_e32 v36, 0x1200, v159
	s_delay_alu instid0(VALU_DEP_2) | instskip(SKIP_1) | instid1(VALU_DEP_1)
	v_cndmask_b32_e64 v35, 0, v35, s4
	v_cmp_nlt_f32_e64 s4, 0x42b17218, v34
	v_cndmask_b32_e64 v104, 0x7f800000, v35, s4
	v_add_nc_u32_e32 v35, 0x200, v161
	ds_load_2addr_b32 v[47:48], v35 offset0:16 offset1:160
	ds_load_2addr_b32 v[49:50], v36 offset0:124 offset1:180
	ds_bpermute_b32 v34, v63, v104
	ds_load_2addr_b32 v[51:52], v38 offset0:68 offset1:88
	ds_load_2addr_b32 v[53:54], v38 offset0:104 offset1:124
	;; [unrolled: 1-line block ×8, first 2 shown]
	v_cndmask_b32_e64 v33, v33, v104, s3
	v_cndmask_b32_e64 v31, v31, v104, s2
	s_waitcnt lgkmcnt(9)
	v_perm_b32 v35, v50, v47, 0x5040100
	s_waitcnt lgkmcnt(8)
	s_delay_alu instid0(VALU_DEP_2)
	v_cndmask_b32_e64 v31, v31, v34, s1
	v_cndmask_b32_e32 v33, v33, v34, vcc_lo
	v_perm_b32 v34, v46, v44, 0x5040100
	s_waitcnt lgkmcnt(6)
	v_perm_b32 v36, v54, v52, 0x5040100
	s_waitcnt lgkmcnt(5)
	v_perm_b32 v37, v56, v48, 0x5040100
	v_cvt_f16_f32_e32 v31, v31
	v_cvt_f16_f32_e32 v33, v33
	s_waitcnt lgkmcnt(3)
	v_perm_b32 v38, v60, v58, 0x5040100
	s_waitcnt lgkmcnt(2)
	v_perm_b32 v39, v62, v105, 0x5040100
	s_waitcnt lgkmcnt(0)
	v_perm_b32 v40, v96, v94, 0x5040100
	v_pack_b32_f16 v31, v31, v33
	v_perm_b32 v33, v42, v67, 0x5040100
	s_delay_alu instid0(VALU_DEP_1)
	v_wmma_f16_16x16x16_f16 v[8:15], v[33:40], v[24:31], v[8:15]
	v_perm_b32 v33, v42, v67, 0x7060302
	v_perm_b32 v35, v50, v47, 0x7060302
	;; [unrolled: 1-line block ×8, first 2 shown]
	ds_load_2addr_b32 v[66:67], v107 offset0:172 offset1:192
	v_wmma_f16_16x16x16_f16 v[8:15], v[33:40], v[24:31], v[8:15] op_sel:[0,0,1]
	v_add_nc_u32_e32 v35, 0x200, v165
	v_perm_b32 v33, v43, v41, 0x5040100
	v_perm_b32 v34, v49, v45, 0x5040100
	;; [unrolled: 1-line block ×4, first 2 shown]
	ds_load_2addr_b32 v[46:47], v35 offset0:16 offset1:160
	v_perm_b32 v39, v93, v121, 0x5040100
	s_waitcnt lgkmcnt(1)
	v_perm_b32 v40, v66, v95, 0x5040100
	s_waitcnt lgkmcnt(0)
	v_perm_b32 v35, v51, v46, 0x5040100
	v_perm_b32 v37, v57, v47, 0x5040100
	s_delay_alu instid0(VALU_DEP_1)
	v_wmma_f16_16x16x16_f16 v[0:7], v[33:40], v[24:31], v[0:7]
	v_perm_b32 v33, v43, v41, 0x7060302
	v_perm_b32 v34, v49, v45, 0x7060302
	;; [unrolled: 1-line block ×8, first 2 shown]
	s_delay_alu instid0(VALU_DEP_1) | instskip(SKIP_2) | instid1(VALU_DEP_2)
	v_wmma_f16_16x16x16_f16 v[0:7], v[33:40], v[24:31], v[0:7] op_sel:[0,0,1]
	v_sub_f32_e32 v24, v92, v32
	v_add_nc_u32_e32 v40, 0x2000, v159
	v_mul_f32_e32 v25, 0x3fb8aa3b, v24
	v_cmp_ngt_f32_e64 s4, 0xc2ce8ed0, v24
	s_delay_alu instid0(VALU_DEP_2) | instskip(SKIP_1) | instid1(VALU_DEP_1)
	v_fma_f32 v26, 0x3fb8aa3b, v24, -v25
	v_rndne_f32_e32 v27, v25
	v_dual_fmac_f32 v26, 0x32a5705f, v24 :: v_dual_sub_f32 v25, v25, v27
	v_cvt_i32_f32_e32 v27, v27
	s_delay_alu instid0(VALU_DEP_2) | instskip(NEXT) | instid1(VALU_DEP_1)
	v_dual_add_f32 v25, v25, v26 :: v_dual_sub_f32 v26, v91, v32
	v_exp_f32_e32 v25, v25
	s_delay_alu instid0(VALU_DEP_1) | instskip(SKIP_1) | instid1(VALU_DEP_2)
	v_mul_f32_e32 v28, 0x3fb8aa3b, v26
	v_cmp_ngt_f32_e64 s5, 0xc2ce8ed0, v26
	v_fma_f32 v29, 0x3fb8aa3b, v26, -v28
	v_rndne_f32_e32 v30, v28
	s_waitcnt_depctr 0xfff
	v_ldexp_f32 v25, v25, v27
	v_fmac_f32_e32 v29, 0x32a5705f, v26
	v_sub_f32_e32 v28, v28, v30
	s_delay_alu instid0(VALU_DEP_3) | instskip(SKIP_1) | instid1(VALU_DEP_3)
	v_cndmask_b32_e64 v25, 0, v25, s4
	v_cmp_nlt_f32_e64 s4, 0x42b17218, v24
	v_add_f32_e32 v28, v28, v29
	s_delay_alu instid0(VALU_DEP_2) | instskip(NEXT) | instid1(VALU_DEP_2)
	v_cndmask_b32_e64 v91, 0x7f800000, v25, s4
	v_exp_f32_e32 v27, v28
	v_cvt_i32_f32_e32 v28, v30
	s_waitcnt_depctr 0xfff
	v_ldexp_f32 v27, v27, v28
	s_delay_alu instid0(VALU_DEP_1)
	v_cndmask_b32_e64 v24, 0, v27, s5
	v_cmp_nlt_f32_e64 s5, 0x42b17218, v26
	ds_bpermute_b32 v26, v63, v91
	v_cndmask_b32_e64 v66, 0x7f800000, v24, s5
	ds_bpermute_b32 v24, v63, v66
	s_waitcnt lgkmcnt(0)
	v_cndmask_b32_e32 v25, v66, v24, vcc_lo
	v_cndmask_b32_e64 v24, v66, v24, s1
	s_delay_alu instid0(VALU_DEP_2) | instskip(NEXT) | instid1(VALU_DEP_2)
	v_cndmask_b32_e64 v28, v25, v91, s3
	v_cndmask_b32_e64 v27, v24, v91, s2
	v_cvt_f16_f32_e32 v24, v24
	v_cvt_f16_f32_e32 v25, v25
	s_delay_alu instid0(VALU_DEP_3) | instskip(SKIP_1) | instid1(VALU_DEP_3)
	v_cndmask_b32_e64 v27, v27, v26, s1
	v_cndmask_b32_e32 v26, v28, v26, vcc_lo
	v_pack_b32_f16 v24, v24, v25
	s_delay_alu instid0(VALU_DEP_3) | instskip(NEXT) | instid1(VALU_DEP_3)
	v_cvt_f16_f32_e32 v28, v27
	v_cvt_f16_f32_e32 v29, v26
	s_delay_alu instid0(VALU_DEP_1) | instskip(SKIP_1) | instid1(VALU_DEP_1)
	v_pack_b32_f16 v25, v28, v29
	v_sub_f32_e32 v28, v90, v32
	v_mul_f32_e32 v29, 0x3fb8aa3b, v28
	v_cmp_ngt_f32_e64 s4, 0xc2ce8ed0, v28
	s_delay_alu instid0(VALU_DEP_2) | instskip(SKIP_1) | instid1(VALU_DEP_1)
	v_fma_f32 v30, 0x3fb8aa3b, v28, -v29
	v_rndne_f32_e32 v31, v29
	v_dual_fmac_f32 v30, 0x32a5705f, v28 :: v_dual_sub_f32 v29, v29, v31
	s_delay_alu instid0(VALU_DEP_1) | instskip(SKIP_1) | instid1(VALU_DEP_2)
	v_add_f32_e32 v29, v29, v30
	v_cvt_i32_f32_e32 v30, v31
	v_exp_f32_e32 v29, v29
	s_waitcnt_depctr 0xfff
	v_ldexp_f32 v29, v29, v30
	s_delay_alu instid0(VALU_DEP_1) | instskip(SKIP_1) | instid1(VALU_DEP_1)
	v_cndmask_b32_e64 v29, 0, v29, s4
	v_cmp_nlt_f32_e64 s4, 0x42b17218, v28
	v_cndmask_b32_e64 v92, 0x7f800000, v29, s4
	ds_bpermute_b32 v28, v63, v92
	v_cndmask_b32_e64 v26, v26, v92, s3
	v_cndmask_b32_e64 v27, v27, v92, s2
	s_waitcnt lgkmcnt(0)
	s_delay_alu instid0(VALU_DEP_1) | instskip(NEXT) | instid1(VALU_DEP_3)
	v_cndmask_b32_e64 v27, v27, v28, s1
	v_cndmask_b32_e32 v28, v26, v28, vcc_lo
	s_delay_alu instid0(VALU_DEP_2) | instskip(NEXT) | instid1(VALU_DEP_2)
	v_cvt_f16_f32_e32 v26, v27
	v_cvt_f16_f32_e32 v29, v28
	s_delay_alu instid0(VALU_DEP_1) | instskip(SKIP_1) | instid1(VALU_DEP_1)
	v_pack_b32_f16 v26, v26, v29
	v_sub_f32_e32 v29, v89, v32
	v_mul_f32_e32 v30, 0x3fb8aa3b, v29
	v_cmp_ngt_f32_e64 s4, 0xc2ce8ed0, v29
	s_delay_alu instid0(VALU_DEP_2) | instskip(SKIP_1) | instid1(VALU_DEP_2)
	v_fma_f32 v31, 0x3fb8aa3b, v29, -v30
	v_rndne_f32_e32 v33, v30
	v_fmac_f32_e32 v31, 0x32a5705f, v29
	s_delay_alu instid0(VALU_DEP_2) | instskip(NEXT) | instid1(VALU_DEP_1)
	v_sub_f32_e32 v30, v30, v33
	v_add_f32_e32 v30, v30, v31
	v_cvt_i32_f32_e32 v31, v33
	s_delay_alu instid0(VALU_DEP_2) | instskip(SKIP_2) | instid1(VALU_DEP_1)
	v_exp_f32_e32 v30, v30
	s_waitcnt_depctr 0xfff
	v_ldexp_f32 v30, v30, v31
	v_cndmask_b32_e64 v30, 0, v30, s4
	v_cmp_nlt_f32_e64 s4, 0x42b17218, v29
	s_delay_alu instid0(VALU_DEP_1) | instskip(SKIP_4) | instid1(VALU_DEP_1)
	v_cndmask_b32_e64 v93, 0x7f800000, v30, s4
	ds_bpermute_b32 v29, v63, v93
	v_cndmask_b32_e64 v28, v28, v93, s3
	v_cndmask_b32_e64 v27, v27, v93, s2
	s_waitcnt lgkmcnt(0)
	v_cndmask_b32_e64 v30, v27, v29, s1
	s_delay_alu instid0(VALU_DEP_3) | instskip(NEXT) | instid1(VALU_DEP_2)
	v_cndmask_b32_e32 v28, v28, v29, vcc_lo
	v_cvt_f16_f32_e32 v27, v30
	s_delay_alu instid0(VALU_DEP_2) | instskip(NEXT) | instid1(VALU_DEP_1)
	v_cvt_f16_f32_e32 v29, v28
	v_pack_b32_f16 v27, v27, v29
	v_sub_f32_e32 v29, v88, v32
	s_delay_alu instid0(VALU_DEP_1) | instskip(SKIP_1) | instid1(VALU_DEP_2)
	v_mul_f32_e32 v31, 0x3fb8aa3b, v29
	v_cmp_ngt_f32_e64 s4, 0xc2ce8ed0, v29
	v_fma_f32 v33, 0x3fb8aa3b, v29, -v31
	v_rndne_f32_e32 v34, v31
	s_delay_alu instid0(VALU_DEP_2) | instskip(NEXT) | instid1(VALU_DEP_2)
	v_fmac_f32_e32 v33, 0x32a5705f, v29
	v_sub_f32_e32 v31, v31, v34
	s_delay_alu instid0(VALU_DEP_1) | instskip(SKIP_1) | instid1(VALU_DEP_2)
	v_add_f32_e32 v31, v31, v33
	v_cvt_i32_f32_e32 v33, v34
	v_exp_f32_e32 v31, v31
	s_waitcnt_depctr 0xfff
	v_ldexp_f32 v31, v31, v33
	s_delay_alu instid0(VALU_DEP_1) | instskip(SKIP_1) | instid1(VALU_DEP_1)
	v_cndmask_b32_e64 v31, 0, v31, s4
	v_cmp_nlt_f32_e64 s4, 0x42b17218, v29
	v_cndmask_b32_e64 v94, 0x7f800000, v31, s4
	s_delay_alu instid0(VALU_DEP_1) | instskip(SKIP_4) | instid1(VALU_DEP_2)
	v_cndmask_b32_e64 v29, v30, v94, s2
	ds_bpermute_b32 v30, v63, v94
	v_cndmask_b32_e64 v28, v28, v94, s3
	s_waitcnt lgkmcnt(0)
	v_cndmask_b32_e64 v29, v29, v30, s1
	v_cndmask_b32_e32 v30, v28, v30, vcc_lo
	s_delay_alu instid0(VALU_DEP_2) | instskip(NEXT) | instid1(VALU_DEP_2)
	v_cvt_f16_f32_e32 v28, v29
	v_cvt_f16_f32_e32 v31, v30
	s_delay_alu instid0(VALU_DEP_1) | instskip(SKIP_1) | instid1(VALU_DEP_1)
	v_pack_b32_f16 v28, v28, v31
	v_sub_f32_e32 v31, v87, v32
	v_mul_f32_e32 v33, 0x3fb8aa3b, v31
	v_cmp_ngt_f32_e64 s4, 0xc2ce8ed0, v31
	s_delay_alu instid0(VALU_DEP_2) | instskip(SKIP_1) | instid1(VALU_DEP_2)
	v_fma_f32 v34, 0x3fb8aa3b, v31, -v33
	v_rndne_f32_e32 v35, v33
	v_fmac_f32_e32 v34, 0x32a5705f, v31
	s_delay_alu instid0(VALU_DEP_2) | instskip(NEXT) | instid1(VALU_DEP_1)
	v_sub_f32_e32 v33, v33, v35
	v_add_f32_e32 v33, v33, v34
	v_cvt_i32_f32_e32 v34, v35
	s_delay_alu instid0(VALU_DEP_2) | instskip(SKIP_2) | instid1(VALU_DEP_1)
	v_exp_f32_e32 v33, v33
	s_waitcnt_depctr 0xfff
	v_ldexp_f32 v33, v33, v34
	v_cndmask_b32_e64 v33, 0, v33, s4
	v_cmp_nlt_f32_e64 s4, 0x42b17218, v31
	s_delay_alu instid0(VALU_DEP_1) | instskip(SKIP_4) | instid1(VALU_DEP_1)
	v_cndmask_b32_e64 v95, 0x7f800000, v33, s4
	ds_bpermute_b32 v31, v63, v95
	v_cndmask_b32_e64 v30, v30, v95, s3
	v_cndmask_b32_e64 v29, v29, v95, s2
	s_waitcnt lgkmcnt(0)
	v_cndmask_b32_e64 v33, v29, v31, s1
	s_delay_alu instid0(VALU_DEP_3) | instskip(NEXT) | instid1(VALU_DEP_2)
	v_cndmask_b32_e32 v30, v30, v31, vcc_lo
	v_cvt_f16_f32_e32 v29, v33
	s_delay_alu instid0(VALU_DEP_2) | instskip(NEXT) | instid1(VALU_DEP_1)
	v_cvt_f16_f32_e32 v31, v30
	v_pack_b32_f16 v29, v29, v31
	v_sub_f32_e32 v31, v86, v32
	s_delay_alu instid0(VALU_DEP_1) | instskip(SKIP_1) | instid1(VALU_DEP_2)
	v_mul_f32_e32 v34, 0x3fb8aa3b, v31
	v_cmp_ngt_f32_e64 s4, 0xc2ce8ed0, v31
	v_fma_f32 v35, 0x3fb8aa3b, v31, -v34
	v_rndne_f32_e32 v36, v34
	s_delay_alu instid0(VALU_DEP_1) | instskip(NEXT) | instid1(VALU_DEP_1)
	v_dual_fmac_f32 v35, 0x32a5705f, v31 :: v_dual_sub_f32 v34, v34, v36
	v_add_f32_e32 v34, v34, v35
	v_cvt_i32_f32_e32 v35, v36
	s_delay_alu instid0(VALU_DEP_2) | instskip(SKIP_2) | instid1(VALU_DEP_1)
	v_exp_f32_e32 v34, v34
	s_waitcnt_depctr 0xfff
	v_ldexp_f32 v34, v34, v35
	v_cndmask_b32_e64 v34, 0, v34, s4
	v_cmp_nlt_f32_e64 s4, 0x42b17218, v31
	s_delay_alu instid0(VALU_DEP_1) | instskip(NEXT) | instid1(VALU_DEP_1)
	v_cndmask_b32_e64 v96, 0x7f800000, v34, s4
	v_cndmask_b32_e64 v31, v33, v96, s2
	ds_bpermute_b32 v33, v63, v96
	v_cndmask_b32_e64 v30, v30, v96, s3
	s_waitcnt lgkmcnt(0)
	v_cndmask_b32_e64 v31, v31, v33, s1
	s_delay_alu instid0(VALU_DEP_2) | instskip(NEXT) | instid1(VALU_DEP_2)
	v_cndmask_b32_e32 v33, v30, v33, vcc_lo
	v_cvt_f16_f32_e32 v30, v31
	s_delay_alu instid0(VALU_DEP_2) | instskip(NEXT) | instid1(VALU_DEP_1)
	v_cvt_f16_f32_e32 v34, v33
	v_pack_b32_f16 v30, v30, v34
	v_sub_f32_e32 v34, v85, v32
	s_delay_alu instid0(VALU_DEP_1) | instskip(SKIP_1) | instid1(VALU_DEP_2)
	v_mul_f32_e32 v35, 0x3fb8aa3b, v34
	v_cmp_ngt_f32_e64 s4, 0xc2ce8ed0, v34
	v_fma_f32 v36, 0x3fb8aa3b, v34, -v35
	v_rndne_f32_e32 v37, v35
	s_delay_alu instid0(VALU_DEP_1) | instskip(NEXT) | instid1(VALU_DEP_1)
	v_dual_fmac_f32 v36, 0x32a5705f, v34 :: v_dual_sub_f32 v35, v35, v37
	v_add_f32_e32 v35, v35, v36
	v_cvt_i32_f32_e32 v36, v37
	v_add_nc_u32_e32 v37, 0x1e00, v159
	s_delay_alu instid0(VALU_DEP_3) | instskip(SKIP_3) | instid1(VALU_DEP_2)
	v_exp_f32_e32 v35, v35
	s_waitcnt_depctr 0xfff
	v_ldexp_f32 v35, v35, v36
	v_add_nc_u32_e32 v36, 0x1c00, v159
	v_cndmask_b32_e64 v35, 0, v35, s4
	v_cmp_nlt_f32_e64 s4, 0x42b17218, v34
	s_delay_alu instid0(VALU_DEP_1)
	v_cndmask_b32_e64 v105, 0x7f800000, v35, s4
	v_add_nc_u32_e32 v35, 0x200, v162
	ds_bpermute_b32 v34, v63, v105
	v_cndmask_b32_e64 v31, v31, v105, s2
	v_cndmask_b32_e64 v33, v33, v105, s3
	s_waitcnt lgkmcnt(0)
	s_delay_alu instid0(VALU_DEP_2) | instskip(NEXT) | instid1(VALU_DEP_2)
	v_cndmask_b32_e64 v31, v31, v34, s1
	v_cndmask_b32_e32 v33, v33, v34, vcc_lo
	s_delay_alu instid0(VALU_DEP_2) | instskip(NEXT) | instid1(VALU_DEP_2)
	v_cvt_f16_f32_e32 v31, v31
	v_cvt_f16_f32_e32 v33, v33
	s_delay_alu instid0(VALU_DEP_1)
	v_pack_b32_f16 v31, v31, v33
	v_add_nc_u32_e32 v33, 0x1a00, v159
	ds_load_2addr_b32 v[41:42], v107 offset0:208 offset1:228
	ds_load_2addr_b32 v[43:44], v33 offset0:116 offset1:136
	;; [unrolled: 1-line block ×13, first 2 shown]
	s_waitcnt lgkmcnt(12)
	v_perm_b32 v33, v42, v67, 0x5040100
	s_waitcnt lgkmcnt(10)
	v_perm_b32 v34, v46, v44, 0x5040100
	s_waitcnt lgkmcnt(8)
	v_perm_b32 v35, v50, v47, 0x5040100
	s_waitcnt lgkmcnt(6)
	v_perm_b32 v36, v54, v52, 0x5040100
	s_waitcnt lgkmcnt(5)
	v_perm_b32 v37, v56, v48, 0x5040100
	s_waitcnt lgkmcnt(3)
	v_perm_b32 v38, v60, v58, 0x5040100
	s_waitcnt lgkmcnt(2)
	v_perm_b32 v39, v62, v123, 0x5040100
	s_waitcnt lgkmcnt(0)
	v_perm_b32 v40, v88, v86, 0x5040100
	s_delay_alu instid0(VALU_DEP_1)
	v_wmma_f16_16x16x16_f16 v[8:15], v[33:40], v[24:31], v[8:15]
	v_add_nc_u32_e32 v35, 0x200, v166
	v_perm_b32 v33, v43, v41, 0x5040100
	v_perm_b32 v34, v49, v45, 0x5040100
	;; [unrolled: 1-line block ×4, first 2 shown]
	ds_load_2addr_b32 v[89:90], v35 offset0:16 offset1:160
	v_perm_b32 v39, v85, v122, 0x5040100
	v_perm_b32 v40, v106, v87, 0x5040100
	s_waitcnt lgkmcnt(0)
	s_barrier
	buffer_gl0_inv
	v_perm_b32 v35, v51, v89, 0x5040100
	v_perm_b32 v37, v57, v90, 0x5040100
	s_delay_alu instid0(VALU_DEP_1)
	v_wmma_f16_16x16x16_f16 v[0:7], v[33:40], v[24:31], v[0:7]
	v_perm_b32 v33, v42, v67, 0x7060302
	v_perm_b32 v35, v50, v47, 0x7060302
	;; [unrolled: 1-line block ×8, first 2 shown]
	s_delay_alu instid0(VALU_DEP_1)
	v_wmma_f16_16x16x16_f16 v[8:15], v[33:40], v[24:31], v[8:15] op_sel:[0,0,1]
	v_perm_b32 v33, v43, v41, 0x7060302
	v_perm_b32 v34, v49, v45, 0x7060302
	;; [unrolled: 1-line block ×8, first 2 shown]
	s_delay_alu instid0(VALU_DEP_1) | instskip(SKIP_1) | instid1(VALU_DEP_1)
	v_wmma_f16_16x16x16_f16 v[0:7], v[33:40], v[24:31], v[0:7] op_sel:[0,0,1]
	v_add_f32_e32 v24, v110, v111
	v_add_f32_e32 v24, v112, v24
	s_delay_alu instid0(VALU_DEP_1) | instskip(NEXT) | instid1(VALU_DEP_1)
	v_add_f32_e32 v24, v113, v24
	v_add_f32_e32 v24, v114, v24
	s_delay_alu instid0(VALU_DEP_1) | instskip(NEXT) | instid1(VALU_DEP_1)
	;; [unrolled: 3-line block ×15, first 2 shown]
	v_add_f32_e32 v16, v105, v16
	v_fmac_f32_e32 v16, v232, v109
	ds_bpermute_b32 v17, v63, v16
	s_waitcnt lgkmcnt(0)
	v_add_f32_e32 v33, v16, v17
	s_cbranch_scc1 .LBB0_90
; %bb.89:                               ;   in Loop: Header=BB0_14 Depth=1
	v_dual_max_f32 v17, v32, v32 :: v_dual_lshlrev_b32 v16, 2, v167
	global_load_b32 v16, v16, s[72:73]
	s_waitcnt vmcnt(0)
	v_max_f32_e32 v18, v16, v16
	s_delay_alu instid0(VALU_DEP_1) | instskip(NEXT) | instid1(VALU_DEP_1)
	v_max_f32_e32 v17, v17, v18
	v_sub_f32_e32 v16, v16, v17
	s_delay_alu instid0(VALU_DEP_1) | instskip(SKIP_2) | instid1(VALU_DEP_3)
	v_mul_f32_e32 v22, 0x3fb8aa3b, v16
	v_sub_f32_e32 v18, v32, v17
	v_mov_b32_e32 v32, v17
	v_rndne_f32_e32 v24, v22
	s_delay_alu instid0(VALU_DEP_3) | instskip(NEXT) | instid1(VALU_DEP_1)
	v_mul_f32_e32 v19, 0x3fb8aa3b, v18
	v_fma_f32 v20, 0x3fb8aa3b, v18, -v19
	v_rndne_f32_e32 v21, v19
	s_delay_alu instid0(VALU_DEP_1) | instskip(SKIP_1) | instid1(VALU_DEP_2)
	v_dual_fmac_f32 v20, 0x32a5705f, v18 :: v_dual_sub_f32 v19, v19, v21
	v_cvt_i32_f32_e32 v21, v21
	v_add_f32_e32 v19, v19, v20
	v_cmp_ngt_f32_e32 vcc_lo, 0xc2ce8ed0, v18
	v_sub_f32_e32 v20, v22, v24
	s_delay_alu instid0(VALU_DEP_3) | instskip(SKIP_3) | instid1(VALU_DEP_2)
	v_exp_f32_e32 v19, v19
	s_waitcnt_depctr 0xfff
	v_ldexp_f32 v19, v19, v21
	v_cvt_i32_f32_e32 v21, v24
	v_cndmask_b32_e32 v19, 0, v19, vcc_lo
	v_fma_f32 v23, 0x3fb8aa3b, v16, -v22
	v_cmp_nlt_f32_e32 vcc_lo, 0x42b17218, v18
	s_delay_alu instid0(VALU_DEP_2) | instskip(NEXT) | instid1(VALU_DEP_4)
	v_fmac_f32_e32 v23, 0x32a5705f, v16
	v_cndmask_b32_e32 v19, 0x7f800000, v19, vcc_lo
	v_cmp_ngt_f32_e32 vcc_lo, 0xc2ce8ed0, v16
	s_delay_alu instid0(VALU_DEP_3) | instskip(NEXT) | instid1(VALU_DEP_1)
	v_add_f32_e32 v20, v20, v23
	v_exp_f32_e32 v20, v20
	s_waitcnt_depctr 0xfff
	v_ldexp_f32 v20, v20, v21
	s_delay_alu instid0(VALU_DEP_1) | instskip(SKIP_3) | instid1(VALU_DEP_2)
	v_cndmask_b32_e32 v20, 0, v20, vcc_lo
	v_cmp_le_f32_e32 vcc_lo, 0xc1a00000, v18
	v_cndmask_b32_e32 v18, 0, v19, vcc_lo
	v_cmp_nlt_f32_e32 vcc_lo, 0x42b17218, v16
	v_cvt_f16_f32_e32 v19, v18
	v_cndmask_b32_e32 v16, 0x7f800000, v20, vcc_lo
	s_delay_alu instid0(VALU_DEP_2) | instskip(NEXT) | instid1(VALU_DEP_2)
	v_pk_mul_f16 v8, v19, v8 op_sel_hi:[0,1]
	v_fmac_f32_e32 v16, v33, v18
	v_pk_mul_f16 v9, v19, v9 op_sel_hi:[0,1]
	v_pk_mul_f16 v10, v19, v10 op_sel_hi:[0,1]
	;; [unrolled: 1-line block ×4, first 2 shown]
	v_mov_b32_e32 v33, v16
	v_pk_mul_f16 v13, v19, v13 op_sel_hi:[0,1]
	v_pk_mul_f16 v14, v19, v14 op_sel_hi:[0,1]
	;; [unrolled: 1-line block ×11, first 2 shown]
.LBB0_90:                               ;   in Loop: Header=BB0_14 Depth=1
	s_barrier
	buffer_gl0_inv
	s_and_saveexec_b32 s1, s0
	s_cbranch_execz .LBB0_92
; %bb.91:                               ;   in Loop: Header=BB0_14 Depth=1
	scratch_load_b64 v[16:17], off, off offset:24 ; 8-byte Folded Reload
	s_waitcnt vmcnt(0)
	global_store_b64 v[16:17], v[32:33], off
.LBB0_92:                               ;   in Loop: Header=BB0_14 Depth=1
	s_or_b32 exec_lo, exec_lo, s1
	v_cmp_gt_i32_e64 s1, s8, v231
	v_cmp_gt_i32_e64 s2, s76, v216
	ds_store_2addr_b32 v197, v8, v9 offset1:2
	ds_store_2addr_b32 v197, v10, v11 offset0:4 offset1:6
	ds_store_2addr_b32 v197, v12, v13 offset0:8 offset1:10
	;; [unrolled: 1-line block ×7, first 2 shown]
	v_cmp_le_i32_e32 vcc_lo, s76, v216
	v_mov_b32_e32 v0, 50
	s_waitcnt lgkmcnt(0)
	s_waitcnt_vscnt null, 0x0
	s_and_b32 s1, s1, s2
	s_barrier
	buffer_gl0_inv
	s_and_saveexec_b32 s2, s1
	s_cbranch_execz .LBB0_94
; %bb.93:                               ;   in Loop: Header=BB0_14 Depth=1
	ds_load_b32 v2, v168
	v_mad_u64_u32 v[0:1], null, v231, s9, v[65:66]
	s_delay_alu instid0(VALU_DEP_1) | instskip(NEXT) | instid1(VALU_DEP_1)
	v_lshl_add_u32 v0, v0, 5, v64
	v_ashrrev_i32_e32 v1, 31, v0
	s_delay_alu instid0(VALU_DEP_1) | instskip(SKIP_3) | instid1(VALU_DEP_3)
	v_lshlrev_b64 v[0:1], 3, v[0:1]
	s_waitcnt lgkmcnt(0)
	v_lshrrev_b32_e32 v3, 16, v2
	v_cvt_f32_f16_e32 v2, v2
	v_add_co_u32 v4, s1, s49, v0
	s_delay_alu instid0(VALU_DEP_3) | instskip(NEXT) | instid1(VALU_DEP_3)
	v_cvt_f32_f16_e32 v3, v3
	v_add_f32_e32 v2, 0, v2
	v_add_co_ci_u32_e64 v5, s1, s67, v1, s1
	s_delay_alu instid0(VALU_DEP_3)
	v_dual_mov_b32 v0, 0 :: v_dual_add_f32 v3, 0, v3
	global_store_b64 v[4:5], v[2:3], off
.LBB0_94:                               ;   in Loop: Header=BB0_14 Depth=1
	s_or_b32 exec_lo, exec_lo, s2
	s_mov_b32 s4, -1
	s_mov_b32 s2, exec_lo
	v_cmpx_gt_i32_e32 50, v0
; %bb.95:                               ;   in Loop: Header=BB0_14 Depth=1
	v_cmp_eq_u32_e64 s1, 0, v0
	s_delay_alu instid0(VALU_DEP_1)
	s_or_not1_b32 s4, s1, exec_lo
; %bb.96:                               ;   in Loop: Header=BB0_14 Depth=1
	s_or_b32 exec_lo, exec_lo, s2
	s_mov_b32 s2, 0
	s_mov_b32 s75, 0
                                        ; implicit-def: $vgpr1
	s_and_saveexec_b32 s3, s4
	s_cbranch_execz .LBB0_184
; %bb.97:                               ;   in Loop: Header=BB0_14 Depth=1
	v_cmp_gt_i32_e64 s1, s8, v230
	v_mov_b32_e32 v0, 50
	s_xor_b32 s5, vcc_lo, -1
	s_delay_alu instid0(VALU_DEP_2) | instid1(SALU_CYCLE_1)
	s_and_b32 s4, s1, s5
	s_delay_alu instid0(SALU_CYCLE_1)
	s_and_saveexec_b32 s1, s4
	s_cbranch_execz .LBB0_99
; %bb.98:                               ;   in Loop: Header=BB0_14 Depth=1
	ds_load_b32 v2, v170
	v_mad_u64_u32 v[0:1], null, v230, s9, v[65:66]
	s_delay_alu instid0(VALU_DEP_1) | instskip(NEXT) | instid1(VALU_DEP_1)
	v_lshl_add_u32 v0, v0, 5, v64
	v_ashrrev_i32_e32 v1, 31, v0
	s_delay_alu instid0(VALU_DEP_1) | instskip(SKIP_3) | instid1(VALU_DEP_3)
	v_lshlrev_b64 v[0:1], 3, v[0:1]
	s_waitcnt lgkmcnt(0)
	v_lshrrev_b32_e32 v3, 16, v2
	v_cvt_f32_f16_e32 v2, v2
	v_add_co_u32 v4, vcc_lo, s49, v0
	s_delay_alu instid0(VALU_DEP_3) | instskip(NEXT) | instid1(VALU_DEP_3)
	v_cvt_f32_f16_e32 v3, v3
	v_add_f32_e32 v2, 0, v2
	v_add_co_ci_u32_e32 v5, vcc_lo, s67, v1, vcc_lo
	s_delay_alu instid0(VALU_DEP_3)
	v_dual_mov_b32 v0, 0 :: v_dual_add_f32 v3, 0, v3
	global_store_b64 v[4:5], v[2:3], off
.LBB0_99:                               ;   in Loop: Header=BB0_14 Depth=1
	s_or_b32 exec_lo, exec_lo, s1
	s_mov_b32 s54, -1
	s_mov_b32 s1, exec_lo
	v_cmpx_gt_i32_e32 50, v0
; %bb.100:                              ;   in Loop: Header=BB0_14 Depth=1
	v_cmp_eq_u32_e32 vcc_lo, 0, v0
	s_or_not1_b32 s54, vcc_lo, exec_lo
; %bb.101:                              ;   in Loop: Header=BB0_14 Depth=1
	s_or_b32 exec_lo, exec_lo, s1
	s_mov_b32 s4, 0
                                        ; implicit-def: $vgpr1
	s_and_saveexec_b32 s1, s54
	s_cbranch_execz .LBB0_183
; %bb.102:                              ;   in Loop: Header=BB0_14 Depth=1
	v_cmp_gt_i32_e32 vcc_lo, s8, v229
	v_mov_b32_e32 v0, 50
	s_and_b32 s54, vcc_lo, s5
	s_delay_alu instid0(SALU_CYCLE_1)
	s_and_saveexec_b32 s4, s54
	s_cbranch_execz .LBB0_104
; %bb.103:                              ;   in Loop: Header=BB0_14 Depth=1
	ds_load_b32 v2, v172
	v_mad_u64_u32 v[0:1], null, v229, s9, v[65:66]
	s_delay_alu instid0(VALU_DEP_1) | instskip(NEXT) | instid1(VALU_DEP_1)
	v_lshl_add_u32 v0, v0, 5, v64
	v_ashrrev_i32_e32 v1, 31, v0
	s_delay_alu instid0(VALU_DEP_1) | instskip(SKIP_3) | instid1(VALU_DEP_3)
	v_lshlrev_b64 v[0:1], 3, v[0:1]
	s_waitcnt lgkmcnt(0)
	v_lshrrev_b32_e32 v3, 16, v2
	v_cvt_f32_f16_e32 v2, v2
	v_add_co_u32 v4, vcc_lo, s49, v0
	s_delay_alu instid0(VALU_DEP_3) | instskip(NEXT) | instid1(VALU_DEP_3)
	v_cvt_f32_f16_e32 v3, v3
	v_add_f32_e32 v2, 0, v2
	v_add_co_ci_u32_e32 v5, vcc_lo, s67, v1, vcc_lo
	s_delay_alu instid0(VALU_DEP_3)
	v_dual_mov_b32 v0, 0 :: v_dual_add_f32 v3, 0, v3
	global_store_b64 v[4:5], v[2:3], off
.LBB0_104:                              ;   in Loop: Header=BB0_14 Depth=1
	s_or_b32 exec_lo, exec_lo, s4
	s_mov_b32 s61, -1
	s_mov_b32 s4, exec_lo
	v_cmpx_gt_i32_e32 50, v0
; %bb.105:                              ;   in Loop: Header=BB0_14 Depth=1
	v_cmp_eq_u32_e32 vcc_lo, 0, v0
	s_or_not1_b32 s61, vcc_lo, exec_lo
; %bb.106:                              ;   in Loop: Header=BB0_14 Depth=1
	s_or_b32 exec_lo, exec_lo, s4
	s_mov_b32 s54, 0
                                        ; implicit-def: $vgpr1
	s_and_saveexec_b32 s4, s61
	s_cbranch_execz .LBB0_182
; %bb.107:                              ;   in Loop: Header=BB0_14 Depth=1
	v_cmp_gt_i32_e32 vcc_lo, s8, v228
	v_mov_b32_e32 v0, 50
	s_and_b32 s61, vcc_lo, s5
	s_delay_alu instid0(SALU_CYCLE_1)
	s_and_saveexec_b32 s54, s61
	s_cbranch_execz .LBB0_109
; %bb.108:                              ;   in Loop: Header=BB0_14 Depth=1
	ds_load_b32 v2, v174
	v_mad_u64_u32 v[0:1], null, v228, s9, v[65:66]
	s_delay_alu instid0(VALU_DEP_1) | instskip(NEXT) | instid1(VALU_DEP_1)
	v_lshl_add_u32 v0, v0, 5, v64
	v_ashrrev_i32_e32 v1, 31, v0
	s_delay_alu instid0(VALU_DEP_1) | instskip(SKIP_3) | instid1(VALU_DEP_3)
	v_lshlrev_b64 v[0:1], 3, v[0:1]
	s_waitcnt lgkmcnt(0)
	v_lshrrev_b32_e32 v3, 16, v2
	v_cvt_f32_f16_e32 v2, v2
	v_add_co_u32 v4, vcc_lo, s49, v0
	s_delay_alu instid0(VALU_DEP_3) | instskip(NEXT) | instid1(VALU_DEP_3)
	v_cvt_f32_f16_e32 v3, v3
	v_add_f32_e32 v2, 0, v2
	v_add_co_ci_u32_e32 v5, vcc_lo, s67, v1, vcc_lo
	s_delay_alu instid0(VALU_DEP_3)
	v_dual_mov_b32 v0, 0 :: v_dual_add_f32 v3, 0, v3
	global_store_b64 v[4:5], v[2:3], off
.LBB0_109:                              ;   in Loop: Header=BB0_14 Depth=1
	s_or_b32 exec_lo, exec_lo, s54
	s_mov_b32 s66, -1
	s_mov_b32 s54, exec_lo
	v_cmpx_gt_i32_e32 50, v0
; %bb.110:                              ;   in Loop: Header=BB0_14 Depth=1
	v_cmp_eq_u32_e32 vcc_lo, 0, v0
	s_or_not1_b32 s66, vcc_lo, exec_lo
; %bb.111:                              ;   in Loop: Header=BB0_14 Depth=1
	s_or_b32 exec_lo, exec_lo, s54
	s_mov_b32 s61, 0
                                        ; implicit-def: $vgpr1
	s_and_saveexec_b32 s54, s66
	s_cbranch_execz .LBB0_181
; %bb.112:                              ;   in Loop: Header=BB0_14 Depth=1
	v_cmp_gt_i32_e32 vcc_lo, s8, v227
	v_mov_b32_e32 v0, 50
	s_and_b32 s66, vcc_lo, s5
	s_delay_alu instid0(SALU_CYCLE_1)
	s_and_saveexec_b32 s61, s66
	s_cbranch_execz .LBB0_114
; %bb.113:                              ;   in Loop: Header=BB0_14 Depth=1
	scratch_load_b32 v0, off, off offset:148 ; 4-byte Folded Reload
	s_waitcnt vmcnt(0)
	ds_load_b32 v2, v0
	v_mad_u64_u32 v[0:1], null, v227, s9, v[65:66]
	s_delay_alu instid0(VALU_DEP_1) | instskip(NEXT) | instid1(VALU_DEP_1)
	v_lshl_add_u32 v0, v0, 5, v64
	v_ashrrev_i32_e32 v1, 31, v0
	s_delay_alu instid0(VALU_DEP_1) | instskip(SKIP_3) | instid1(VALU_DEP_3)
	v_lshlrev_b64 v[0:1], 3, v[0:1]
	s_waitcnt lgkmcnt(0)
	v_lshrrev_b32_e32 v3, 16, v2
	v_cvt_f32_f16_e32 v2, v2
	v_add_co_u32 v4, vcc_lo, s49, v0
	s_delay_alu instid0(VALU_DEP_3) | instskip(NEXT) | instid1(VALU_DEP_3)
	v_cvt_f32_f16_e32 v3, v3
	v_add_f32_e32 v2, 0, v2
	v_add_co_ci_u32_e32 v5, vcc_lo, s67, v1, vcc_lo
	s_delay_alu instid0(VALU_DEP_3)
	v_dual_mov_b32 v0, 0 :: v_dual_add_f32 v3, 0, v3
	global_store_b64 v[4:5], v[2:3], off
.LBB0_114:                              ;   in Loop: Header=BB0_14 Depth=1
	s_or_b32 exec_lo, exec_lo, s61
	s_mov_b32 s74, -1
	s_mov_b32 s61, exec_lo
	v_cmpx_gt_i32_e32 50, v0
; %bb.115:                              ;   in Loop: Header=BB0_14 Depth=1
	v_cmp_eq_u32_e32 vcc_lo, 0, v0
	s_or_not1_b32 s74, vcc_lo, exec_lo
; %bb.116:                              ;   in Loop: Header=BB0_14 Depth=1
	s_or_b32 exec_lo, exec_lo, s61
	s_mov_b32 s66, 0
                                        ; implicit-def: $vgpr1
	s_and_saveexec_b32 s61, s74
	s_cbranch_execz .LBB0_180
; %bb.117:                              ;   in Loop: Header=BB0_14 Depth=1
	v_cmp_gt_i32_e32 vcc_lo, s8, v226
	v_mov_b32_e32 v0, 50
	s_and_b32 s74, vcc_lo, s5
	s_delay_alu instid0(SALU_CYCLE_1)
	s_and_saveexec_b32 s66, s74
	s_cbranch_execz .LBB0_119
; %bb.118:                              ;   in Loop: Header=BB0_14 Depth=1
	ds_load_b32 v2, v174 offset:1152
	v_mad_u64_u32 v[0:1], null, v226, s9, v[65:66]
	s_delay_alu instid0(VALU_DEP_1) | instskip(NEXT) | instid1(VALU_DEP_1)
	v_lshl_add_u32 v0, v0, 5, v64
	v_ashrrev_i32_e32 v1, 31, v0
	s_delay_alu instid0(VALU_DEP_1) | instskip(SKIP_3) | instid1(VALU_DEP_3)
	v_lshlrev_b64 v[0:1], 3, v[0:1]
	s_waitcnt lgkmcnt(0)
	v_lshrrev_b32_e32 v3, 16, v2
	v_cvt_f32_f16_e32 v2, v2
	v_add_co_u32 v4, vcc_lo, s49, v0
	s_delay_alu instid0(VALU_DEP_3) | instskip(NEXT) | instid1(VALU_DEP_3)
	v_cvt_f32_f16_e32 v3, v3
	v_add_f32_e32 v2, 0, v2
	v_add_co_ci_u32_e32 v5, vcc_lo, s67, v1, vcc_lo
	s_delay_alu instid0(VALU_DEP_3)
	v_dual_mov_b32 v0, 0 :: v_dual_add_f32 v3, 0, v3
	global_store_b64 v[4:5], v[2:3], off
.LBB0_119:                              ;   in Loop: Header=BB0_14 Depth=1
	s_or_b32 exec_lo, exec_lo, s66
	s_mov_b32 s75, -1
	s_mov_b32 s66, exec_lo
	v_cmpx_gt_i32_e32 50, v0
; %bb.120:                              ;   in Loop: Header=BB0_14 Depth=1
	v_cmp_eq_u32_e32 vcc_lo, 0, v0
	s_or_not1_b32 s75, vcc_lo, exec_lo
; %bb.121:                              ;   in Loop: Header=BB0_14 Depth=1
	s_or_b32 exec_lo, exec_lo, s66
	s_mov_b32 s74, 0
                                        ; implicit-def: $vgpr1
	s_and_saveexec_b32 s66, s75
	s_cbranch_execz .LBB0_179
; %bb.122:                              ;   in Loop: Header=BB0_14 Depth=1
	v_cmp_gt_i32_e32 vcc_lo, s8, v225
	v_mov_b32_e32 v0, 50
	s_and_b32 s75, vcc_lo, s5
	s_delay_alu instid0(SALU_CYCLE_1)
	s_and_saveexec_b32 s74, s75
	s_cbranch_execz .LBB0_124
; %bb.123:                              ;   in Loop: Header=BB0_14 Depth=1
	ds_load_b32 v2, v174 offset:1728
	v_mad_u64_u32 v[0:1], null, v225, s9, v[65:66]
	s_delay_alu instid0(VALU_DEP_1) | instskip(NEXT) | instid1(VALU_DEP_1)
	v_lshl_add_u32 v0, v0, 5, v64
	v_ashrrev_i32_e32 v1, 31, v0
	s_delay_alu instid0(VALU_DEP_1) | instskip(SKIP_3) | instid1(VALU_DEP_3)
	v_lshlrev_b64 v[0:1], 3, v[0:1]
	s_waitcnt lgkmcnt(0)
	v_lshrrev_b32_e32 v3, 16, v2
	v_cvt_f32_f16_e32 v2, v2
	v_add_co_u32 v4, vcc_lo, s49, v0
	s_delay_alu instid0(VALU_DEP_3) | instskip(NEXT) | instid1(VALU_DEP_3)
	v_cvt_f32_f16_e32 v3, v3
	v_add_f32_e32 v2, 0, v2
	v_add_co_ci_u32_e32 v5, vcc_lo, s67, v1, vcc_lo
	s_delay_alu instid0(VALU_DEP_3)
	v_dual_mov_b32 v0, 0 :: v_dual_add_f32 v3, 0, v3
	global_store_b64 v[4:5], v[2:3], off
.LBB0_124:                              ;   in Loop: Header=BB0_14 Depth=1
	s_or_b32 exec_lo, exec_lo, s74
	s_mov_b32 s77, -1
	s_mov_b32 s74, exec_lo
	v_cmpx_gt_i32_e32 50, v0
; %bb.125:                              ;   in Loop: Header=BB0_14 Depth=1
	v_cmp_eq_u32_e32 vcc_lo, 0, v0
	s_or_not1_b32 s77, vcc_lo, exec_lo
; %bb.126:                              ;   in Loop: Header=BB0_14 Depth=1
	s_or_b32 exec_lo, exec_lo, s74
	s_mov_b32 s75, 0
                                        ; implicit-def: $vgpr1
	s_and_saveexec_b32 s74, s77
	s_cbranch_execz .LBB0_178
; %bb.127:                              ;   in Loop: Header=BB0_14 Depth=1
	v_cmp_gt_i32_e32 vcc_lo, s8, v224
	v_mov_b32_e32 v0, 50
	s_and_b32 s77, vcc_lo, s5
	s_delay_alu instid0(SALU_CYCLE_1)
	s_and_saveexec_b32 s75, s77
	s_cbranch_execz .LBB0_129
; %bb.128:                              ;   in Loop: Header=BB0_14 Depth=1
	ds_load_b32 v2, v174 offset:2304
	v_mad_u64_u32 v[0:1], null, v224, s9, v[65:66]
	s_delay_alu instid0(VALU_DEP_1) | instskip(NEXT) | instid1(VALU_DEP_1)
	v_lshl_add_u32 v0, v0, 5, v64
	v_ashrrev_i32_e32 v1, 31, v0
	s_delay_alu instid0(VALU_DEP_1) | instskip(SKIP_3) | instid1(VALU_DEP_3)
	v_lshlrev_b64 v[0:1], 3, v[0:1]
	s_waitcnt lgkmcnt(0)
	v_lshrrev_b32_e32 v3, 16, v2
	v_cvt_f32_f16_e32 v2, v2
	v_add_co_u32 v4, vcc_lo, s49, v0
	s_delay_alu instid0(VALU_DEP_3) | instskip(NEXT) | instid1(VALU_DEP_3)
	v_cvt_f32_f16_e32 v3, v3
	v_add_f32_e32 v2, 0, v2
	v_add_co_ci_u32_e32 v5, vcc_lo, s67, v1, vcc_lo
	s_delay_alu instid0(VALU_DEP_3)
	v_dual_mov_b32 v0, 0 :: v_dual_add_f32 v3, 0, v3
	global_store_b64 v[4:5], v[2:3], off
.LBB0_129:                              ;   in Loop: Header=BB0_14 Depth=1
	s_or_b32 exec_lo, exec_lo, s75
	s_mov_b32 s79, -1
	s_mov_b32 s75, exec_lo
	v_cmpx_gt_i32_e32 50, v0
; %bb.130:                              ;   in Loop: Header=BB0_14 Depth=1
	v_cmp_eq_u32_e32 vcc_lo, 0, v0
	s_or_not1_b32 s79, vcc_lo, exec_lo
; %bb.131:                              ;   in Loop: Header=BB0_14 Depth=1
	s_or_b32 exec_lo, exec_lo, s75
	s_mov_b32 s77, 0
                                        ; implicit-def: $vgpr1
	s_and_saveexec_b32 s75, s79
	s_cbranch_execz .LBB0_177
; %bb.132:                              ;   in Loop: Header=BB0_14 Depth=1
	v_cmp_gt_i32_e32 vcc_lo, s8, v223
	v_mov_b32_e32 v0, 50
	s_and_b32 s79, vcc_lo, s5
	s_delay_alu instid0(SALU_CYCLE_1)
	s_and_saveexec_b32 s77, s79
	s_cbranch_execz .LBB0_134
; %bb.133:                              ;   in Loop: Header=BB0_14 Depth=1
	scratch_load_b32 v0, off, off offset:156 ; 4-byte Folded Reload
	s_waitcnt vmcnt(0)
	ds_load_b32 v2, v0
	v_mad_u64_u32 v[0:1], null, v223, s9, v[65:66]
	s_delay_alu instid0(VALU_DEP_1) | instskip(NEXT) | instid1(VALU_DEP_1)
	v_lshl_add_u32 v0, v0, 5, v64
	v_ashrrev_i32_e32 v1, 31, v0
	s_delay_alu instid0(VALU_DEP_1) | instskip(SKIP_3) | instid1(VALU_DEP_3)
	v_lshlrev_b64 v[0:1], 3, v[0:1]
	s_waitcnt lgkmcnt(0)
	v_lshrrev_b32_e32 v3, 16, v2
	v_cvt_f32_f16_e32 v2, v2
	v_add_co_u32 v4, vcc_lo, s49, v0
	s_delay_alu instid0(VALU_DEP_3) | instskip(NEXT) | instid1(VALU_DEP_3)
	v_cvt_f32_f16_e32 v3, v3
	v_add_f32_e32 v2, 0, v2
	v_add_co_ci_u32_e32 v5, vcc_lo, s67, v1, vcc_lo
	s_delay_alu instid0(VALU_DEP_3)
	v_dual_mov_b32 v0, 0 :: v_dual_add_f32 v3, 0, v3
	global_store_b64 v[4:5], v[2:3], off
.LBB0_134:                              ;   in Loop: Header=BB0_14 Depth=1
	s_or_b32 exec_lo, exec_lo, s77
	s_mov_b32 s80, -1
	s_mov_b32 s77, exec_lo
	v_cmpx_gt_i32_e32 50, v0
; %bb.135:                              ;   in Loop: Header=BB0_14 Depth=1
	v_cmp_eq_u32_e32 vcc_lo, 0, v0
	s_or_not1_b32 s80, vcc_lo, exec_lo
; %bb.136:                              ;   in Loop: Header=BB0_14 Depth=1
	s_or_b32 exec_lo, exec_lo, s77
	s_mov_b32 s79, 0
                                        ; implicit-def: $vgpr1
	s_and_saveexec_b32 s77, s80
	s_cbranch_execz .LBB0_176
; %bb.137:                              ;   in Loop: Header=BB0_14 Depth=1
	v_cmp_gt_i32_e32 vcc_lo, s8, v222
	v_mov_b32_e32 v0, 50
	s_and_b32 s80, vcc_lo, s5
	s_delay_alu instid0(SALU_CYCLE_1)
	s_and_saveexec_b32 s79, s80
	s_cbranch_execz .LBB0_139
; %bb.138:                              ;   in Loop: Header=BB0_14 Depth=1
	ds_load_b32 v2, v174 offset:3456
	v_mad_u64_u32 v[0:1], null, v222, s9, v[65:66]
	s_delay_alu instid0(VALU_DEP_1) | instskip(NEXT) | instid1(VALU_DEP_1)
	v_lshl_add_u32 v0, v0, 5, v64
	v_ashrrev_i32_e32 v1, 31, v0
	s_delay_alu instid0(VALU_DEP_1) | instskip(SKIP_3) | instid1(VALU_DEP_3)
	v_lshlrev_b64 v[0:1], 3, v[0:1]
	s_waitcnt lgkmcnt(0)
	v_lshrrev_b32_e32 v3, 16, v2
	v_cvt_f32_f16_e32 v2, v2
	v_add_co_u32 v4, vcc_lo, s49, v0
	s_delay_alu instid0(VALU_DEP_3) | instskip(NEXT) | instid1(VALU_DEP_3)
	v_cvt_f32_f16_e32 v3, v3
	v_add_f32_e32 v2, 0, v2
	v_add_co_ci_u32_e32 v5, vcc_lo, s67, v1, vcc_lo
	s_delay_alu instid0(VALU_DEP_3)
	v_dual_mov_b32 v0, 0 :: v_dual_add_f32 v3, 0, v3
	global_store_b64 v[4:5], v[2:3], off
.LBB0_139:                              ;   in Loop: Header=BB0_14 Depth=1
	s_or_b32 exec_lo, exec_lo, s79
	s_mov_b32 s88, -1
	s_mov_b32 s79, exec_lo
	v_cmpx_gt_i32_e32 50, v0
; %bb.140:                              ;   in Loop: Header=BB0_14 Depth=1
	v_cmp_eq_u32_e32 vcc_lo, 0, v0
	s_or_not1_b32 s88, vcc_lo, exec_lo
; %bb.141:                              ;   in Loop: Header=BB0_14 Depth=1
	s_or_b32 exec_lo, exec_lo, s79
	s_mov_b32 s80, 0
                                        ; implicit-def: $vgpr1
	s_and_saveexec_b32 s79, s88
	s_cbranch_execz .LBB0_175
; %bb.142:                              ;   in Loop: Header=BB0_14 Depth=1
	v_cmp_gt_i32_e32 vcc_lo, s8, v221
	v_mov_b32_e32 v0, 50
	s_and_b32 s88, vcc_lo, s5
	s_delay_alu instid0(SALU_CYCLE_1)
	s_and_saveexec_b32 s80, s88
	s_cbranch_execz .LBB0_144
; %bb.143:                              ;   in Loop: Header=BB0_14 Depth=1
	ds_load_b32 v2, v174 offset:4032
	v_mad_u64_u32 v[0:1], null, v221, s9, v[65:66]
	s_delay_alu instid0(VALU_DEP_1) | instskip(NEXT) | instid1(VALU_DEP_1)
	v_lshl_add_u32 v0, v0, 5, v64
	v_ashrrev_i32_e32 v1, 31, v0
	s_delay_alu instid0(VALU_DEP_1) | instskip(SKIP_3) | instid1(VALU_DEP_3)
	v_lshlrev_b64 v[0:1], 3, v[0:1]
	s_waitcnt lgkmcnt(0)
	v_lshrrev_b32_e32 v3, 16, v2
	v_cvt_f32_f16_e32 v2, v2
	v_add_co_u32 v4, vcc_lo, s49, v0
	s_delay_alu instid0(VALU_DEP_3) | instskip(NEXT) | instid1(VALU_DEP_3)
	v_cvt_f32_f16_e32 v3, v3
	v_add_f32_e32 v2, 0, v2
	v_add_co_ci_u32_e32 v5, vcc_lo, s67, v1, vcc_lo
	s_delay_alu instid0(VALU_DEP_3)
	v_dual_mov_b32 v0, 0 :: v_dual_add_f32 v3, 0, v3
	global_store_b64 v[4:5], v[2:3], off
.LBB0_144:                              ;   in Loop: Header=BB0_14 Depth=1
	;; [unrolled: 40-line block ×3, first 2 shown]
	s_or_b32 exec_lo, exec_lo, s88
	s_mov_b32 s90, -1
	s_mov_b32 s88, exec_lo
	v_cmpx_gt_i32_e32 50, v0
; %bb.150:                              ;   in Loop: Header=BB0_14 Depth=1
	v_cmp_eq_u32_e32 vcc_lo, 0, v0
	s_or_not1_b32 s90, vcc_lo, exec_lo
; %bb.151:                              ;   in Loop: Header=BB0_14 Depth=1
	s_or_b32 exec_lo, exec_lo, s88
	s_mov_b32 s89, 0
                                        ; implicit-def: $vgpr1
	s_and_saveexec_b32 s88, s90
	s_cbranch_execz .LBB0_173
; %bb.152:                              ;   in Loop: Header=BB0_14 Depth=1
	v_cmp_gt_i32_e32 vcc_lo, s8, v219
	v_mov_b32_e32 v0, 50
	s_and_b32 s90, vcc_lo, s5
	s_delay_alu instid0(SALU_CYCLE_1)
	s_and_saveexec_b32 s89, s90
	s_cbranch_execz .LBB0_154
; %bb.153:                              ;   in Loop: Header=BB0_14 Depth=1
	scratch_load_b32 v0, off, off offset:164 ; 4-byte Folded Reload
	s_waitcnt vmcnt(0)
	ds_load_b32 v2, v0
	v_mad_u64_u32 v[0:1], null, v219, s9, v[65:66]
	s_delay_alu instid0(VALU_DEP_1) | instskip(NEXT) | instid1(VALU_DEP_1)
	v_lshl_add_u32 v0, v0, 5, v64
	v_ashrrev_i32_e32 v1, 31, v0
	s_delay_alu instid0(VALU_DEP_1) | instskip(SKIP_3) | instid1(VALU_DEP_3)
	v_lshlrev_b64 v[0:1], 3, v[0:1]
	s_waitcnt lgkmcnt(0)
	v_lshrrev_b32_e32 v3, 16, v2
	v_cvt_f32_f16_e32 v2, v2
	v_add_co_u32 v4, vcc_lo, s49, v0
	s_delay_alu instid0(VALU_DEP_3) | instskip(NEXT) | instid1(VALU_DEP_3)
	v_cvt_f32_f16_e32 v3, v3
	v_add_f32_e32 v2, 0, v2
	v_add_co_ci_u32_e32 v5, vcc_lo, s67, v1, vcc_lo
	s_delay_alu instid0(VALU_DEP_3)
	v_dual_mov_b32 v0, 0 :: v_dual_add_f32 v3, 0, v3
	global_store_b64 v[4:5], v[2:3], off
.LBB0_154:                              ;   in Loop: Header=BB0_14 Depth=1
	s_or_b32 exec_lo, exec_lo, s89
	s_mov_b32 s91, -1
	s_mov_b32 s89, exec_lo
	v_cmpx_gt_i32_e32 50, v0
; %bb.155:                              ;   in Loop: Header=BB0_14 Depth=1
	v_cmp_eq_u32_e32 vcc_lo, 0, v0
	s_or_not1_b32 s91, vcc_lo, exec_lo
; %bb.156:                              ;   in Loop: Header=BB0_14 Depth=1
	s_or_b32 exec_lo, exec_lo, s89
	s_mov_b32 s90, 0
                                        ; implicit-def: $vgpr1
	s_and_saveexec_b32 s89, s91
	s_cbranch_execz .LBB0_172
; %bb.157:                              ;   in Loop: Header=BB0_14 Depth=1
	v_cmp_gt_i32_e32 vcc_lo, s8, v218
	v_mov_b32_e32 v0, 50
	s_and_b32 s91, vcc_lo, s5
	s_delay_alu instid0(SALU_CYCLE_1)
	s_and_saveexec_b32 s90, s91
	s_cbranch_execz .LBB0_159
; %bb.158:                              ;   in Loop: Header=BB0_14 Depth=1
	ds_load_b32 v2, v174 offset:5760
	v_mad_u64_u32 v[0:1], null, v218, s9, v[65:66]
	s_delay_alu instid0(VALU_DEP_1) | instskip(NEXT) | instid1(VALU_DEP_1)
	v_lshl_add_u32 v0, v0, 5, v64
	v_ashrrev_i32_e32 v1, 31, v0
	s_delay_alu instid0(VALU_DEP_1) | instskip(SKIP_3) | instid1(VALU_DEP_3)
	v_lshlrev_b64 v[0:1], 3, v[0:1]
	s_waitcnt lgkmcnt(0)
	v_lshrrev_b32_e32 v3, 16, v2
	v_cvt_f32_f16_e32 v2, v2
	v_add_co_u32 v4, vcc_lo, s49, v0
	s_delay_alu instid0(VALU_DEP_3) | instskip(NEXT) | instid1(VALU_DEP_3)
	v_cvt_f32_f16_e32 v3, v3
	v_add_f32_e32 v2, 0, v2
	v_add_co_ci_u32_e32 v5, vcc_lo, s67, v1, vcc_lo
	s_delay_alu instid0(VALU_DEP_3)
	v_dual_mov_b32 v0, 0 :: v_dual_add_f32 v3, 0, v3
	global_store_b64 v[4:5], v[2:3], off
.LBB0_159:                              ;   in Loop: Header=BB0_14 Depth=1
	s_or_b32 exec_lo, exec_lo, s90
	s_mov_b32 s92, -1
	s_mov_b32 s90, exec_lo
	v_cmpx_gt_i32_e32 50, v0
; %bb.160:                              ;   in Loop: Header=BB0_14 Depth=1
	v_cmp_eq_u32_e32 vcc_lo, 0, v0
	s_or_not1_b32 s92, vcc_lo, exec_lo
; %bb.161:                              ;   in Loop: Header=BB0_14 Depth=1
	s_or_b32 exec_lo, exec_lo, s90
	s_mov_b32 s91, 0
                                        ; implicit-def: $vgpr1
	s_and_saveexec_b32 s90, s92
	s_cbranch_execz .LBB0_171
; %bb.162:                              ;   in Loop: Header=BB0_14 Depth=1
	v_cmp_gt_i32_e32 vcc_lo, s8, v217
	v_mov_b32_e32 v0, 50
	s_and_b32 s92, vcc_lo, s5
	s_delay_alu instid0(SALU_CYCLE_1)
	s_and_saveexec_b32 s91, s92
	s_cbranch_execz .LBB0_164
; %bb.163:                              ;   in Loop: Header=BB0_14 Depth=1
	ds_load_b32 v2, v174 offset:6336
	v_mad_u64_u32 v[0:1], null, v217, s9, v[65:66]
	s_delay_alu instid0(VALU_DEP_1) | instskip(NEXT) | instid1(VALU_DEP_1)
	v_lshl_add_u32 v0, v0, 5, v64
	v_ashrrev_i32_e32 v1, 31, v0
	s_delay_alu instid0(VALU_DEP_1) | instskip(SKIP_3) | instid1(VALU_DEP_3)
	v_lshlrev_b64 v[0:1], 3, v[0:1]
	s_waitcnt lgkmcnt(0)
	v_lshrrev_b32_e32 v3, 16, v2
	v_cvt_f32_f16_e32 v2, v2
	v_add_co_u32 v4, vcc_lo, s49, v0
	s_delay_alu instid0(VALU_DEP_3) | instskip(NEXT) | instid1(VALU_DEP_3)
	v_cvt_f32_f16_e32 v3, v3
	v_add_f32_e32 v2, 0, v2
	v_add_co_ci_u32_e32 v5, vcc_lo, s67, v1, vcc_lo
	s_delay_alu instid0(VALU_DEP_3)
	v_dual_mov_b32 v0, 0 :: v_dual_add_f32 v3, 0, v3
	global_store_b64 v[4:5], v[2:3], off
.LBB0_164:                              ;   in Loop: Header=BB0_14 Depth=1
	s_or_b32 exec_lo, exec_lo, s91
	s_mov_b32 s93, -1
	s_mov_b32 s91, exec_lo
	v_cmpx_gt_i32_e32 50, v0
; %bb.165:                              ;   in Loop: Header=BB0_14 Depth=1
	v_cmp_eq_u32_e32 vcc_lo, 0, v0
	s_or_not1_b32 s93, vcc_lo, exec_lo
; %bb.166:                              ;   in Loop: Header=BB0_14 Depth=1
	s_or_b32 exec_lo, exec_lo, s91
	s_mov_b32 s92, 0
                                        ; implicit-def: $vgpr1
	s_and_saveexec_b32 s91, s93
	s_cbranch_execz .LBB0_170
; %bb.167:                              ;   in Loop: Header=BB0_14 Depth=1
	v_cmp_gt_i32_e32 vcc_lo, s8, v215
                                        ; implicit-def: $vgpr1
	s_and_b32 s92, vcc_lo, s5
	s_mov_b32 s5, 0
	s_and_saveexec_b32 s93, s92
	s_delay_alu instid0(SALU_CYCLE_1)
	s_xor_b32 s92, exec_lo, s93
	s_cbranch_execz .LBB0_169
; %bb.168:                              ;   in Loop: Header=BB0_14 Depth=1
	ds_load_b32 v0, v174 offset:6912
	s_mov_b32 s5, exec_lo
	s_waitcnt lgkmcnt(0)
	v_lshrrev_b32_e32 v1, 16, v0
	v_cvt_f32_f16_e32 v0, v0
	s_delay_alu instid0(VALU_DEP_2) | instskip(NEXT) | instid1(VALU_DEP_1)
	v_cvt_f32_f16_e32 v1, v1
	v_dual_add_f32 v0, 0, v0 :: v_dual_add_f32 v1, 0, v1
.LBB0_169:                              ;   in Loop: Header=BB0_14 Depth=1
	s_or_b32 exec_lo, exec_lo, s92
	s_delay_alu instid0(SALU_CYCLE_1)
	s_and_b32 s92, s5, exec_lo
.LBB0_170:                              ;   in Loop: Header=BB0_14 Depth=1
	s_or_b32 exec_lo, exec_lo, s91
	s_delay_alu instid0(SALU_CYCLE_1)
	s_and_b32 s91, s92, exec_lo
.LBB0_171:                              ;   in Loop: Header=BB0_14 Depth=1
	s_or_b32 exec_lo, exec_lo, s90
	s_delay_alu instid0(SALU_CYCLE_1)
	s_and_b32 s90, s91, exec_lo
.LBB0_172:                              ;   in Loop: Header=BB0_14 Depth=1
	s_or_b32 exec_lo, exec_lo, s89
	s_delay_alu instid0(SALU_CYCLE_1)
	s_and_b32 s89, s90, exec_lo
.LBB0_173:                              ;   in Loop: Header=BB0_14 Depth=1
	s_or_b32 exec_lo, exec_lo, s88
	s_delay_alu instid0(SALU_CYCLE_1)
	s_and_b32 s88, s89, exec_lo
.LBB0_174:                              ;   in Loop: Header=BB0_14 Depth=1
	s_or_b32 exec_lo, exec_lo, s80
	s_delay_alu instid0(SALU_CYCLE_1)
	s_and_b32 s80, s88, exec_lo
.LBB0_175:                              ;   in Loop: Header=BB0_14 Depth=1
	s_or_b32 exec_lo, exec_lo, s79
	s_delay_alu instid0(SALU_CYCLE_1)
	s_and_b32 s79, s80, exec_lo
.LBB0_176:                              ;   in Loop: Header=BB0_14 Depth=1
	s_or_b32 exec_lo, exec_lo, s77
	s_delay_alu instid0(SALU_CYCLE_1)
	s_and_b32 s77, s79, exec_lo
.LBB0_177:                              ;   in Loop: Header=BB0_14 Depth=1
	s_or_b32 exec_lo, exec_lo, s75
	s_delay_alu instid0(SALU_CYCLE_1)
	s_and_b32 s75, s77, exec_lo
.LBB0_178:                              ;   in Loop: Header=BB0_14 Depth=1
	s_or_b32 exec_lo, exec_lo, s74
	s_delay_alu instid0(SALU_CYCLE_1)
	s_and_b32 s74, s75, exec_lo
.LBB0_179:                              ;   in Loop: Header=BB0_14 Depth=1
	s_or_b32 exec_lo, exec_lo, s66
	s_delay_alu instid0(SALU_CYCLE_1)
	s_and_b32 s66, s74, exec_lo
.LBB0_180:                              ;   in Loop: Header=BB0_14 Depth=1
	s_or_b32 exec_lo, exec_lo, s61
	s_delay_alu instid0(SALU_CYCLE_1)
	s_and_b32 s61, s66, exec_lo
.LBB0_181:                              ;   in Loop: Header=BB0_14 Depth=1
	s_or_b32 exec_lo, exec_lo, s54
	s_delay_alu instid0(SALU_CYCLE_1)
	s_and_b32 s54, s61, exec_lo
.LBB0_182:                              ;   in Loop: Header=BB0_14 Depth=1
	s_or_b32 exec_lo, exec_lo, s4
	s_delay_alu instid0(SALU_CYCLE_1)
	s_and_b32 s4, s54, exec_lo
.LBB0_183:                              ;   in Loop: Header=BB0_14 Depth=1
	s_or_b32 exec_lo, exec_lo, s1
	s_delay_alu instid0(SALU_CYCLE_1)
	s_and_b32 s75, s4, exec_lo
.LBB0_184:                              ;   in Loop: Header=BB0_14 Depth=1
	s_or_b32 exec_lo, exec_lo, s3
	s_delay_alu instid0(SALU_CYCLE_1)
	s_and_b32 vcc_lo, exec_lo, s2
	s_cbranch_vccz .LBB0_353
.LBB0_185:                              ;   in Loop: Header=BB0_14 Depth=1
	s_lshl_b32 s4, s78, 4
	v_cmp_gt_i32_e32 vcc_lo, s76, v216
	v_add_nc_u32_e32 v228, s4, v144
	s_delay_alu instid0(VALU_DEP_1) | instskip(NEXT) | instid1(VALU_DEP_1)
	v_cmp_gt_i32_e64 s1, s8, v228
	s_and_b32 s66, s1, vcc_lo
	s_delay_alu instid0(SALU_CYCLE_1) | instskip(NEXT) | instid1(SALU_CYCLE_1)
	s_xor_b32 s1, s66, -1
	s_and_saveexec_b32 s2, s1
	s_delay_alu instid0(SALU_CYCLE_1)
	s_xor_b32 s1, exec_lo, s2
	s_cbranch_execz .LBB0_187
; %bb.186:                              ;   in Loop: Header=BB0_14 Depth=1
	ds_store_b32 v168, v146
.LBB0_187:                              ;   in Loop: Header=BB0_14 Depth=1
	s_and_not1_saveexec_b32 s2, s1
	s_cbranch_execz .LBB0_189
; %bb.188:                              ;   in Loop: Header=BB0_14 Depth=1
	v_mad_u64_u32 v[0:1], null, v228, s33, v[84:85]
	s_delay_alu instid0(VALU_DEP_1) | instskip(NEXT) | instid1(VALU_DEP_1)
	v_ashrrev_i32_e32 v1, 31, v0
	v_lshlrev_b64 v[0:1], 3, v[0:1]
	s_delay_alu instid0(VALU_DEP_1) | instskip(NEXT) | instid1(VALU_DEP_1)
	v_add_co_u32 v0, s1, s46, v0
	v_add_co_ci_u32_e64 v1, s1, s55, v1, s1
	global_load_b64 v[0:1], v[0:1], off
	s_waitcnt vmcnt(0)
	v_cvt_f16_f32_e32 v0, v0
	v_cvt_f16_f32_e32 v1, v1
	s_delay_alu instid0(VALU_DEP_1) | instskip(NEXT) | instid1(VALU_DEP_1)
	v_pack_b32_f16 v0, v0, v1
	v_pk_mul_f16 v0, v143, v0
	ds_store_b32 v168, v0
.LBB0_189:                              ;   in Loop: Header=BB0_14 Depth=1
	s_or_b32 exec_lo, exec_lo, s2
	v_add_nc_u32_e32 v227, s4, v169
	s_delay_alu instid0(VALU_DEP_1) | instskip(NEXT) | instid1(VALU_DEP_1)
	v_cmp_gt_i32_e64 s1, s8, v227
	s_and_b32 s94, s1, vcc_lo
	s_delay_alu instid0(SALU_CYCLE_1) | instskip(NEXT) | instid1(SALU_CYCLE_1)
	s_xor_b32 s1, s94, -1
	s_and_saveexec_b32 s2, s1
	s_delay_alu instid0(SALU_CYCLE_1)
	s_xor_b32 s1, exec_lo, s2
	s_cbranch_execz .LBB0_191
; %bb.190:                              ;   in Loop: Header=BB0_14 Depth=1
	ds_store_b32 v170, v146
.LBB0_191:                              ;   in Loop: Header=BB0_14 Depth=1
	s_and_not1_saveexec_b32 s2, s1
	s_cbranch_execz .LBB0_193
; %bb.192:                              ;   in Loop: Header=BB0_14 Depth=1
	v_mad_u64_u32 v[0:1], null, v227, s33, v[84:85]
	s_delay_alu instid0(VALU_DEP_1) | instskip(NEXT) | instid1(VALU_DEP_1)
	v_ashrrev_i32_e32 v1, 31, v0
	v_lshlrev_b64 v[0:1], 3, v[0:1]
	s_delay_alu instid0(VALU_DEP_1) | instskip(NEXT) | instid1(VALU_DEP_1)
	v_add_co_u32 v0, s1, s46, v0
	v_add_co_ci_u32_e64 v1, s1, s55, v1, s1
	global_load_b64 v[0:1], v[0:1], off
	s_waitcnt vmcnt(0)
	v_cvt_f16_f32_e32 v0, v0
	v_cvt_f16_f32_e32 v1, v1
	s_delay_alu instid0(VALU_DEP_1) | instskip(NEXT) | instid1(VALU_DEP_1)
	v_pack_b32_f16 v0, v0, v1
	v_pk_mul_f16 v0, v143, v0
	ds_store_b32 v170, v0
.LBB0_193:                              ;   in Loop: Header=BB0_14 Depth=1
	s_or_b32 exec_lo, exec_lo, s2
	;; [unrolled: 33-line block ×4, first 2 shown]
	v_add_nc_u32_e32 v224, s4, v175
	s_delay_alu instid0(VALU_DEP_1) | instskip(NEXT) | instid1(VALU_DEP_1)
	v_cmp_gt_i32_e64 s1, s8, v224
	s_and_b32 s91, s1, vcc_lo
	s_delay_alu instid0(SALU_CYCLE_1) | instskip(NEXT) | instid1(SALU_CYCLE_1)
	s_xor_b32 s1, s91, -1
	s_and_saveexec_b32 s2, s1
	s_delay_alu instid0(SALU_CYCLE_1)
	s_xor_b32 s1, exec_lo, s2
	s_cbranch_execz .LBB0_203
; %bb.202:                              ;   in Loop: Header=BB0_14 Depth=1
	ds_store_b32 v174, v146 offset:576
.LBB0_203:                              ;   in Loop: Header=BB0_14 Depth=1
	s_and_not1_saveexec_b32 s2, s1
	s_cbranch_execz .LBB0_205
; %bb.204:                              ;   in Loop: Header=BB0_14 Depth=1
	v_mad_u64_u32 v[0:1], null, v224, s33, v[84:85]
	s_delay_alu instid0(VALU_DEP_1) | instskip(NEXT) | instid1(VALU_DEP_1)
	v_ashrrev_i32_e32 v1, 31, v0
	v_lshlrev_b64 v[0:1], 3, v[0:1]
	s_delay_alu instid0(VALU_DEP_1) | instskip(NEXT) | instid1(VALU_DEP_1)
	v_add_co_u32 v0, s1, s46, v0
	v_add_co_ci_u32_e64 v1, s1, s55, v1, s1
	global_load_b64 v[0:1], v[0:1], off
	s_waitcnt vmcnt(0)
	v_cvt_f16_f32_e32 v0, v0
	v_cvt_f16_f32_e32 v1, v1
	s_delay_alu instid0(VALU_DEP_1) | instskip(NEXT) | instid1(VALU_DEP_1)
	v_pack_b32_f16 v0, v0, v1
	v_pk_mul_f16 v0, v143, v0
	ds_store_b32 v174, v0 offset:576
.LBB0_205:                              ;   in Loop: Header=BB0_14 Depth=1
	s_or_b32 exec_lo, exec_lo, s2
	v_add_nc_u32_e32 v223, s4, v176
	s_delay_alu instid0(VALU_DEP_1) | instskip(NEXT) | instid1(VALU_DEP_1)
	v_cmp_gt_i32_e64 s1, s8, v223
	s_and_b32 s90, s1, vcc_lo
	s_delay_alu instid0(SALU_CYCLE_1) | instskip(NEXT) | instid1(SALU_CYCLE_1)
	s_xor_b32 s1, s90, -1
	s_and_saveexec_b32 s2, s1
	s_delay_alu instid0(SALU_CYCLE_1)
	s_xor_b32 s1, exec_lo, s2
	s_cbranch_execz .LBB0_207
; %bb.206:                              ;   in Loop: Header=BB0_14 Depth=1
	ds_store_b32 v174, v146 offset:1152
.LBB0_207:                              ;   in Loop: Header=BB0_14 Depth=1
	s_and_not1_saveexec_b32 s2, s1
	s_cbranch_execz .LBB0_209
; %bb.208:                              ;   in Loop: Header=BB0_14 Depth=1
	v_mad_u64_u32 v[0:1], null, v223, s33, v[84:85]
	s_delay_alu instid0(VALU_DEP_1) | instskip(NEXT) | instid1(VALU_DEP_1)
	v_ashrrev_i32_e32 v1, 31, v0
	v_lshlrev_b64 v[0:1], 3, v[0:1]
	s_delay_alu instid0(VALU_DEP_1) | instskip(NEXT) | instid1(VALU_DEP_1)
	v_add_co_u32 v0, s1, s46, v0
	v_add_co_ci_u32_e64 v1, s1, s55, v1, s1
	global_load_b64 v[0:1], v[0:1], off
	s_waitcnt vmcnt(0)
	v_cvt_f16_f32_e32 v0, v0
	v_cvt_f16_f32_e32 v1, v1
	s_delay_alu instid0(VALU_DEP_1) | instskip(NEXT) | instid1(VALU_DEP_1)
	v_pack_b32_f16 v0, v0, v1
	v_pk_mul_f16 v0, v143, v0
	ds_store_b32 v174, v0 offset:1152
.LBB0_209:                              ;   in Loop: Header=BB0_14 Depth=1
	s_or_b32 exec_lo, exec_lo, s2
	;; [unrolled: 33-line block ×11, first 2 shown]
	v_add_nc_u32_e32 v215, s4, v185
	s_delay_alu instid0(VALU_DEP_1) | instskip(NEXT) | instid1(VALU_DEP_1)
	v_cmp_gt_i32_e64 s1, s8, v215
	s_and_b32 s74, s1, vcc_lo
	s_delay_alu instid0(SALU_CYCLE_1) | instskip(NEXT) | instid1(SALU_CYCLE_1)
	s_xor_b32 s1, s74, -1
	s_and_saveexec_b32 s2, s1
	s_delay_alu instid0(SALU_CYCLE_1)
	s_xor_b32 s1, exec_lo, s2
	s_cbranch_execz .LBB0_247
; %bb.246:                              ;   in Loop: Header=BB0_14 Depth=1
	ds_store_b32 v174, v146 offset:6912
.LBB0_247:                              ;   in Loop: Header=BB0_14 Depth=1
	s_and_not1_saveexec_b32 s1, s1
	s_cbranch_execz .LBB0_249
; %bb.248:                              ;   in Loop: Header=BB0_14 Depth=1
	v_mad_u64_u32 v[0:1], null, v215, s33, v[84:85]
	s_delay_alu instid0(VALU_DEP_1) | instskip(NEXT) | instid1(VALU_DEP_1)
	v_ashrrev_i32_e32 v1, 31, v0
	v_lshlrev_b64 v[0:1], 3, v[0:1]
	s_delay_alu instid0(VALU_DEP_1) | instskip(NEXT) | instid1(VALU_DEP_2)
	v_add_co_u32 v0, vcc_lo, s46, v0
	v_add_co_ci_u32_e32 v1, vcc_lo, s55, v1, vcc_lo
	global_load_b64 v[0:1], v[0:1], off
	s_waitcnt vmcnt(0)
	v_cvt_f16_f32_e32 v0, v0
	v_cvt_f16_f32_e32 v1, v1
	s_delay_alu instid0(VALU_DEP_1) | instskip(NEXT) | instid1(VALU_DEP_1)
	v_pack_b32_f16 v0, v0, v1
	v_pk_mul_f16 v0, v143, v0
	ds_store_b32 v174, v0 offset:6912
.LBB0_249:                              ;   in Loop: Header=BB0_14 Depth=1
	s_or_b32 exec_lo, exec_lo, s1
	s_waitcnt lgkmcnt(0)
	s_waitcnt_vscnt null, 0x0
	s_barrier
	buffer_gl0_inv
	ds_load_b128 v[40:43], v151
	ds_load_b128 v[44:47], v151 offset:16
	ds_load_b128 v[16:19], v151 offset:32
	;; [unrolled: 1-line block ×7, first 2 shown]
	s_cmp_gt_i32 s101, 1
	s_waitcnt lgkmcnt(0)
	s_barrier
	buffer_gl0_inv
	s_cbranch_scc1 .LBB0_251
; %bb.250:                              ;   in Loop: Header=BB0_14 Depth=1
	v_add_nc_u32_e32 v0, s4, v245
	v_dual_mov_b32 v232, 32 :: v_dual_add_nc_u32 v1, s4, v243
	v_add_nc_u32_e32 v2, s4, v242
	v_add_nc_u32_e32 v3, s4, v212
	s_delay_alu instid0(VALU_DEP_4) | instskip(NEXT) | instid1(VALU_DEP_4)
	v_mul_hi_u32 v4, s34, v0
	v_mul_hi_u32 v5, s34, v1
	v_xor_b32_e32 v231, 16, v214
	v_mul_hi_u32 v6, s34, v2
	v_mul_hi_u32 v7, s34, v3
	s_mov_b32 s1, 0
	s_mov_b32 s5, 0xfeffffff
	s_mov_b64 s[2:3], 0
	v_add_nc_u32_e32 v4, v0, v4
	v_add_nc_u32_e32 v5, v1, v5
	s_delay_alu instid0(VALU_DEP_4) | instskip(NEXT) | instid1(VALU_DEP_4)
	v_add_nc_u32_e32 v6, v2, v6
	v_add_nc_u32_e32 v7, v3, v7
	s_delay_alu instid0(VALU_DEP_4) | instskip(NEXT) | instid1(VALU_DEP_4)
	v_lshrrev_b32_e32 v4, s35, v4
	v_lshrrev_b32_e32 v5, s35, v5
	s_delay_alu instid0(VALU_DEP_4) | instskip(NEXT) | instid1(VALU_DEP_4)
	v_lshrrev_b32_e32 v6, s35, v6
	v_lshrrev_b32_e32 v7, s35, v7
	s_delay_alu instid0(VALU_DEP_4) | instskip(NEXT) | instid1(VALU_DEP_4)
	v_mul_lo_u32 v4, v4, s8
	v_mul_lo_u32 v5, v5, s8
	s_delay_alu instid0(VALU_DEP_4) | instskip(NEXT) | instid1(VALU_DEP_4)
	v_mul_lo_u32 v6, v6, s8
	v_mul_lo_u32 v7, v7, s8
	s_delay_alu instid0(VALU_DEP_4) | instskip(NEXT) | instid1(VALU_DEP_4)
	v_sub_nc_u32_e32 v0, v0, v4
	v_sub_nc_u32_e32 v1, v1, v5
	s_delay_alu instid0(VALU_DEP_4) | instskip(NEXT) | instid1(VALU_DEP_4)
	v_sub_nc_u32_e32 v2, v2, v6
	v_sub_nc_u32_e32 v3, v3, v7
	s_delay_alu instid0(VALU_DEP_4) | instskip(NEXT) | instid1(VALU_DEP_4)
	v_mad_i64_i32 v[54:55], null, v0, s48, 0
	v_mad_i64_i32 v[52:53], null, v1, s48, 0
	s_delay_alu instid0(VALU_DEP_4) | instskip(NEXT) | instid1(VALU_DEP_4)
	v_mad_i64_i32 v[50:51], null, v2, s48, 0
	v_mad_i64_i32 v[48:49], null, v3, s48, 0
	s_branch .LBB0_252
.LBB0_251:                              ;   in Loop: Header=BB0_14 Depth=1
	s_mov_b32 s1, -1
                                        ; implicit-def: $sgpr2_sgpr3
                                        ; implicit-def: $sgpr5
                                        ; implicit-def: $vgpr54_vgpr55
                                        ; implicit-def: $vgpr52_vgpr53
                                        ; implicit-def: $vgpr50_vgpr51
                                        ; implicit-def: $vgpr48_vgpr49
                                        ; implicit-def: $vgpr231
                                        ; implicit-def: $vgpr232
.LBB0_252:                              ;   in Loop: Header=BB0_14 Depth=1
	s_delay_alu instid0(SALU_CYCLE_1) | instskip(SKIP_2) | instid1(VALU_DEP_3)
	v_cndmask_b32_e64 v0, 0, 1, s1
	v_dual_mov_b32 v15, s1 :: v_dual_mov_b32 v230, s5
	v_dual_mov_b32 v229, s1 :: v_dual_mov_b32 v14, s1
	v_cmp_ne_u32_e32 vcc_lo, 1, v0
	v_dual_mov_b32 v13, s1 :: v_dual_mov_b32 v12, s1
	v_dual_mov_b32 v11, s1 :: v_dual_mov_b32 v10, s1
	;; [unrolled: 1-line block ×7, first 2 shown]
	s_cbranch_vccnz .LBB0_256
; %bb.253:                              ;   in Loop: Header=BB0_14 Depth=1
	s_clause 0x5
	scratch_store_b32 off, v136, off offset:20
	scratch_store_b32 off, v135, off offset:16
	;; [unrolled: 1-line block ×5, first 2 shown]
	scratch_store_b32 off, v123, off
	scratch_load_b32 v48, off, off offset:36 ; 4-byte Folded Reload
	v_xor_b32_e32 v231, 16, v214
	s_add_i32 s46, s101, -1
	s_add_u32 s2, s22, s60
	s_addc_u32 s3, s23, s6
	s_add_u32 s1, s7, s15
	v_cmp_gt_i32_e32 vcc_lo, 32, v231
	v_add_nc_u32_e32 v3, s4, v242
	v_dual_mov_b32 v219, v186 :: v_dual_mov_b32 v218, v185
	v_dual_mov_b32 v186, v181 :: v_dual_mov_b32 v181, v176
	v_cndmask_b32_e32 v8, v214, v231, vcc_lo
	v_dual_mov_b32 v176, v167 :: v_dual_add_nc_u32 v1, s4, v245
	v_dual_mov_b32 v167, v212 :: v_dual_add_nc_u32 v2, s4, v243
	v_add_nc_u32_e32 v4, s4, v212
	s_addc_u32 s4, s59, s14
	v_dual_mov_b32 v217, v184 :: v_dual_mov_b32 v216, v183
	v_dual_mov_b32 v124, v141 :: v_dual_mov_b32 v123, v64
	v_dual_mov_b32 v141, v168 :: v_dual_mov_b32 v168, v145
	v_dual_mov_b32 v145, v170 :: v_dual_mov_b32 v170, v172
	v_dual_mov_b32 v172, v144 :: v_dual_mov_b32 v183, v178
	v_dual_mov_b32 v178, v171 :: v_dual_mov_b32 v171, v242
	v_dual_mov_b32 v184, v179 :: v_dual_mov_b32 v179, v173
	v_dual_mov_b32 v64, v245 :: v_dual_mov_b32 v173, v243
	v_dual_mov_b32 v144, v182 :: v_dual_mov_b32 v185, v180
	v_mov_b32_e32 v182, v177
	v_dual_mov_b32 v180, v175 :: v_dual_mov_b32 v177, v169
	v_mov_b32_e32 v175, v244
	s_add_u32 s5, s64, s104
	s_addc_u32 s7, s103, vcc_hi
	v_mul_hi_u32 v0, s34, v1
	v_mul_hi_u32 v5, s34, v2
	;; [unrolled: 1-line block ×4, first 2 shown]
	v_dual_mov_b32 v229, 0 :: v_dual_mov_b32 v232, 32
	v_dual_mov_b32 v169, v213 :: v_dual_mov_b32 v230, 0xfeffffff
	v_add_nc_u32_e32 v0, v1, v0
	v_add_nc_u32_e32 v5, v2, v5
	s_mov_b32 s6, s46
	v_add_nc_u32_e32 v7, v4, v7
	s_delay_alu instid0(VALU_DEP_3) | instskip(NEXT) | instid1(VALU_DEP_2)
	v_lshrrev_b32_e32 v0, s35, v0
	v_lshrrev_b32_e32 v7, s35, v7
	s_delay_alu instid0(VALU_DEP_2) | instskip(SKIP_4) | instid1(VALU_DEP_4)
	v_mul_lo_u32 v9, v0, s8
	v_mov_b32_e32 v0, 0
	v_add_nc_u32_e32 v6, v3, v6
	v_lshrrev_b32_e32 v5, s35, v5
	v_mul_lo_u32 v7, v7, s8
	v_dual_mov_b32 v8, v0 :: v_dual_lshlrev_b32 v237, 2, v8
	v_mov_b32_e32 v10, v0
	v_sub_nc_u32_e32 v236, v1, v9
	v_mov_b32_e32 v1, v0
	v_lshrrev_b32_e32 v6, s35, v6
	v_mul_lo_u32 v5, v5, s8
	v_sub_nc_u32_e32 v233, v4, v7
	v_mov_b32_e32 v4, v0
	v_mov_b32_e32 v7, v0
	v_mul_lo_u32 v6, v6, s8
	v_mov_b32_e32 v9, v0
	v_mov_b32_e32 v11, v0
	;; [unrolled: 1-line block ×3, first 2 shown]
	v_sub_nc_u32_e32 v235, v2, v5
	v_mov_b32_e32 v2, v0
	v_mov_b32_e32 v5, v0
	;; [unrolled: 1-line block ×3, first 2 shown]
	v_sub_nc_u32_e32 v234, v3, v6
	v_mov_b32_e32 v3, v0
	v_mov_b32_e32 v6, v0
	v_mov_b32_e32 v14, v0
	v_mov_b32_e32 v15, v0
	s_waitcnt vmcnt(0)
	v_add_co_u32 v238, vcc_lo, v48, s1
	scratch_load_b32 v48, off, off offset:40 ; 4-byte Folded Reload
	s_waitcnt vmcnt(0)
	v_add_co_ci_u32_e32 v239, vcc_lo, s4, v48, vcc_lo
	scratch_load_b32 v48, off, off offset:44 ; 4-byte Folded Reload
	s_waitcnt vmcnt(0)
	v_add_co_u32 v240, vcc_lo, v48, s1
	scratch_load_b32 v48, off, off offset:48 ; 4-byte Folded Reload
	s_waitcnt vmcnt(0)
	v_add_co_ci_u32_e32 v241, vcc_lo, s4, v48, vcc_lo
	scratch_load_b32 v48, off, off offset:52 ; 4-byte Folded Reload
	s_waitcnt vmcnt(0)
	v_add_co_u32 v242, vcc_lo, v48, s1
	scratch_load_b32 v48, off, off offset:56 ; 4-byte Folded Reload
	s_waitcnt vmcnt(0)
	v_add_co_ci_u32_e32 v243, vcc_lo, s4, v48, vcc_lo
	scratch_load_b32 v48, off, off offset:60 ; 4-byte Folded Reload
	s_waitcnt vmcnt(0)
	v_add_co_u32 v244, vcc_lo, v48, s1
	scratch_load_b32 v48, off, off offset:64 ; 4-byte Folded Reload
	s_waitcnt vmcnt(0)
	v_add_co_ci_u32_e32 v245, vcc_lo, s4, v48, vcc_lo
	scratch_load_b32 v48, off, off offset:68 ; 4-byte Folded Reload
	s_waitcnt vmcnt(0)
	v_add_co_u32 v246, vcc_lo, v48, s5
	scratch_load_b32 v48, off, off offset:72 ; 4-byte Folded Reload
	s_waitcnt vmcnt(0)
	v_add_co_ci_u32_e32 v247, vcc_lo, s7, v48, vcc_lo
	scratch_load_b32 v48, off, off offset:76 ; 4-byte Folded Reload
	s_waitcnt vmcnt(0)
	v_add_co_u32 v248, vcc_lo, v48, s5
	scratch_load_b32 v48, off, off offset:80 ; 4-byte Folded Reload
	s_waitcnt vmcnt(0)
	v_add_co_ci_u32_e32 v249, vcc_lo, s7, v48, vcc_lo
	scratch_load_b32 v48, off, off offset:84 ; 4-byte Folded Reload
	s_waitcnt vmcnt(0)
	v_add_co_u32 v250, vcc_lo, v48, s5
	scratch_load_b32 v48, off, off offset:88 ; 4-byte Folded Reload
	s_waitcnt vmcnt(0)
	v_add_co_ci_u32_e32 v251, vcc_lo, s7, v48, vcc_lo
	scratch_load_b32 v48, off, off offset:92 ; 4-byte Folded Reload
	s_waitcnt vmcnt(0)
	v_add_co_u32 v252, vcc_lo, v48, s5
	scratch_load_b32 v48, off, off offset:96 ; 4-byte Folded Reload
	v_readlane_b32 s4, v255, 20
	v_readlane_b32 s5, v255, 21
	s_delay_alu instid0(VALU_DEP_2)
	v_mad_i64_i32 v[85:86], null, s4, v236, s[2:3]
	v_mad_i64_i32 v[87:88], null, s4, v235, s[2:3]
	;; [unrolled: 1-line block ×4, first 2 shown]
	s_waitcnt vmcnt(0)
	v_add_co_ci_u32_e32 v253, vcc_lo, s7, v48, vcc_lo
.LBB0_254:                              ;   Parent Loop BB0_14 Depth=1
                                        ; =>  This Inner Loop Header: Depth=2
	v_add_co_u32 v48, vcc_lo, v85, v148
	v_add_co_ci_u32_e32 v49, vcc_lo, 0, v86, vcc_lo
	v_dual_mov_b32 v116, s43 :: v_dual_add_nc_u32 v51, v154, v147
	v_dual_mov_b32 v115, s42 :: v_dual_mov_b32 v110, s37
	global_load_b32 v50, v[48:49], off
	v_add_co_u32 v48, vcc_lo, v87, v148
	v_add_co_ci_u32_e32 v49, vcc_lo, 0, v88, vcc_lo
	v_dual_mov_b32 v113, s40 :: v_dual_mov_b32 v114, s41
	v_mov_b32_e32 v111, s38
	global_load_b32 v48, v[48:49], off
	v_add_nc_u32_e32 v49, 0x2400, v51
	v_mov_b32_e32 v109, s36
	v_cmp_eq_u32_e64 s2, 1, v149
	v_cmp_eq_u32_e64 s3, 0, v149
	s_add_i32 s6, s6, -1
	v_mov_b32_e32 v112, s39
	s_cmp_lg_u32 s6, 0
	s_waitcnt vmcnt(0)
	ds_store_2addr_b32 v49, v50, v48 offset1:144
	v_add_co_u32 v48, vcc_lo, v89, v148
	v_add_co_ci_u32_e32 v49, vcc_lo, 0, v90, vcc_lo
	global_load_b32 v50, v[48:49], off
	v_add_co_u32 v48, vcc_lo, v91, v148
	v_add_co_ci_u32_e32 v49, vcc_lo, 0, v92, vcc_lo
	global_load_b32 v48, v[48:49], off
	v_add_nc_u32_e32 v49, 0x2800, v51
	s_waitcnt vmcnt(0)
	ds_store_2addr_b32 v49, v50, v48 offset0:32 offset1:176
	v_add_co_u32 v48, vcc_lo, v246, v194
	v_add_co_ci_u32_e32 v49, vcc_lo, 0, v247, vcc_lo
	v_add_co_u32 v52, vcc_lo, v248, v194
	v_add_co_ci_u32_e32 v53, vcc_lo, 0, v249, vcc_lo
	global_load_b128 v[48:51], v[48:49], off
	global_load_b128 v[52:55], v[52:53], off
	s_waitcnt vmcnt(1)
	ds_store_b128 v153, v[48:51]
	s_waitcnt vmcnt(0)
	ds_store_b128 v155, v[52:55]
	v_add_co_u32 v48, vcc_lo, v250, v194
	v_add_co_ci_u32_e32 v49, vcc_lo, 0, v251, vcc_lo
	v_add_co_u32 v52, vcc_lo, v252, v194
	v_add_co_ci_u32_e32 v53, vcc_lo, 0, v253, vcc_lo
	global_load_b128 v[48:51], v[48:49], off
	global_load_b128 v[52:55], v[52:53], off
	s_waitcnt vmcnt(1)
	ds_store_b128 v156, v[48:51]
	s_waitcnt vmcnt(0)
	ds_store_b128 v157, v[52:55]
	s_waitcnt lgkmcnt(0)
	s_waitcnt_vscnt null, 0x0
	s_barrier
	buffer_gl0_inv
	ds_load_b128 v[48:51], v150
	ds_load_b128 v[52:55], v150 offset:16
	ds_load_b128 v[56:59], v150 offset:2304
	;; [unrolled: 1-line block ×7, first 2 shown]
	s_waitcnt lgkmcnt(6)
	v_wmma_f32_16x16x16_f16 v[125:132], v[48:55], v[40:47], v[109:116]
	ds_load_b128 v[48:51], v150 offset:32
	ds_load_b128 v[52:55], v150 offset:48
	s_waitcnt lgkmcnt(6)
	v_wmma_f32_16x16x16_f16 v[204:211], v[56:63], v[40:47], v[109:116]
	s_waitcnt lgkmcnt(4)
	v_wmma_f32_16x16x16_f16 v[56:63], v[93:100], v[40:47], v[109:116]
	;; [unrolled: 2-line block ×4, first 2 shown]
	ds_load_b128 v[48:51], v150 offset:2336
	ds_load_b128 v[52:55], v150 offset:2352
	s_waitcnt lgkmcnt(0)
	v_wmma_f32_16x16x16_f16 v[204:211], v[48:55], v[16:23], v[204:211]
	ds_load_b128 v[48:51], v150 offset:4640
	ds_load_b128 v[52:55], v150 offset:4656
	s_waitcnt lgkmcnt(0)
	v_wmma_f32_16x16x16_f16 v[56:63], v[48:55], v[16:23], v[56:63]
	;; [unrolled: 4-line block ×10, first 2 shown]
	ds_load_b128 v[48:51], v150 offset:7008
	ds_load_b128 v[52:55], v150 offset:7024
	s_waitcnt lgkmcnt(0)
	s_barrier
	buffer_gl0_inv
	v_wmma_f32_16x16x16_f16 v[93:100], v[48:55], v[32:39], v[93:100]
	ds_load_u16 v48, v158
	ds_load_u16 v49, v158 offset:4
	ds_load_u16 v50, v158 offset:8
	;; [unrolled: 1-line block ×15, first 2 shown]
	s_waitcnt lgkmcnt(15)
	v_cvt_f32_f16_e32 v48, v48
	s_waitcnt lgkmcnt(7)
	v_cvt_f32_f16_e32 v66, v66
	;; [unrolled: 2-line block ×3, first 2 shown]
	v_cvt_f32_f16_e32 v51, v51
	s_waitcnt lgkmcnt(5)
	v_cvt_f32_f16_e32 v101, v101
	v_cvt_f32_f16_e32 v53, v53
	s_waitcnt lgkmcnt(4)
	v_cvt_f32_f16_e32 v102, v102
	;; [unrolled: 3-line block ×3, first 2 shown]
	s_waitcnt lgkmcnt(2)
	v_cvt_f32_f16_e32 v104, v104
	s_waitcnt lgkmcnt(1)
	v_cvt_f32_f16_e32 v105, v105
	;; [unrolled: 2-line block ×3, first 2 shown]
	v_add_f32_e32 v51, v128, v51
	v_dual_add_f32 v53, v130, v53 :: v_dual_add_f32 v190, v208, v103
	s_delay_alu instid0(VALU_DEP_3)
	v_dual_add_f32 v55, v132, v55 :: v_dual_add_f32 v136, v211, v106
	v_add_f32_e32 v203, v204, v66
	v_add_f32_e32 v205, v205, v67
	;; [unrolled: 1-line block ×3, first 2 shown]
	v_dual_add_f32 v199, v207, v102 :: v_dual_add_f32 v138, v209, v104
	v_add_f32_e32 v135, v210, v105
	ds_load_u16 v66, v158 offset:64
	ds_load_u16 v67, v158 offset:68
	;; [unrolled: 1-line block ×8, first 2 shown]
	v_cvt_f32_f16_e32 v49, v49
	v_cvt_f32_f16_e32 v52, v52
	v_cvt_f32_f16_e32 v54, v54
	v_add_f32_e32 v48, v125, v48
	v_cvt_f32_f16_e32 v50, v50
	s_delay_alu instid0(VALU_DEP_4) | instskip(NEXT) | instid1(VALU_DEP_4)
	v_dual_add_f32 v49, v126, v49 :: v_dual_add_f32 v52, v129, v52
	v_add_f32_e32 v54, v131, v54
	v_add_nc_u32_e32 v208, 0x800, v159
	s_delay_alu instid0(VALU_DEP_4)
	v_add_f32_e32 v50, v127, v50
	s_waitcnt lgkmcnt(7)
	v_cvt_f32_f16_e32 v66, v66
	s_waitcnt lgkmcnt(6)
	v_cvt_f32_f16_e32 v67, v67
	;; [unrolled: 2-line block ×8, first 2 shown]
	v_dual_add_f32 v133, v56, v66 :: v_dual_add_f32 v134, v57, v67
	v_dual_add_f32 v131, v58, v101 :: v_dual_add_f32 v130, v59, v102
	;; [unrolled: 1-line block ×3, first 2 shown]
	s_delay_alu instid0(VALU_DEP_4)
	v_dual_add_f32 v126, v62, v105 :: v_dual_add_f32 v125, v63, v106
	ds_load_u16 v56, v158 offset:96
	ds_load_u16 v57, v158 offset:100
	;; [unrolled: 1-line block ×8, first 2 shown]
	s_waitcnt lgkmcnt(7)
	v_cvt_f32_f16_e32 v56, v56
	s_waitcnt lgkmcnt(6)
	v_cvt_f32_f16_e32 v57, v57
	;; [unrolled: 2-line block ×6, first 2 shown]
	v_add_f32_e32 v187, v93, v56
	v_add_co_u32 v56, vcc_lo, v238, v194
	v_add_f32_e32 v142, v94, v57
	v_add_co_ci_u32_e32 v57, vcc_lo, 0, v239, vcc_lo
	v_add_f32_e32 v192, v97, v60
	v_add_co_u32 v60, vcc_lo, v240, v194
	s_waitcnt lgkmcnt(1)
	v_cvt_f32_f16_e32 v62, v62
	s_waitcnt lgkmcnt(0)
	v_cvt_f32_f16_e32 v63, v63
	v_add_f32_e32 v189, v98, v61
	v_add_co_ci_u32_e32 v61, vcc_lo, 0, v241, vcc_lo
	v_dual_add_f32 v191, v95, v58 :: v_dual_add_f32 v188, v96, v59
	s_delay_alu instid0(VALU_DEP_4)
	v_dual_add_f32 v193, v99, v62 :: v_dual_add_f32 v254, v100, v63
	global_load_b128 v[56:59], v[56:57], off
	global_load_b128 v[60:63], v[60:61], off
	s_waitcnt vmcnt(1)
	ds_store_b128 v153, v[56:59]
	s_waitcnt vmcnt(0)
	ds_store_b128 v155, v[60:63]
	v_add_co_u32 v56, vcc_lo, v242, v194
	v_add_co_ci_u32_e32 v57, vcc_lo, 0, v243, vcc_lo
	v_add_co_u32 v60, vcc_lo, v244, v194
	v_add_co_ci_u32_e32 v61, vcc_lo, 0, v245, vcc_lo
	global_load_b128 v[56:59], v[56:57], off
	global_load_b128 v[60:63], v[60:61], off
	s_waitcnt vmcnt(1)
	ds_store_b128 v156, v[56:59]
	s_waitcnt vmcnt(0)
	ds_store_b128 v157, v[60:63]
	v_dual_mov_b32 v56, v230 :: v_dual_add_f32 v57, 0x40051340, v48
	v_dual_add_f32 v58, 0x40051340, v49 :: v_dual_add_f32 v59, 0x40051340, v51
	v_add_nc_u32_e32 v63, 0x400, v159
	s_waitcnt lgkmcnt(0)
	s_barrier
	s_delay_alu instid0(VALU_DEP_2)
	v_max3_f32 v57, v56, v57, v58
	v_add_f32_e32 v58, 0x40051340, v50
	buffer_gl0_inv
	ds_load_2addr_b32 v[93:94], v159 offset1:16
	ds_load_2addr_b32 v[95:96], v159 offset0:36 offset1:52
	ds_load_2addr_b32 v[97:98], v159 offset0:72 offset1:88
	;; [unrolled: 1-line block ×6, first 2 shown]
	v_max3_f32 v57, v57, v58, v59
	v_dual_add_f32 v58, 0x40051340, v52 :: v_dual_add_f32 v59, 0x40051340, v53
	ds_load_2addr_b32 v[107:108], v63 offset0:12 offset1:32
	ds_load_2addr_b32 v[105:106], v63 offset0:68 offset1:84
	;; [unrolled: 1-line block ×7, first 2 shown]
	v_max3_f32 v57, v57, v58, v59
	v_dual_add_f32 v58, 0x40051340, v54 :: v_dual_add_f32 v59, 0x40051340, v55
	s_delay_alu instid0(VALU_DEP_1) | instskip(SKIP_1) | instid1(VALU_DEP_1)
	v_max3_f32 v57, v57, v58, v59
	v_dual_add_f32 v58, 0x40051340, v203 :: v_dual_add_f32 v59, 0x40051340, v205
	v_max3_f32 v57, v57, v58, v59
	v_dual_add_f32 v58, 0x40051340, v201 :: v_dual_add_f32 v59, 0x40051340, v199
	s_waitcnt lgkmcnt(2)
	v_perm_b32 v62, v120, v119, 0x5040100
	s_waitcnt lgkmcnt(0)
	v_perm_b32 v63, v118, v116, 0x5040100
	v_max3_f32 v57, v57, v58, v59
	v_add_f32_e32 v58, 0x40051340, v190
	v_add_f32_e32 v59, 0x40051340, v138
	s_delay_alu instid0(VALU_DEP_1) | instskip(SKIP_1) | instid1(VALU_DEP_1)
	v_max3_f32 v57, v57, v58, v59
	v_dual_add_f32 v58, 0x40051340, v135 :: v_dual_add_f32 v59, 0x40051340, v136
	v_max3_f32 v57, v57, v58, v59
	v_dual_add_f32 v58, 0x40051340, v133 :: v_dual_add_f32 v59, 0x40051340, v134
	s_delay_alu instid0(VALU_DEP_1) | instskip(SKIP_1) | instid1(VALU_DEP_1)
	v_max3_f32 v57, v57, v58, v59
	v_dual_add_f32 v58, 0x40051340, v131 :: v_dual_add_f32 v59, 0x40051340, v130
	v_max3_f32 v57, v57, v58, v59
	v_dual_add_f32 v58, 0x40051340, v129 :: v_dual_add_f32 v59, 0x40051340, v128
	;; [unrolled: 5-line block ×4, first 2 shown]
	s_delay_alu instid0(VALU_DEP_1) | instskip(SKIP_1) | instid1(VALU_DEP_1)
	v_max3_f32 v57, v57, v58, v59
	v_dual_add_f32 v58, 0x40051340, v193 :: v_dual_add_f32 v59, 0x40051340, v254
	v_max3_f32 v57, v57, v58, v59
	ds_bpermute_b32 v58, v237, v57
	s_waitcnt lgkmcnt(0)
	v_max_f32_e32 v58, v58, v58
	s_delay_alu instid0(VALU_DEP_1) | instskip(NEXT) | instid1(VALU_DEP_1)
	v_max_f32_e32 v230, v57, v58
	v_sub_f32_e32 v48, v48, v230
	v_sub_f32_e32 v49, v49, v230
	v_sub_f32_e32 v50, v50, v230
	v_sub_f32_e32 v56, v56, v230
	v_sub_f32_e32 v52, v52, v230
	v_sub_f32_e32 v51, v51, v230
	v_mul_f32_e32 v57, 0x3fb8aa3b, v49
	v_cmp_ngt_f32_e64 s4, 0xc2ce8ed0, v50
	v_sub_f32_e32 v53, v53, v230
	v_sub_f32_e32 v55, v55, v230
	;; [unrolled: 1-line block ×3, first 2 shown]
	v_fma_f32 v58, 0x3fb8aa3b, v49, -v57
	v_rndne_f32_e32 v59, v57
	s_delay_alu instid0(VALU_DEP_1) | instskip(SKIP_1) | instid1(VALU_DEP_2)
	v_dual_fmac_f32 v58, 0x32a5705f, v49 :: v_dual_sub_f32 v57, v57, v59
	v_cvt_i32_f32_e32 v59, v59
	v_dual_add_f32 v57, v57, v58 :: v_dual_mul_f32 v58, 0x3fb8aa3b, v48
	v_cmp_ngt_f32_e32 vcc_lo, 0xc2ce8ed0, v49
	s_delay_alu instid0(VALU_DEP_2) | instskip(SKIP_1) | instid1(VALU_DEP_2)
	v_fma_f32 v60, 0x3fb8aa3b, v48, -v58
	v_rndne_f32_e32 v61, v58
	v_fmac_f32_e32 v60, 0x32a5705f, v48
	s_delay_alu instid0(VALU_DEP_2) | instskip(SKIP_1) | instid1(VALU_DEP_1)
	v_sub_f32_e32 v58, v58, v61
	v_exp_f32_e32 v57, v57
	v_add_f32_e32 v58, v58, v60
	s_delay_alu instid0(VALU_DEP_1) | instskip(SKIP_3) | instid1(VALU_DEP_2)
	v_exp_f32_e32 v58, v58
	s_waitcnt_depctr 0xfff
	v_ldexp_f32 v57, v57, v59
	v_cvt_i32_f32_e32 v59, v61
	v_cndmask_b32_e32 v57, 0, v57, vcc_lo
	v_cmp_ngt_f32_e64 s1, 0xc2ce8ed0, v48
	v_cmp_nlt_f32_e32 vcc_lo, 0x42b17218, v49
	s_delay_alu instid0(VALU_DEP_4) | instskip(NEXT) | instid1(VALU_DEP_4)
	v_ldexp_f32 v58, v58, v59
	v_cndmask_b32_e32 v132, 0x7f800000, v57, vcc_lo
	v_cmp_eq_u32_e32 vcc_lo, 1, v152
	s_delay_alu instid0(VALU_DEP_3)
	v_cndmask_b32_e64 v49, 0, v58, s1
	v_cmp_nlt_f32_e64 s1, 0x42b17218, v48
	ds_bpermute_b32 v57, v237, v132
	v_cndmask_b32_e64 v127, 0x7f800000, v49, s1
	v_cmp_eq_u32_e64 s1, 0, v152
	ds_bpermute_b32 v48, v237, v127
	s_waitcnt lgkmcnt(0)
	v_cndmask_b32_e32 v49, v127, v48, vcc_lo
	v_cndmask_b32_e64 v48, v127, v48, s1
	s_delay_alu instid0(VALU_DEP_2) | instskip(NEXT) | instid1(VALU_DEP_2)
	v_cndmask_b32_e64 v59, v49, v132, s2
	v_cndmask_b32_e64 v58, v48, v132, s3
	v_cvt_f16_f32_e32 v48, v48
	v_cvt_f16_f32_e32 v49, v49
	s_delay_alu instid0(VALU_DEP_3) | instskip(SKIP_1) | instid1(VALU_DEP_3)
	v_cndmask_b32_e64 v58, v58, v57, s1
	v_cndmask_b32_e32 v57, v59, v57, vcc_lo
	v_pack_b32_f16 v48, v48, v49
	s_delay_alu instid0(VALU_DEP_3) | instskip(NEXT) | instid1(VALU_DEP_3)
	v_cvt_f16_f32_e32 v59, v58
	v_cvt_f16_f32_e32 v60, v57
	s_delay_alu instid0(VALU_DEP_1) | instskip(SKIP_1) | instid1(VALU_DEP_1)
	v_pack_b32_f16 v49, v59, v60
	v_mul_f32_e32 v59, 0x3fb8aa3b, v50
	v_fma_f32 v60, 0x3fb8aa3b, v50, -v59
	v_rndne_f32_e32 v61, v59
	s_delay_alu instid0(VALU_DEP_1) | instskip(NEXT) | instid1(VALU_DEP_1)
	v_dual_fmac_f32 v60, 0x32a5705f, v50 :: v_dual_sub_f32 v59, v59, v61
	v_add_f32_e32 v59, v59, v60
	v_cvt_i32_f32_e32 v60, v61
	s_delay_alu instid0(VALU_DEP_2) | instskip(SKIP_2) | instid1(VALU_DEP_1)
	v_exp_f32_e32 v59, v59
	s_waitcnt_depctr 0xfff
	v_ldexp_f32 v59, v59, v60
	v_cndmask_b32_e64 v59, 0, v59, s4
	v_cmp_nlt_f32_e64 s4, 0x42b17218, v50
	s_delay_alu instid0(VALU_DEP_1) | instskip(SKIP_1) | instid1(VALU_DEP_2)
	v_cndmask_b32_e64 v196, 0x7f800000, v59, s4
	v_cmp_ngt_f32_e64 s4, 0xc2ce8ed0, v51
	v_cndmask_b32_e64 v50, v58, v196, s3
	ds_bpermute_b32 v58, v237, v196
	v_cndmask_b32_e64 v57, v57, v196, s2
	s_waitcnt lgkmcnt(0)
	v_cndmask_b32_e64 v59, v50, v58, s1
	s_delay_alu instid0(VALU_DEP_2) | instskip(NEXT) | instid1(VALU_DEP_2)
	v_cndmask_b32_e32 v57, v57, v58, vcc_lo
	v_cvt_f16_f32_e32 v50, v59
	s_delay_alu instid0(VALU_DEP_2) | instskip(NEXT) | instid1(VALU_DEP_1)
	v_cvt_f16_f32_e32 v58, v57
	v_pack_b32_f16 v50, v50, v58
	v_mul_f32_e32 v58, 0x3fb8aa3b, v51
	s_delay_alu instid0(VALU_DEP_1) | instskip(SKIP_1) | instid1(VALU_DEP_2)
	v_fma_f32 v60, 0x3fb8aa3b, v51, -v58
	v_rndne_f32_e32 v61, v58
	v_fmac_f32_e32 v60, 0x32a5705f, v51
	s_delay_alu instid0(VALU_DEP_2) | instskip(NEXT) | instid1(VALU_DEP_1)
	v_sub_f32_e32 v58, v58, v61
	v_add_f32_e32 v58, v58, v60
	v_cvt_i32_f32_e32 v60, v61
	s_delay_alu instid0(VALU_DEP_2) | instskip(SKIP_2) | instid1(VALU_DEP_1)
	v_exp_f32_e32 v58, v58
	s_waitcnt_depctr 0xfff
	v_ldexp_f32 v58, v58, v60
	v_cndmask_b32_e64 v58, 0, v58, s4
	v_cmp_nlt_f32_e64 s4, 0x42b17218, v51
	s_delay_alu instid0(VALU_DEP_1)
	v_cndmask_b32_e64 v198, 0x7f800000, v58, s4
	v_cmp_ngt_f32_e64 s4, 0xc2ce8ed0, v52
	ds_bpermute_b32 v58, v237, v198
	v_cndmask_b32_e64 v51, v59, v198, s3
	v_cndmask_b32_e64 v57, v57, v198, s2
	s_waitcnt lgkmcnt(0)
	s_delay_alu instid0(VALU_DEP_2) | instskip(NEXT) | instid1(VALU_DEP_2)
	v_cndmask_b32_e64 v59, v51, v58, s1
	v_cndmask_b32_e32 v57, v57, v58, vcc_lo
	s_delay_alu instid0(VALU_DEP_2) | instskip(NEXT) | instid1(VALU_DEP_2)
	v_cvt_f16_f32_e32 v51, v59
	v_cvt_f16_f32_e32 v58, v57
	s_delay_alu instid0(VALU_DEP_1) | instskip(SKIP_1) | instid1(VALU_DEP_1)
	v_pack_b32_f16 v51, v51, v58
	v_mul_f32_e32 v58, 0x3fb8aa3b, v52
	v_fma_f32 v60, 0x3fb8aa3b, v52, -v58
	v_rndne_f32_e32 v61, v58
	s_delay_alu instid0(VALU_DEP_2) | instskip(NEXT) | instid1(VALU_DEP_2)
	v_fmac_f32_e32 v60, 0x32a5705f, v52
	v_sub_f32_e32 v58, v58, v61
	s_delay_alu instid0(VALU_DEP_1) | instskip(SKIP_1) | instid1(VALU_DEP_2)
	v_add_f32_e32 v58, v58, v60
	v_cvt_i32_f32_e32 v60, v61
	v_exp_f32_e32 v58, v58
	s_waitcnt_depctr 0xfff
	v_ldexp_f32 v58, v58, v60
	s_delay_alu instid0(VALU_DEP_1) | instskip(SKIP_1) | instid1(VALU_DEP_1)
	v_cndmask_b32_e64 v58, 0, v58, s4
	v_cmp_nlt_f32_e64 s4, 0x42b17218, v52
	v_cndmask_b32_e64 v200, 0x7f800000, v58, s4
	v_cmp_ngt_f32_e64 s4, 0xc2ce8ed0, v53
	ds_bpermute_b32 v58, v237, v200
	v_cndmask_b32_e64 v52, v59, v200, s3
	v_cndmask_b32_e64 v57, v57, v200, s2
	s_waitcnt lgkmcnt(0)
	s_delay_alu instid0(VALU_DEP_2) | instskip(NEXT) | instid1(VALU_DEP_2)
	v_cndmask_b32_e64 v59, v52, v58, s1
	v_cndmask_b32_e32 v57, v57, v58, vcc_lo
	s_delay_alu instid0(VALU_DEP_2) | instskip(NEXT) | instid1(VALU_DEP_2)
	v_cvt_f16_f32_e32 v52, v59
	v_cvt_f16_f32_e32 v58, v57
	s_delay_alu instid0(VALU_DEP_1) | instskip(SKIP_1) | instid1(VALU_DEP_1)
	v_pack_b32_f16 v52, v52, v58
	v_mul_f32_e32 v58, 0x3fb8aa3b, v53
	v_fma_f32 v60, 0x3fb8aa3b, v53, -v58
	v_rndne_f32_e32 v61, v58
	s_delay_alu instid0(VALU_DEP_2) | instskip(NEXT) | instid1(VALU_DEP_2)
	v_fmac_f32_e32 v60, 0x32a5705f, v53
	v_sub_f32_e32 v58, v58, v61
	s_delay_alu instid0(VALU_DEP_1) | instskip(SKIP_1) | instid1(VALU_DEP_2)
	v_add_f32_e32 v58, v58, v60
	v_cvt_i32_f32_e32 v60, v61
	v_exp_f32_e32 v58, v58
	s_waitcnt_depctr 0xfff
	v_ldexp_f32 v58, v58, v60
	s_delay_alu instid0(VALU_DEP_1) | instskip(SKIP_1) | instid1(VALU_DEP_1)
	v_cndmask_b32_e64 v58, 0, v58, s4
	v_cmp_nlt_f32_e64 s4, 0x42b17218, v53
	;; [unrolled: 29-line block ×3, first 2 shown]
	v_cndmask_b32_e64 v204, 0x7f800000, v58, s4
	v_cmp_ngt_f32_e64 s4, 0xc2ce8ed0, v55
	ds_bpermute_b32 v58, v237, v204
	v_cndmask_b32_e64 v54, v59, v204, s3
	v_cndmask_b32_e64 v57, v57, v204, s2
	s_waitcnt lgkmcnt(0)
	s_delay_alu instid0(VALU_DEP_2) | instskip(NEXT) | instid1(VALU_DEP_2)
	v_cndmask_b32_e64 v59, v54, v58, s1
	v_cndmask_b32_e32 v57, v57, v58, vcc_lo
	s_delay_alu instid0(VALU_DEP_2) | instskip(NEXT) | instid1(VALU_DEP_2)
	v_cvt_f16_f32_e32 v54, v59
	v_cvt_f16_f32_e32 v58, v57
	s_delay_alu instid0(VALU_DEP_1) | instskip(SKIP_1) | instid1(VALU_DEP_1)
	v_pack_b32_f16 v54, v54, v58
	v_mul_f32_e32 v58, 0x3fb8aa3b, v55
	v_fma_f32 v60, 0x3fb8aa3b, v55, -v58
	v_rndne_f32_e32 v61, v58
	s_delay_alu instid0(VALU_DEP_2) | instskip(NEXT) | instid1(VALU_DEP_2)
	v_fmac_f32_e32 v60, 0x32a5705f, v55
	v_sub_f32_e32 v58, v58, v61
	s_delay_alu instid0(VALU_DEP_1) | instskip(SKIP_2) | instid1(VALU_DEP_3)
	v_add_f32_e32 v58, v58, v60
	v_cvt_i32_f32_e32 v60, v61
	v_perm_b32 v61, v111, v109, 0x5040100
	v_exp_f32_e32 v58, v58
	s_waitcnt_depctr 0xfff
	v_ldexp_f32 v58, v58, v60
	v_perm_b32 v60, v105, v108, 0x5040100
	s_delay_alu instid0(VALU_DEP_2) | instskip(SKIP_1) | instid1(VALU_DEP_1)
	v_cndmask_b32_e64 v58, 0, v58, s4
	v_cmp_nlt_f32_e64 s4, 0x42b17218, v55
	v_cndmask_b32_e64 v206, 0x7f800000, v58, s4
	v_cmp_ngt_f32_e64 s4, 0xc2ce8ed0, v56
	ds_bpermute_b32 v58, v237, v206
	v_cndmask_b32_e64 v55, v59, v206, s3
	v_cndmask_b32_e64 v57, v57, v206, s2
	s_waitcnt lgkmcnt(0)
	s_delay_alu instid0(VALU_DEP_2) | instskip(NEXT) | instid1(VALU_DEP_2)
	v_cndmask_b32_e64 v55, v55, v58, s1
	v_cndmask_b32_e32 v57, v57, v58, vcc_lo
	s_delay_alu instid0(VALU_DEP_2) | instskip(NEXT) | instid1(VALU_DEP_2)
	v_cvt_f16_f32_e32 v55, v55
	v_cvt_f16_f32_e32 v57, v57
	s_delay_alu instid0(VALU_DEP_1) | instskip(SKIP_1) | instid1(VALU_DEP_1)
	v_pack_b32_f16 v55, v55, v57
	v_mul_f32_e32 v57, 0x3fb8aa3b, v56
	v_fma_f32 v58, 0x3fb8aa3b, v56, -v57
	v_rndne_f32_e32 v59, v57
	s_delay_alu instid0(VALU_DEP_1) | instskip(NEXT) | instid1(VALU_DEP_1)
	v_dual_fmac_f32 v58, 0x32a5705f, v56 :: v_dual_sub_f32 v57, v57, v59
	v_add_f32_e32 v57, v57, v58
	v_cvt_i32_f32_e32 v58, v59
	v_perm_b32 v59, v104, v102, 0x5040100
	s_delay_alu instid0(VALU_DEP_3) | instskip(SKIP_3) | instid1(VALU_DEP_2)
	v_exp_f32_e32 v57, v57
	s_waitcnt_depctr 0xfff
	v_ldexp_f32 v57, v57, v58
	v_perm_b32 v58, v114, v113, 0x5040100
	v_cndmask_b32_e64 v57, 0, v57, s4
	v_cmp_nlt_f32_e64 s4, 0x42b17218, v56
	s_delay_alu instid0(VALU_DEP_1) | instskip(SKIP_2) | instid1(VALU_DEP_2)
	v_cndmask_b32_e64 v57, 0x7f800000, v57, s4
	v_cmp_le_f32_e64 s4, 0xc1a00000, v56
	v_perm_b32 v56, v95, v93, 0x5040100
	v_cndmask_b32_e64 v207, 0, v57, s4
	v_perm_b32 v57, v99, v97, 0x5040100
	s_delay_alu instid0(VALU_DEP_2) | instskip(NEXT) | instid1(VALU_DEP_1)
	v_cvt_f16_f32_e64 v66, v207
	v_pk_mul_f16 v0, v66, v0 op_sel_hi:[0,1]
	v_pk_mul_f16 v1, v66, v1 op_sel_hi:[0,1]
	;; [unrolled: 1-line block ×12, first 2 shown]
	v_wmma_f16_16x16x16_f16 v[0:7], v[56:63], v[48:55], v[0:7]
	v_add_nc_u32_e32 v58, 0x200, v163
	v_pk_mul_f16 v12, v66, v12 op_sel_hi:[0,1]
	v_pk_mul_f16 v13, v66, v13 op_sel_hi:[0,1]
	;; [unrolled: 1-line block ×4, first 2 shown]
	ds_load_2addr_b32 v[121:122], v58 offset0:16 offset1:160
	ds_load_b32 v209, v163 offset:1728
	ds_load_b32 v210, v164 offset:1728
	;; [unrolled: 1-line block ×5, first 2 shown]
	ds_load_2addr_b32 v[66:67], v208 offset0:44 offset1:64
	v_perm_b32 v56, v96, v94, 0x5040100
	v_perm_b32 v57, v100, v98, 0x5040100
	v_perm_b32 v59, v107, v103, 0x5040100
	v_perm_b32 v61, v112, v110, 0x5040100
	s_waitcnt lgkmcnt(5)
	v_perm_b32 v62, v115, v209, 0x5040100
	v_perm_b32 v58, v101, v121, 0x5040100
	;; [unrolled: 1-line block ×3, first 2 shown]
	s_waitcnt lgkmcnt(0)
	v_perm_b32 v63, v66, v117, 0x5040100
	s_delay_alu instid0(VALU_DEP_1)
	v_wmma_f16_16x16x16_f16 v[8:15], v[56:63], v[48:55], v[8:15]
	v_perm_b32 v58, v114, v113, 0x7060302
	v_perm_b32 v62, v120, v119, 0x7060302
	;; [unrolled: 1-line block ×8, first 2 shown]
	s_delay_alu instid0(VALU_DEP_1)
	v_wmma_f16_16x16x16_f16 v[0:7], v[56:63], v[48:55], v[0:7] op_sel:[0,0,1]
	v_perm_b32 v56, v96, v94, 0x7060302
	v_perm_b32 v57, v100, v98, 0x7060302
	;; [unrolled: 1-line block ×8, first 2 shown]
	ds_load_2addr_b32 v[101:102], v208 offset0:80 offset1:100
	ds_load_2addr_b32 v[103:104], v208 offset0:116 offset1:136
	;; [unrolled: 1-line block ×3, first 2 shown]
	v_wmma_f16_16x16x16_f16 v[8:15], v[56:63], v[48:55], v[8:15] op_sel:[0,0,1]
	v_dual_sub_f32 v48, v205, v230 :: v_dual_add_nc_u32 v205, 0x1800, v159
	s_delay_alu instid0(VALU_DEP_1) | instskip(SKIP_1) | instid1(VALU_DEP_2)
	v_mul_f32_e32 v49, 0x3fb8aa3b, v48
	v_cmp_ngt_f32_e64 s4, 0xc2ce8ed0, v48
	v_fma_f32 v50, 0x3fb8aa3b, v48, -v49
	v_rndne_f32_e32 v51, v49
	s_delay_alu instid0(VALU_DEP_1) | instskip(SKIP_1) | instid1(VALU_DEP_2)
	v_dual_fmac_f32 v50, 0x32a5705f, v48 :: v_dual_sub_f32 v49, v49, v51
	v_cvt_i32_f32_e32 v51, v51
	v_add_f32_e32 v49, v49, v50
	v_sub_f32_e32 v50, v203, v230
	s_delay_alu instid0(VALU_DEP_2) | instskip(NEXT) | instid1(VALU_DEP_1)
	v_exp_f32_e32 v49, v49
	v_mul_f32_e32 v52, 0x3fb8aa3b, v50
	v_cmp_ngt_f32_e64 s5, 0xc2ce8ed0, v50
	s_delay_alu instid0(VALU_DEP_2)
	v_fma_f32 v53, 0x3fb8aa3b, v50, -v52
	v_rndne_f32_e32 v54, v52
	s_waitcnt_depctr 0xfff
	v_ldexp_f32 v49, v49, v51
	v_fmac_f32_e32 v53, 0x32a5705f, v50
	v_sub_f32_e32 v52, v52, v54
	v_cvt_i32_f32_e32 v51, v54
	s_delay_alu instid0(VALU_DEP_4) | instskip(SKIP_1) | instid1(VALU_DEP_4)
	v_cndmask_b32_e64 v49, 0, v49, s4
	v_cmp_nlt_f32_e64 s4, 0x42b17218, v48
	v_add_f32_e32 v52, v52, v53
	s_delay_alu instid0(VALU_DEP_2) | instskip(NEXT) | instid1(VALU_DEP_2)
	v_cndmask_b32_e64 v49, 0x7f800000, v49, s4
	v_exp_f32_e32 v52, v52
	s_waitcnt_depctr 0xfff
	v_ldexp_f32 v51, v52, v51
	ds_bpermute_b32 v52, v237, v49
	v_cndmask_b32_e64 v48, 0, v51, s5
	v_cmp_nlt_f32_e64 s5, 0x42b17218, v50
	s_delay_alu instid0(VALU_DEP_1) | instskip(SKIP_4) | instid1(VALU_DEP_2)
	v_cndmask_b32_e64 v48, 0x7f800000, v48, s5
	ds_bpermute_b32 v50, v237, v48
	s_waitcnt lgkmcnt(0)
	v_cndmask_b32_e32 v51, v48, v50, vcc_lo
	v_cndmask_b32_e64 v50, v48, v50, s1
	v_cndmask_b32_e64 v54, v51, v49, s2
	s_delay_alu instid0(VALU_DEP_2) | instskip(SKIP_2) | instid1(VALU_DEP_3)
	v_cndmask_b32_e64 v53, v50, v49, s3
	v_cvt_f16_f32_e32 v50, v50
	v_cvt_f16_f32_e32 v51, v51
	v_cndmask_b32_e64 v53, v53, v52, s1
	v_cndmask_b32_e32 v52, v54, v52, vcc_lo
	s_delay_alu instid0(VALU_DEP_3) | instskip(SKIP_1) | instid1(VALU_DEP_4)
	v_pack_b32_f16 v56, v50, v51
	v_dual_sub_f32 v50, v201, v230 :: v_dual_add_nc_u32 v201, 0x1000, v159
	v_cvt_f16_f32_e32 v54, v53
	s_delay_alu instid0(VALU_DEP_4) | instskip(NEXT) | instid1(VALU_DEP_3)
	v_cvt_f16_f32_e32 v55, v52
	v_mul_f32_e32 v51, 0x3fb8aa3b, v50
	v_cmp_ngt_f32_e64 s4, 0xc2ce8ed0, v50
	s_delay_alu instid0(VALU_DEP_3) | instskip(NEXT) | instid1(VALU_DEP_3)
	v_pack_b32_f16 v57, v54, v55
	v_fma_f32 v54, 0x3fb8aa3b, v50, -v51
	v_rndne_f32_e32 v55, v51
	s_delay_alu instid0(VALU_DEP_1) | instskip(NEXT) | instid1(VALU_DEP_1)
	v_dual_fmac_f32 v54, 0x32a5705f, v50 :: v_dual_sub_f32 v51, v51, v55
	v_add_f32_e32 v51, v51, v54
	v_cvt_i32_f32_e32 v54, v55
	s_delay_alu instid0(VALU_DEP_2) | instskip(SKIP_2) | instid1(VALU_DEP_1)
	v_exp_f32_e32 v51, v51
	s_waitcnt_depctr 0xfff
	v_ldexp_f32 v51, v51, v54
	v_cndmask_b32_e64 v51, 0, v51, s4
	v_cmp_nlt_f32_e64 s4, 0x42b17218, v50
	s_delay_alu instid0(VALU_DEP_1) | instskip(NEXT) | instid1(VALU_DEP_1)
	v_cndmask_b32_e64 v50, 0x7f800000, v51, s4
	v_cndmask_b32_e64 v51, v53, v50, s3
	ds_bpermute_b32 v53, v237, v50
	v_cndmask_b32_e64 v52, v52, v50, s2
	s_waitcnt lgkmcnt(0)
	v_cndmask_b32_e64 v54, v51, v53, s1
	s_delay_alu instid0(VALU_DEP_2) | instskip(NEXT) | instid1(VALU_DEP_2)
	v_cndmask_b32_e32 v52, v52, v53, vcc_lo
	v_cvt_f16_f32_e32 v51, v54
	s_delay_alu instid0(VALU_DEP_2) | instskip(NEXT) | instid1(VALU_DEP_1)
	v_cvt_f16_f32_e32 v53, v52
	v_pack_b32_f16 v58, v51, v53
	v_sub_f32_e32 v51, v199, v230
	s_delay_alu instid0(VALU_DEP_1) | instskip(SKIP_1) | instid1(VALU_DEP_2)
	v_mul_f32_e32 v53, 0x3fb8aa3b, v51
	v_cmp_ngt_f32_e64 s4, 0xc2ce8ed0, v51
	v_fma_f32 v55, 0x3fb8aa3b, v51, -v53
	v_rndne_f32_e32 v59, v53
	s_delay_alu instid0(VALU_DEP_2) | instskip(NEXT) | instid1(VALU_DEP_2)
	v_fmac_f32_e32 v55, 0x32a5705f, v51
	v_sub_f32_e32 v53, v53, v59
	s_delay_alu instid0(VALU_DEP_1) | instskip(SKIP_1) | instid1(VALU_DEP_2)
	v_add_f32_e32 v53, v53, v55
	v_cvt_i32_f32_e32 v55, v59
	v_exp_f32_e32 v53, v53
	s_waitcnt_depctr 0xfff
	v_ldexp_f32 v53, v53, v55
	s_delay_alu instid0(VALU_DEP_1) | instskip(SKIP_1) | instid1(VALU_DEP_1)
	v_cndmask_b32_e64 v53, 0, v53, s4
	v_cmp_nlt_f32_e64 s4, 0x42b17218, v51
	v_cndmask_b32_e64 v51, 0x7f800000, v53, s4
	s_delay_alu instid0(VALU_DEP_1) | instskip(SKIP_4) | instid1(VALU_DEP_2)
	v_cndmask_b32_e64 v53, v54, v51, s3
	ds_bpermute_b32 v54, v237, v51
	v_cndmask_b32_e64 v52, v52, v51, s2
	s_waitcnt lgkmcnt(0)
	v_cndmask_b32_e64 v53, v53, v54, s1
	v_cndmask_b32_e32 v54, v52, v54, vcc_lo
	s_delay_alu instid0(VALU_DEP_2) | instskip(NEXT) | instid1(VALU_DEP_2)
	v_cvt_f16_f32_e32 v52, v53
	v_cvt_f16_f32_e32 v55, v54
	s_delay_alu instid0(VALU_DEP_1) | instskip(SKIP_1) | instid1(VALU_DEP_1)
	v_pack_b32_f16 v59, v52, v55
	v_sub_f32_e32 v52, v190, v230
	v_mul_f32_e32 v55, 0x3fb8aa3b, v52
	v_cmp_ngt_f32_e64 s4, 0xc2ce8ed0, v52
	s_delay_alu instid0(VALU_DEP_2) | instskip(SKIP_1) | instid1(VALU_DEP_1)
	v_fma_f32 v60, 0x3fb8aa3b, v52, -v55
	v_rndne_f32_e32 v61, v55
	v_dual_fmac_f32 v60, 0x32a5705f, v52 :: v_dual_sub_f32 v55, v55, v61
	s_delay_alu instid0(VALU_DEP_1) | instskip(SKIP_1) | instid1(VALU_DEP_2)
	v_add_f32_e32 v55, v55, v60
	v_cvt_i32_f32_e32 v60, v61
	v_exp_f32_e32 v55, v55
	s_waitcnt_depctr 0xfff
	v_ldexp_f32 v55, v55, v60
	s_delay_alu instid0(VALU_DEP_1) | instskip(SKIP_1) | instid1(VALU_DEP_1)
	v_cndmask_b32_e64 v55, 0, v55, s4
	v_cmp_nlt_f32_e64 s4, 0x42b17218, v52
	v_cndmask_b32_e64 v52, 0x7f800000, v55, s4
	ds_bpermute_b32 v55, v237, v52
	v_cndmask_b32_e64 v53, v53, v52, s3
	v_cndmask_b32_e64 v54, v54, v52, s2
	s_waitcnt lgkmcnt(0)
	s_delay_alu instid0(VALU_DEP_2) | instskip(NEXT) | instid1(VALU_DEP_2)
	v_cndmask_b32_e64 v61, v53, v55, s1
	v_cndmask_b32_e32 v54, v54, v55, vcc_lo
	s_delay_alu instid0(VALU_DEP_2) | instskip(NEXT) | instid1(VALU_DEP_2)
	v_cvt_f16_f32_e32 v53, v61
	v_cvt_f16_f32_e32 v55, v54
	s_delay_alu instid0(VALU_DEP_1) | instskip(SKIP_1) | instid1(VALU_DEP_1)
	v_pack_b32_f16 v60, v53, v55
	v_sub_f32_e32 v53, v138, v230
	v_mul_f32_e32 v55, 0x3fb8aa3b, v53
	v_cmp_ngt_f32_e64 s4, 0xc2ce8ed0, v53
	s_delay_alu instid0(VALU_DEP_2) | instskip(SKIP_1) | instid1(VALU_DEP_1)
	v_fma_f32 v62, 0x3fb8aa3b, v53, -v55
	v_rndne_f32_e32 v63, v55
	v_dual_fmac_f32 v62, 0x32a5705f, v53 :: v_dual_sub_f32 v55, v55, v63
	s_delay_alu instid0(VALU_DEP_1) | instskip(SKIP_1) | instid1(VALU_DEP_2)
	v_add_f32_e32 v55, v55, v62
	v_cvt_i32_f32_e32 v62, v63
	v_exp_f32_e32 v55, v55
	s_waitcnt_depctr 0xfff
	v_ldexp_f32 v55, v55, v62
	s_delay_alu instid0(VALU_DEP_1) | instskip(SKIP_1) | instid1(VALU_DEP_1)
	v_cndmask_b32_e64 v55, 0, v55, s4
	v_cmp_nlt_f32_e64 s4, 0x42b17218, v53
	v_cndmask_b32_e64 v53, 0x7f800000, v55, s4
	s_delay_alu instid0(VALU_DEP_1) | instskip(SKIP_4) | instid1(VALU_DEP_2)
	v_cndmask_b32_e64 v55, v61, v53, s3
	ds_bpermute_b32 v61, v237, v53
	v_cndmask_b32_e64 v54, v54, v53, s2
	s_waitcnt lgkmcnt(0)
	v_cndmask_b32_e64 v55, v55, v61, s1
	v_cndmask_b32_e32 v62, v54, v61, vcc_lo
	s_delay_alu instid0(VALU_DEP_2) | instskip(NEXT) | instid1(VALU_DEP_2)
	v_cvt_f16_f32_e32 v54, v55
	v_cvt_f16_f32_e32 v61, v62
	s_delay_alu instid0(VALU_DEP_1) | instskip(SKIP_1) | instid1(VALU_DEP_1)
	v_pack_b32_f16 v61, v54, v61
	v_sub_f32_e32 v54, v135, v230
	v_mul_f32_e32 v63, 0x3fb8aa3b, v54
	v_cmp_ngt_f32_e64 s4, 0xc2ce8ed0, v54
	s_delay_alu instid0(VALU_DEP_2) | instskip(SKIP_1) | instid1(VALU_DEP_1)
	v_fma_f32 v66, 0x3fb8aa3b, v54, -v63
	v_rndne_f32_e32 v93, v63
	v_dual_fmac_f32 v66, 0x32a5705f, v54 :: v_dual_sub_f32 v63, v63, v93
	s_delay_alu instid0(VALU_DEP_1) | instskip(SKIP_1) | instid1(VALU_DEP_2)
	v_add_f32_e32 v63, v63, v66
	v_cvt_i32_f32_e32 v66, v93
	v_exp_f32_e32 v63, v63
	s_waitcnt_depctr 0xfff
	v_ldexp_f32 v63, v63, v66
	s_delay_alu instid0(VALU_DEP_1) | instskip(SKIP_1) | instid1(VALU_DEP_1)
	v_cndmask_b32_e64 v63, 0, v63, s4
	v_cmp_nlt_f32_e64 s4, 0x42b17218, v54
	v_cndmask_b32_e64 v54, 0x7f800000, v63, s4
	ds_bpermute_b32 v63, v237, v54
	v_cndmask_b32_e64 v55, v55, v54, s3
	v_cndmask_b32_e64 v62, v62, v54, s2
	s_waitcnt lgkmcnt(0)
	s_delay_alu instid0(VALU_DEP_2) | instskip(NEXT) | instid1(VALU_DEP_2)
	v_cndmask_b32_e64 v66, v55, v63, s1
	v_cndmask_b32_e32 v63, v62, v63, vcc_lo
	s_delay_alu instid0(VALU_DEP_2) | instskip(NEXT) | instid1(VALU_DEP_2)
	v_cvt_f16_f32_e32 v55, v66
	v_cvt_f16_f32_e32 v62, v63
	s_delay_alu instid0(VALU_DEP_1) | instskip(SKIP_1) | instid1(VALU_DEP_1)
	v_pack_b32_f16 v62, v55, v62
	v_sub_f32_e32 v55, v136, v230
	v_mul_f32_e32 v93, 0x3fb8aa3b, v55
	v_cmp_ngt_f32_e64 s4, 0xc2ce8ed0, v55
	s_delay_alu instid0(VALU_DEP_2) | instskip(SKIP_1) | instid1(VALU_DEP_2)
	v_fma_f32 v94, 0x3fb8aa3b, v55, -v93
	v_rndne_f32_e32 v95, v93
	v_fmac_f32_e32 v94, 0x32a5705f, v55
	s_delay_alu instid0(VALU_DEP_2) | instskip(NEXT) | instid1(VALU_DEP_1)
	v_sub_f32_e32 v93, v93, v95
	v_add_f32_e32 v93, v93, v94
	v_cvt_i32_f32_e32 v94, v95
	s_delay_alu instid0(VALU_DEP_2) | instskip(SKIP_3) | instid1(VALU_DEP_2)
	v_exp_f32_e32 v93, v93
	s_waitcnt_depctr 0xfff
	v_ldexp_f32 v93, v93, v94
	v_perm_b32 v94, v106, v104, 0x5040100
	v_cndmask_b32_e64 v93, 0, v93, s4
	v_cmp_nlt_f32_e64 s4, 0x42b17218, v55
	s_delay_alu instid0(VALU_DEP_1) | instskip(SKIP_4) | instid1(VALU_DEP_2)
	v_cndmask_b32_e64 v55, 0x7f800000, v93, s4
	ds_bpermute_b32 v93, v237, v55
	v_cndmask_b32_e64 v66, v66, v55, s3
	v_cndmask_b32_e64 v63, v63, v55, s2
	s_waitcnt lgkmcnt(0)
	v_cndmask_b32_e64 v66, v66, v93, s1
	s_delay_alu instid0(VALU_DEP_2) | instskip(SKIP_1) | instid1(VALU_DEP_3)
	v_cndmask_b32_e32 v63, v63, v93, vcc_lo
	v_perm_b32 v93, v102, v67, 0x5040100
	v_cvt_f16_f32_e32 v66, v66
	s_delay_alu instid0(VALU_DEP_3) | instskip(NEXT) | instid1(VALU_DEP_1)
	v_cvt_f16_f32_e32 v63, v63
	v_pack_b32_f16 v63, v66, v63
	v_add_nc_u32_e32 v66, 0x200, v160
	ds_load_2addr_b32 v[107:108], v66 offset0:16 offset1:160
	ds_load_2addr_b32 v[109:110], v208 offset0:188 offset1:244
	v_add_nc_u32_e32 v66, 0xc00, v159
	ds_load_2addr_b32 v[111:112], v66 offset0:76 offset1:132
	ds_load_2addr_b32 v[113:114], v66 offset0:4 offset1:24
	;; [unrolled: 1-line block ×5, first 2 shown]
	v_add_nc_u32_e32 v66, 0xe00, v159
	ds_load_2addr_b32 v[121:122], v66 offset0:92 offset1:148
	ds_load_b32 v66, v160 offset:1728
	ds_load_b32 v190, v161 offset:1728
	ds_load_b32 v199, v159 offset:9136
	ds_load_2addr_b32 v[135:136], v201 offset0:36 offset1:56
	ds_load_2addr_b32 v[208:209], v201 offset0:72 offset1:92
	;; [unrolled: 1-line block ×3, first 2 shown]
	s_waitcnt lgkmcnt(12)
	v_perm_b32 v95, v110, v107, 0x5040100
	s_waitcnt lgkmcnt(11)
	v_perm_b32 v97, v112, v108, 0x5040100
	;; [unrolled: 2-line block ×6, first 2 shown]
	s_delay_alu instid0(VALU_DEP_1)
	v_wmma_f16_16x16x16_f16 v[0:7], v[93:100], v[56:63], v[0:7]
	v_add_nc_u32_e32 v95, 0x200, v164
	v_perm_b32 v93, v103, v101, 0x5040100
	v_perm_b32 v94, v109, v105, 0x5040100
	;; [unrolled: 1-line block ×4, first 2 shown]
	ds_load_2addr_b32 v[137:138], v95 offset0:16 offset1:160
	v_perm_b32 v99, v135, v210, 0x5040100
	s_waitcnt lgkmcnt(1)
	v_perm_b32 v100, v139, v208, 0x5040100
	s_waitcnt lgkmcnt(0)
	v_perm_b32 v95, v113, v137, 0x5040100
	v_perm_b32 v97, v117, v138, 0x5040100
	s_delay_alu instid0(VALU_DEP_1)
	v_wmma_f16_16x16x16_f16 v[8:15], v[93:100], v[56:63], v[8:15]
	v_perm_b32 v93, v102, v67, 0x7060302
	v_perm_b32 v95, v110, v107, 0x7060302
	v_perm_b32 v97, v112, v108, 0x7060302
	v_perm_b32 v99, v122, v66, 0x7060302
	v_perm_b32 v94, v106, v104, 0x7060302
	v_perm_b32 v96, v116, v114, 0x7060302
	v_perm_b32 v98, v120, v118, 0x7060302
	v_perm_b32 v100, v209, v136, 0x7060302
	s_delay_alu instid0(VALU_DEP_1)
	v_wmma_f16_16x16x16_f16 v[0:7], v[93:100], v[56:63], v[0:7] op_sel:[0,0,1]
	v_perm_b32 v93, v103, v101, 0x7060302
	v_perm_b32 v94, v109, v105, 0x7060302
	v_perm_b32 v96, v111, v115, 0x7060302
	v_perm_b32 v95, v113, v137, 0x7060302
	v_perm_b32 v97, v117, v138, 0x7060302
	v_perm_b32 v98, v121, v119, 0x7060302
	v_perm_b32 v99, v135, v210, 0x7060302
	v_perm_b32 v100, v139, v208, 0x7060302
	s_delay_alu instid0(VALU_DEP_1) | instskip(SKIP_1) | instid1(VALU_DEP_1)
	v_wmma_f16_16x16x16_f16 v[8:15], v[93:100], v[56:63], v[8:15] op_sel:[0,0,1]
	v_sub_f32_e32 v56, v134, v230
	v_mul_f32_e32 v57, 0x3fb8aa3b, v56
	v_cmp_ngt_f32_e64 s4, 0xc2ce8ed0, v56
	s_delay_alu instid0(VALU_DEP_2) | instskip(SKIP_1) | instid1(VALU_DEP_1)
	v_fma_f32 v58, 0x3fb8aa3b, v56, -v57
	v_rndne_f32_e32 v59, v57
	v_dual_fmac_f32 v58, 0x32a5705f, v56 :: v_dual_sub_f32 v57, v57, v59
	v_cvt_i32_f32_e32 v59, v59
	s_delay_alu instid0(VALU_DEP_2) | instskip(SKIP_1) | instid1(VALU_DEP_2)
	v_add_f32_e32 v57, v57, v58
	v_sub_f32_e32 v58, v133, v230
	v_exp_f32_e32 v57, v57
	s_delay_alu instid0(VALU_DEP_1) | instskip(SKIP_1) | instid1(VALU_DEP_2)
	v_mul_f32_e32 v60, 0x3fb8aa3b, v58
	v_cmp_ngt_f32_e64 s5, 0xc2ce8ed0, v58
	v_fma_f32 v61, 0x3fb8aa3b, v58, -v60
	v_rndne_f32_e32 v62, v60
	s_waitcnt_depctr 0xfff
	v_ldexp_f32 v57, v57, v59
	v_fmac_f32_e32 v61, 0x32a5705f, v58
	v_sub_f32_e32 v60, v60, v62
	v_cvt_i32_f32_e32 v59, v62
	s_delay_alu instid0(VALU_DEP_4) | instskip(SKIP_1) | instid1(VALU_DEP_4)
	v_cndmask_b32_e64 v57, 0, v57, s4
	v_cmp_nlt_f32_e64 s4, 0x42b17218, v56
	v_add_f32_e32 v60, v60, v61
	s_delay_alu instid0(VALU_DEP_2) | instskip(NEXT) | instid1(VALU_DEP_2)
	v_cndmask_b32_e64 v134, 0x7f800000, v57, s4
	v_exp_f32_e32 v60, v60
	s_waitcnt_depctr 0xfff
	v_ldexp_f32 v59, v60, v59
	s_delay_alu instid0(VALU_DEP_1)
	v_cndmask_b32_e64 v56, 0, v59, s5
	v_cmp_nlt_f32_e64 s5, 0x42b17218, v58
	ds_bpermute_b32 v58, v237, v134
	v_cndmask_b32_e64 v133, 0x7f800000, v56, s5
	ds_bpermute_b32 v56, v237, v133
	s_waitcnt lgkmcnt(0)
	v_cndmask_b32_e32 v57, v133, v56, vcc_lo
	v_cndmask_b32_e64 v56, v133, v56, s1
	s_delay_alu instid0(VALU_DEP_2) | instskip(NEXT) | instid1(VALU_DEP_2)
	v_cndmask_b32_e64 v60, v57, v134, s2
	v_cndmask_b32_e64 v59, v56, v134, s3
	v_cvt_f16_f32_e32 v56, v56
	v_cvt_f16_f32_e32 v57, v57
	s_delay_alu instid0(VALU_DEP_3) | instskip(SKIP_1) | instid1(VALU_DEP_3)
	v_cndmask_b32_e64 v59, v59, v58, s1
	v_cndmask_b32_e32 v58, v60, v58, vcc_lo
	v_pack_b32_f16 v56, v56, v57
	s_delay_alu instid0(VALU_DEP_3) | instskip(NEXT) | instid1(VALU_DEP_3)
	v_cvt_f16_f32_e32 v60, v59
	v_cvt_f16_f32_e32 v61, v58
	s_delay_alu instid0(VALU_DEP_1) | instskip(SKIP_1) | instid1(VALU_DEP_1)
	v_pack_b32_f16 v57, v60, v61
	v_sub_f32_e32 v60, v131, v230
	v_mul_f32_e32 v61, 0x3fb8aa3b, v60
	v_cmp_ngt_f32_e64 s4, 0xc2ce8ed0, v60
	s_delay_alu instid0(VALU_DEP_2) | instskip(SKIP_1) | instid1(VALU_DEP_1)
	v_fma_f32 v62, 0x3fb8aa3b, v60, -v61
	v_rndne_f32_e32 v63, v61
	v_dual_fmac_f32 v62, 0x32a5705f, v60 :: v_dual_sub_f32 v61, v61, v63
	s_delay_alu instid0(VALU_DEP_1) | instskip(SKIP_1) | instid1(VALU_DEP_2)
	v_add_f32_e32 v61, v61, v62
	v_cvt_i32_f32_e32 v62, v63
	v_exp_f32_e32 v61, v61
	s_waitcnt_depctr 0xfff
	v_ldexp_f32 v61, v61, v62
	s_delay_alu instid0(VALU_DEP_1) | instskip(SKIP_1) | instid1(VALU_DEP_1)
	v_cndmask_b32_e64 v61, 0, v61, s4
	v_cmp_nlt_f32_e64 s4, 0x42b17218, v60
	v_cndmask_b32_e64 v135, 0x7f800000, v61, s4
	ds_bpermute_b32 v60, v237, v135
	v_cndmask_b32_e64 v59, v59, v135, s3
	v_cndmask_b32_e64 v58, v58, v135, s2
	s_waitcnt lgkmcnt(0)
	s_delay_alu instid0(VALU_DEP_2) | instskip(NEXT) | instid1(VALU_DEP_2)
	v_cndmask_b32_e64 v59, v59, v60, s1
	v_cndmask_b32_e32 v60, v58, v60, vcc_lo
	s_delay_alu instid0(VALU_DEP_2) | instskip(NEXT) | instid1(VALU_DEP_2)
	v_cvt_f16_f32_e32 v58, v59
	v_cvt_f16_f32_e32 v61, v60
	s_delay_alu instid0(VALU_DEP_1) | instskip(SKIP_1) | instid1(VALU_DEP_1)
	v_pack_b32_f16 v58, v58, v61
	v_sub_f32_e32 v61, v130, v230
	v_mul_f32_e32 v62, 0x3fb8aa3b, v61
	v_cmp_ngt_f32_e64 s4, 0xc2ce8ed0, v61
	s_delay_alu instid0(VALU_DEP_2) | instskip(SKIP_1) | instid1(VALU_DEP_1)
	v_fma_f32 v63, 0x3fb8aa3b, v61, -v62
	v_rndne_f32_e32 v66, v62
	v_dual_fmac_f32 v63, 0x32a5705f, v61 :: v_dual_sub_f32 v62, v62, v66
	s_delay_alu instid0(VALU_DEP_1) | instskip(SKIP_1) | instid1(VALU_DEP_2)
	v_add_f32_e32 v62, v62, v63
	v_cvt_i32_f32_e32 v63, v66
	v_exp_f32_e32 v62, v62
	s_waitcnt_depctr 0xfff
	v_ldexp_f32 v62, v62, v63
	s_delay_alu instid0(VALU_DEP_1) | instskip(SKIP_1) | instid1(VALU_DEP_1)
	v_cndmask_b32_e64 v62, 0, v62, s4
	v_cmp_nlt_f32_e64 s4, 0x42b17218, v61
	v_cndmask_b32_e64 v136, 0x7f800000, v62, s4
	ds_bpermute_b32 v61, v237, v136
	v_cndmask_b32_e64 v59, v59, v136, s3
	v_cndmask_b32_e64 v60, v60, v136, s2
	s_waitcnt lgkmcnt(0)
	s_delay_alu instid0(VALU_DEP_2) | instskip(NEXT) | instid1(VALU_DEP_2)
	v_cndmask_b32_e64 v62, v59, v61, s1
	v_cndmask_b32_e32 v60, v60, v61, vcc_lo
	s_delay_alu instid0(VALU_DEP_2) | instskip(NEXT) | instid1(VALU_DEP_2)
	v_cvt_f16_f32_e32 v59, v62
	v_cvt_f16_f32_e32 v61, v60
	s_delay_alu instid0(VALU_DEP_1) | instskip(SKIP_1) | instid1(VALU_DEP_1)
	v_pack_b32_f16 v59, v59, v61
	v_sub_f32_e32 v61, v129, v230
	v_mul_f32_e32 v63, 0x3fb8aa3b, v61
	v_cmp_ngt_f32_e64 s4, 0xc2ce8ed0, v61
	s_delay_alu instid0(VALU_DEP_2) | instskip(SKIP_1) | instid1(VALU_DEP_1)
	v_fma_f32 v66, 0x3fb8aa3b, v61, -v63
	v_rndne_f32_e32 v67, v63
	v_dual_fmac_f32 v66, 0x32a5705f, v61 :: v_dual_sub_f32 v63, v63, v67
	s_delay_alu instid0(VALU_DEP_1) | instskip(SKIP_1) | instid1(VALU_DEP_2)
	v_add_f32_e32 v63, v63, v66
	v_cvt_i32_f32_e32 v66, v67
	v_exp_f32_e32 v63, v63
	s_waitcnt_depctr 0xfff
	v_ldexp_f32 v63, v63, v66
	s_delay_alu instid0(VALU_DEP_1) | instskip(SKIP_1) | instid1(VALU_DEP_1)
	v_cndmask_b32_e64 v63, 0, v63, s4
	v_cmp_nlt_f32_e64 s4, 0x42b17218, v61
	v_cndmask_b32_e64 v137, 0x7f800000, v63, s4
	s_delay_alu instid0(VALU_DEP_1) | instskip(SKIP_4) | instid1(VALU_DEP_2)
	v_cndmask_b32_e64 v61, v62, v137, s3
	ds_bpermute_b32 v62, v237, v137
	v_cndmask_b32_e64 v60, v60, v137, s2
	s_waitcnt lgkmcnt(0)
	v_cndmask_b32_e64 v61, v61, v62, s1
	v_cndmask_b32_e32 v62, v60, v62, vcc_lo
	s_delay_alu instid0(VALU_DEP_2) | instskip(NEXT) | instid1(VALU_DEP_2)
	v_cvt_f16_f32_e32 v60, v61
	v_cvt_f16_f32_e32 v63, v62
	s_delay_alu instid0(VALU_DEP_1) | instskip(SKIP_1) | instid1(VALU_DEP_1)
	v_pack_b32_f16 v60, v60, v63
	v_sub_f32_e32 v63, v128, v230
	v_mul_f32_e32 v66, 0x3fb8aa3b, v63
	v_cmp_ngt_f32_e64 s4, 0xc2ce8ed0, v63
	s_delay_alu instid0(VALU_DEP_2) | instskip(SKIP_1) | instid1(VALU_DEP_1)
	v_fma_f32 v67, 0x3fb8aa3b, v63, -v66
	v_rndne_f32_e32 v93, v66
	v_dual_fmac_f32 v67, 0x32a5705f, v63 :: v_dual_sub_f32 v66, v66, v93
	s_delay_alu instid0(VALU_DEP_1) | instskip(SKIP_1) | instid1(VALU_DEP_2)
	v_add_f32_e32 v66, v66, v67
	v_cvt_i32_f32_e32 v67, v93
	v_exp_f32_e32 v66, v66
	s_waitcnt_depctr 0xfff
	v_ldexp_f32 v66, v66, v67
	s_delay_alu instid0(VALU_DEP_1) | instskip(SKIP_1) | instid1(VALU_DEP_1)
	v_cndmask_b32_e64 v66, 0, v66, s4
	v_cmp_nlt_f32_e64 s4, 0x42b17218, v63
	v_cndmask_b32_e64 v138, 0x7f800000, v66, s4
	ds_bpermute_b32 v63, v237, v138
	v_cndmask_b32_e64 v61, v61, v138, s3
	v_cndmask_b32_e64 v62, v62, v138, s2
	s_waitcnt lgkmcnt(0)
	s_delay_alu instid0(VALU_DEP_2) | instskip(NEXT) | instid1(VALU_DEP_2)
	v_cndmask_b32_e64 v66, v61, v63, s1
	v_cndmask_b32_e32 v62, v62, v63, vcc_lo
	s_delay_alu instid0(VALU_DEP_2) | instskip(NEXT) | instid1(VALU_DEP_2)
	v_cvt_f16_f32_e32 v61, v66
	v_cvt_f16_f32_e32 v63, v62
	s_delay_alu instid0(VALU_DEP_1) | instskip(SKIP_1) | instid1(VALU_DEP_1)
	v_pack_b32_f16 v61, v61, v63
	v_sub_f32_e32 v63, v126, v230
	v_mul_f32_e32 v67, 0x3fb8aa3b, v63
	v_cmp_ngt_f32_e64 s4, 0xc2ce8ed0, v63
	s_delay_alu instid0(VALU_DEP_2) | instskip(SKIP_1) | instid1(VALU_DEP_2)
	v_fma_f32 v93, 0x3fb8aa3b, v63, -v67
	v_rndne_f32_e32 v94, v67
	v_fmac_f32_e32 v93, 0x32a5705f, v63
	s_delay_alu instid0(VALU_DEP_2) | instskip(NEXT) | instid1(VALU_DEP_1)
	v_sub_f32_e32 v67, v67, v94
	v_add_f32_e32 v67, v67, v93
	v_cvt_i32_f32_e32 v93, v94
	s_delay_alu instid0(VALU_DEP_2) | instskip(SKIP_2) | instid1(VALU_DEP_1)
	v_exp_f32_e32 v67, v67
	s_waitcnt_depctr 0xfff
	v_ldexp_f32 v67, v67, v93
	v_cndmask_b32_e64 v67, 0, v67, s4
	v_cmp_nlt_f32_e64 s4, 0x42b17218, v63
	s_delay_alu instid0(VALU_DEP_1) | instskip(NEXT) | instid1(VALU_DEP_1)
	v_cndmask_b32_e64 v139, 0x7f800000, v67, s4
	v_cndmask_b32_e64 v63, v66, v139, s3
	ds_bpermute_b32 v66, v237, v139
	v_cndmask_b32_e64 v62, v62, v139, s2
	s_waitcnt lgkmcnt(0)
	v_cndmask_b32_e64 v63, v63, v66, s1
	s_delay_alu instid0(VALU_DEP_2) | instskip(NEXT) | instid1(VALU_DEP_2)
	v_cndmask_b32_e32 v66, v62, v66, vcc_lo
	v_cvt_f16_f32_e32 v62, v63
	s_delay_alu instid0(VALU_DEP_2) | instskip(NEXT) | instid1(VALU_DEP_1)
	v_cvt_f16_f32_e32 v67, v66
	v_pack_b32_f16 v62, v62, v67
	v_sub_f32_e32 v67, v125, v230
	s_delay_alu instid0(VALU_DEP_1) | instskip(SKIP_1) | instid1(VALU_DEP_2)
	v_mul_f32_e32 v93, 0x3fb8aa3b, v67
	v_cmp_ngt_f32_e64 s4, 0xc2ce8ed0, v67
	v_fma_f32 v94, 0x3fb8aa3b, v67, -v93
	v_rndne_f32_e32 v95, v93
	s_delay_alu instid0(VALU_DEP_2) | instskip(NEXT) | instid1(VALU_DEP_2)
	v_fmac_f32_e32 v94, 0x32a5705f, v67
	v_sub_f32_e32 v93, v93, v95
	s_delay_alu instid0(VALU_DEP_1) | instskip(SKIP_1) | instid1(VALU_DEP_2)
	v_add_f32_e32 v93, v93, v94
	v_cvt_i32_f32_e32 v94, v95
	v_exp_f32_e32 v93, v93
	s_waitcnt_depctr 0xfff
	v_ldexp_f32 v93, v93, v94
	v_add_nc_u32_e32 v94, 0x200, v161
	s_delay_alu instid0(VALU_DEP_2) | instskip(SKIP_1) | instid1(VALU_DEP_1)
	v_cndmask_b32_e64 v93, 0, v93, s4
	v_cmp_nlt_f32_e64 s4, 0x42b17218, v67
	v_cndmask_b32_e64 v203, 0x7f800000, v93, s4
	v_add_nc_u32_e32 v93, 0x1400, v159
	ds_bpermute_b32 v67, v237, v203
	v_cndmask_b32_e64 v63, v63, v203, s3
	v_cndmask_b32_e64 v66, v66, v203, s2
	s_waitcnt lgkmcnt(0)
	s_delay_alu instid0(VALU_DEP_2) | instskip(NEXT) | instid1(VALU_DEP_2)
	v_cndmask_b32_e64 v63, v63, v67, s1
	v_cndmask_b32_e32 v66, v66, v67, vcc_lo
	s_delay_alu instid0(VALU_DEP_2) | instskip(NEXT) | instid1(VALU_DEP_2)
	v_cvt_f16_f32_e32 v63, v63
	v_cvt_f16_f32_e32 v66, v66
	s_delay_alu instid0(VALU_DEP_1)
	v_pack_b32_f16 v63, v63, v66
	v_add_nc_u32_e32 v66, 0x1600, v159
	ds_load_2addr_b32 v[66:67], v66 offset0:120 offset1:140
	ds_load_2addr_b32 v[101:102], v93 offset0:212 offset1:232
	;; [unrolled: 1-line block ×7, first 2 shown]
	v_add_nc_u32_e32 v93, 0x1200, v159
	ds_load_2addr_b32 v[113:114], v93 offset0:124 offset1:180
	ds_load_2addr_b32 v[115:116], v201 offset0:216 offset1:236
	;; [unrolled: 1-line block ×7, first 2 shown]
	s_waitcnt lgkmcnt(12)
	v_perm_b32 v98, v67, v102, 0x5040100
	s_waitcnt lgkmcnt(11)
	v_perm_b32 v99, v104, v190, 0x5040100
	;; [unrolled: 2-line block ×8, first 2 shown]
	s_delay_alu instid0(VALU_DEP_1)
	v_wmma_f16_16x16x16_f16 v[0:7], v[93:100], v[56:63], v[0:7]
	v_add_nc_u32_e32 v93, 0x200, v165
	v_perm_b32 v98, v103, v66, 0x5040100
	v_perm_b32 v96, v109, v107, 0x5040100
	;; [unrolled: 1-line block ×4, first 2 shown]
	ds_load_2addr_b32 v[128:129], v93 offset0:16 offset1:160
	v_perm_b32 v93, v117, v119, 0x5040100
	s_waitcnt lgkmcnt(1)
	v_perm_b32 v100, v130, v125, 0x5040100
	s_waitcnt lgkmcnt(0)
	v_perm_b32 v97, v101, v129, 0x5040100
	v_perm_b32 v95, v105, v128, 0x5040100
	s_delay_alu instid0(VALU_DEP_1)
	v_wmma_f16_16x16x16_f16 v[8:15], v[93:100], v[56:63], v[8:15]
	v_perm_b32 v97, v110, v112, 0x7060302
	v_perm_b32 v95, v114, v111, 0x7060302
	;; [unrolled: 1-line block ×8, first 2 shown]
	s_delay_alu instid0(VALU_DEP_1)
	v_wmma_f16_16x16x16_f16 v[0:7], v[93:100], v[56:63], v[0:7] op_sel:[0,0,1]
	v_perm_b32 v98, v103, v66, 0x7060302
	v_perm_b32 v97, v101, v129, 0x7060302
	;; [unrolled: 1-line block ×8, first 2 shown]
	s_delay_alu instid0(VALU_DEP_1) | instskip(SKIP_3) | instid1(VALU_DEP_3)
	v_wmma_f16_16x16x16_f16 v[8:15], v[93:100], v[56:63], v[8:15] op_sel:[0,0,1]
	v_dual_sub_f32 v56, v142, v230 :: v_dual_add_nc_u32 v97, 0x1e00, v159
	v_add_nc_u32_e32 v96, 0x1c00, v159
	v_add_nc_u32_e32 v100, 0x2000, v159
	v_mul_f32_e32 v57, 0x3fb8aa3b, v56
	v_cmp_ngt_f32_e64 s4, 0xc2ce8ed0, v56
	s_delay_alu instid0(VALU_DEP_2) | instskip(SKIP_1) | instid1(VALU_DEP_1)
	v_fma_f32 v58, 0x3fb8aa3b, v56, -v57
	v_rndne_f32_e32 v59, v57
	v_dual_fmac_f32 v58, 0x32a5705f, v56 :: v_dual_sub_f32 v57, v57, v59
	v_cvt_i32_f32_e32 v59, v59
	s_delay_alu instid0(VALU_DEP_2) | instskip(SKIP_1) | instid1(VALU_DEP_2)
	v_add_f32_e32 v57, v57, v58
	v_sub_f32_e32 v58, v187, v230
	v_exp_f32_e32 v57, v57
	s_delay_alu instid0(VALU_DEP_1) | instskip(SKIP_1) | instid1(VALU_DEP_2)
	v_mul_f32_e32 v60, 0x3fb8aa3b, v58
	v_cmp_ngt_f32_e64 s5, 0xc2ce8ed0, v58
	v_fma_f32 v61, 0x3fb8aa3b, v58, -v60
	v_rndne_f32_e32 v62, v60
	s_waitcnt_depctr 0xfff
	v_ldexp_f32 v57, v57, v59
	v_fmac_f32_e32 v61, 0x32a5705f, v58
	v_sub_f32_e32 v60, v60, v62
	v_cvt_i32_f32_e32 v59, v62
	s_delay_alu instid0(VALU_DEP_4) | instskip(SKIP_1) | instid1(VALU_DEP_4)
	v_cndmask_b32_e64 v57, 0, v57, s4
	v_cmp_nlt_f32_e64 s4, 0x42b17218, v56
	v_add_f32_e32 v60, v60, v61
	s_delay_alu instid0(VALU_DEP_2) | instskip(NEXT) | instid1(VALU_DEP_2)
	v_cndmask_b32_e64 v140, 0x7f800000, v57, s4
	v_exp_f32_e32 v60, v60
	s_waitcnt_depctr 0xfff
	v_ldexp_f32 v59, v60, v59
	s_delay_alu instid0(VALU_DEP_1)
	v_cndmask_b32_e64 v56, 0, v59, s5
	v_cmp_nlt_f32_e64 s5, 0x42b17218, v58
	ds_bpermute_b32 v58, v237, v140
	v_cndmask_b32_e64 v130, 0x7f800000, v56, s5
	ds_bpermute_b32 v56, v237, v130
	s_waitcnt lgkmcnt(0)
	v_cndmask_b32_e32 v57, v130, v56, vcc_lo
	v_cndmask_b32_e64 v56, v130, v56, s1
	s_delay_alu instid0(VALU_DEP_2) | instskip(NEXT) | instid1(VALU_DEP_2)
	v_cndmask_b32_e64 v60, v57, v140, s2
	v_cndmask_b32_e64 v59, v56, v140, s3
	v_cvt_f16_f32_e32 v56, v56
	v_cvt_f16_f32_e32 v57, v57
	s_delay_alu instid0(VALU_DEP_3) | instskip(SKIP_1) | instid1(VALU_DEP_3)
	v_cndmask_b32_e64 v59, v59, v58, s1
	v_cndmask_b32_e32 v58, v60, v58, vcc_lo
	v_pack_b32_f16 v56, v56, v57
	s_delay_alu instid0(VALU_DEP_3) | instskip(NEXT) | instid1(VALU_DEP_3)
	v_cvt_f16_f32_e32 v60, v59
	v_cvt_f16_f32_e32 v61, v58
	s_delay_alu instid0(VALU_DEP_1) | instskip(SKIP_1) | instid1(VALU_DEP_1)
	v_pack_b32_f16 v57, v60, v61
	v_sub_f32_e32 v60, v191, v230
	v_mul_f32_e32 v61, 0x3fb8aa3b, v60
	s_delay_alu instid0(VALU_DEP_1) | instskip(SKIP_1) | instid1(VALU_DEP_1)
	v_fma_f32 v62, 0x3fb8aa3b, v60, -v61
	v_rndne_f32_e32 v63, v61
	v_dual_sub_f32 v61, v61, v63 :: v_dual_fmac_f32 v62, 0x32a5705f, v60
	v_cmp_ngt_f32_e64 s4, 0xc2ce8ed0, v60
	s_delay_alu instid0(VALU_DEP_2) | instskip(SKIP_1) | instid1(VALU_DEP_2)
	v_add_f32_e32 v61, v61, v62
	v_cvt_i32_f32_e32 v62, v63
	v_exp_f32_e32 v61, v61
	s_waitcnt_depctr 0xfff
	v_ldexp_f32 v61, v61, v62
	s_delay_alu instid0(VALU_DEP_1) | instskip(SKIP_1) | instid1(VALU_DEP_1)
	v_cndmask_b32_e64 v61, 0, v61, s4
	v_cmp_nlt_f32_e64 s4, 0x42b17218, v60
	v_cndmask_b32_e64 v142, 0x7f800000, v61, s4
	ds_bpermute_b32 v60, v237, v142
	v_cndmask_b32_e64 v59, v59, v142, s3
	v_cndmask_b32_e64 v58, v58, v142, s2
	s_waitcnt lgkmcnt(0)
	s_delay_alu instid0(VALU_DEP_2) | instskip(NEXT) | instid1(VALU_DEP_2)
	v_cndmask_b32_e64 v59, v59, v60, s1
	v_cndmask_b32_e32 v60, v58, v60, vcc_lo
	s_delay_alu instid0(VALU_DEP_2) | instskip(NEXT) | instid1(VALU_DEP_2)
	v_cvt_f16_f32_e32 v58, v59
	v_cvt_f16_f32_e32 v61, v60
	s_delay_alu instid0(VALU_DEP_1) | instskip(SKIP_1) | instid1(VALU_DEP_1)
	v_pack_b32_f16 v58, v58, v61
	v_sub_f32_e32 v61, v188, v230
	v_mul_f32_e32 v62, 0x3fb8aa3b, v61
	s_delay_alu instid0(VALU_DEP_1) | instskip(SKIP_1) | instid1(VALU_DEP_1)
	v_fma_f32 v63, 0x3fb8aa3b, v61, -v62
	v_rndne_f32_e32 v66, v62
	v_dual_fmac_f32 v63, 0x32a5705f, v61 :: v_dual_sub_f32 v62, v62, v66
	s_delay_alu instid0(VALU_DEP_1) | instskip(SKIP_2) | instid1(VALU_DEP_3)
	v_add_f32_e32 v62, v62, v63
	v_cvt_i32_f32_e32 v63, v66
	v_cmp_ngt_f32_e64 s4, 0xc2ce8ed0, v61
	v_exp_f32_e32 v62, v62
	s_waitcnt_depctr 0xfff
	v_ldexp_f32 v62, v62, v63
	s_delay_alu instid0(VALU_DEP_1) | instskip(SKIP_1) | instid1(VALU_DEP_1)
	v_cndmask_b32_e64 v62, 0, v62, s4
	v_cmp_nlt_f32_e64 s4, 0x42b17218, v61
	v_cndmask_b32_e64 v187, 0x7f800000, v62, s4
	ds_bpermute_b32 v61, v237, v187
	v_cndmask_b32_e64 v59, v59, v187, s3
	v_cndmask_b32_e64 v60, v60, v187, s2
	s_waitcnt lgkmcnt(0)
	s_delay_alu instid0(VALU_DEP_2) | instskip(NEXT) | instid1(VALU_DEP_2)
	v_cndmask_b32_e64 v62, v59, v61, s1
	v_cndmask_b32_e32 v60, v60, v61, vcc_lo
	s_delay_alu instid0(VALU_DEP_2) | instskip(NEXT) | instid1(VALU_DEP_2)
	v_cvt_f16_f32_e32 v59, v62
	v_cvt_f16_f32_e32 v61, v60
	s_delay_alu instid0(VALU_DEP_1) | instskip(SKIP_1) | instid1(VALU_DEP_1)
	v_pack_b32_f16 v59, v59, v61
	v_sub_f32_e32 v61, v192, v230
	v_mul_f32_e32 v63, 0x3fb8aa3b, v61
	v_cmp_ngt_f32_e64 s4, 0xc2ce8ed0, v61
	s_delay_alu instid0(VALU_DEP_2) | instskip(SKIP_1) | instid1(VALU_DEP_1)
	v_fma_f32 v66, 0x3fb8aa3b, v61, -v63
	v_rndne_f32_e32 v67, v63
	v_dual_fmac_f32 v66, 0x32a5705f, v61 :: v_dual_sub_f32 v63, v63, v67
	s_delay_alu instid0(VALU_DEP_1) | instskip(SKIP_1) | instid1(VALU_DEP_2)
	v_add_f32_e32 v63, v63, v66
	v_cvt_i32_f32_e32 v66, v67
	v_exp_f32_e32 v63, v63
	s_waitcnt_depctr 0xfff
	v_ldexp_f32 v63, v63, v66
	s_delay_alu instid0(VALU_DEP_1) | instskip(SKIP_1) | instid1(VALU_DEP_1)
	v_cndmask_b32_e64 v63, 0, v63, s4
	v_cmp_nlt_f32_e64 s4, 0x42b17218, v61
	v_cndmask_b32_e64 v188, 0x7f800000, v63, s4
	s_delay_alu instid0(VALU_DEP_1) | instskip(SKIP_4) | instid1(VALU_DEP_2)
	v_cndmask_b32_e64 v61, v62, v188, s3
	ds_bpermute_b32 v62, v237, v188
	v_cndmask_b32_e64 v60, v60, v188, s2
	s_waitcnt lgkmcnt(0)
	v_cndmask_b32_e64 v61, v61, v62, s1
	v_cndmask_b32_e32 v62, v60, v62, vcc_lo
	s_delay_alu instid0(VALU_DEP_2) | instskip(NEXT) | instid1(VALU_DEP_2)
	v_cvt_f16_f32_e32 v60, v61
	v_cvt_f16_f32_e32 v63, v62
	s_delay_alu instid0(VALU_DEP_1) | instskip(SKIP_1) | instid1(VALU_DEP_1)
	v_pack_b32_f16 v60, v60, v63
	v_sub_f32_e32 v63, v189, v230
	v_mul_f32_e32 v66, 0x3fb8aa3b, v63
	v_cmp_ngt_f32_e64 s4, 0xc2ce8ed0, v63
	s_delay_alu instid0(VALU_DEP_2) | instskip(SKIP_1) | instid1(VALU_DEP_1)
	v_fma_f32 v67, 0x3fb8aa3b, v63, -v66
	v_rndne_f32_e32 v93, v66
	v_dual_fmac_f32 v67, 0x32a5705f, v63 :: v_dual_sub_f32 v66, v66, v93
	s_delay_alu instid0(VALU_DEP_1) | instskip(SKIP_1) | instid1(VALU_DEP_2)
	v_add_f32_e32 v66, v66, v67
	v_cvt_i32_f32_e32 v67, v93
	v_exp_f32_e32 v66, v66
	s_waitcnt_depctr 0xfff
	v_ldexp_f32 v66, v66, v67
	s_delay_alu instid0(VALU_DEP_1) | instskip(SKIP_1) | instid1(VALU_DEP_1)
	v_cndmask_b32_e64 v66, 0, v66, s4
	v_cmp_nlt_f32_e64 s4, 0x42b17218, v63
	v_cndmask_b32_e64 v189, 0x7f800000, v66, s4
	ds_bpermute_b32 v63, v237, v189
	v_cndmask_b32_e64 v61, v61, v189, s3
	v_cndmask_b32_e64 v62, v62, v189, s2
	s_waitcnt lgkmcnt(0)
	s_delay_alu instid0(VALU_DEP_2) | instskip(NEXT) | instid1(VALU_DEP_2)
	v_cndmask_b32_e64 v66, v61, v63, s1
	v_cndmask_b32_e32 v62, v62, v63, vcc_lo
	s_delay_alu instid0(VALU_DEP_2) | instskip(NEXT) | instid1(VALU_DEP_2)
	v_cvt_f16_f32_e32 v61, v66
	v_cvt_f16_f32_e32 v63, v62
	s_delay_alu instid0(VALU_DEP_1) | instskip(SKIP_1) | instid1(VALU_DEP_1)
	v_pack_b32_f16 v61, v61, v63
	v_sub_f32_e32 v63, v193, v230
	v_mul_f32_e32 v67, 0x3fb8aa3b, v63
	v_cmp_ngt_f32_e64 s4, 0xc2ce8ed0, v63
	s_delay_alu instid0(VALU_DEP_2) | instskip(SKIP_1) | instid1(VALU_DEP_2)
	v_fma_f32 v93, 0x3fb8aa3b, v63, -v67
	v_rndne_f32_e32 v94, v67
	v_fmac_f32_e32 v93, 0x32a5705f, v63
	s_delay_alu instid0(VALU_DEP_2) | instskip(NEXT) | instid1(VALU_DEP_1)
	v_sub_f32_e32 v67, v67, v94
	v_add_f32_e32 v67, v67, v93
	v_cvt_i32_f32_e32 v93, v94
	s_delay_alu instid0(VALU_DEP_2) | instskip(SKIP_2) | instid1(VALU_DEP_1)
	v_exp_f32_e32 v67, v67
	s_waitcnt_depctr 0xfff
	v_ldexp_f32 v67, v67, v93
	v_cndmask_b32_e64 v67, 0, v67, s4
	v_cmp_nlt_f32_e64 s4, 0x42b17218, v63
	s_delay_alu instid0(VALU_DEP_1) | instskip(NEXT) | instid1(VALU_DEP_1)
	v_cndmask_b32_e64 v190, 0x7f800000, v67, s4
	v_cndmask_b32_e64 v63, v66, v190, s3
	ds_bpermute_b32 v66, v237, v190
	v_cndmask_b32_e64 v62, v62, v190, s2
	s_waitcnt lgkmcnt(0)
	v_cndmask_b32_e64 v63, v63, v66, s1
	s_delay_alu instid0(VALU_DEP_2) | instskip(NEXT) | instid1(VALU_DEP_2)
	v_cndmask_b32_e32 v66, v62, v66, vcc_lo
	v_cvt_f16_f32_e32 v62, v63
	s_delay_alu instid0(VALU_DEP_2) | instskip(NEXT) | instid1(VALU_DEP_1)
	v_cvt_f16_f32_e32 v67, v66
	v_pack_b32_f16 v62, v62, v67
	v_sub_f32_e32 v67, v254, v230
	s_delay_alu instid0(VALU_DEP_1) | instskip(SKIP_1) | instid1(VALU_DEP_2)
	v_mul_f32_e32 v93, 0x3fb8aa3b, v67
	v_cmp_ngt_f32_e64 s4, 0xc2ce8ed0, v67
	v_fma_f32 v94, 0x3fb8aa3b, v67, -v93
	v_rndne_f32_e32 v95, v93
	s_delay_alu instid0(VALU_DEP_2) | instskip(NEXT) | instid1(VALU_DEP_2)
	v_fmac_f32_e32 v94, 0x32a5705f, v67
	v_sub_f32_e32 v93, v93, v95
	s_delay_alu instid0(VALU_DEP_1) | instskip(SKIP_2) | instid1(VALU_DEP_3)
	v_add_f32_e32 v93, v93, v94
	v_cvt_i32_f32_e32 v94, v95
	v_add_nc_u32_e32 v95, 0x200, v162
	v_exp_f32_e32 v93, v93
	s_waitcnt_depctr 0xfff
	v_ldexp_f32 v93, v93, v94
	s_delay_alu instid0(VALU_DEP_1) | instskip(SKIP_1) | instid1(VALU_DEP_1)
	v_cndmask_b32_e64 v93, 0, v93, s4
	v_cmp_nlt_f32_e64 s4, 0x42b17218, v67
	v_cndmask_b32_e64 v191, 0x7f800000, v93, s4
	v_add_nc_u32_e32 v93, 0x1a00, v159
	ds_bpermute_b32 v67, v237, v191
	v_cndmask_b32_e64 v63, v63, v191, s3
	v_cndmask_b32_e64 v66, v66, v191, s2
	s_waitcnt lgkmcnt(0)
	s_delay_alu instid0(VALU_DEP_2) | instskip(NEXT) | instid1(VALU_DEP_2)
	v_cndmask_b32_e64 v63, v63, v67, s1
	v_cndmask_b32_e32 v66, v66, v67, vcc_lo
	v_add_co_u32 v85, vcc_lo, 0x80, v85
	v_add_co_ci_u32_e32 v86, vcc_lo, 0, v86, vcc_lo
	s_delay_alu instid0(VALU_DEP_4) | instskip(NEXT) | instid1(VALU_DEP_4)
	v_cvt_f16_f32_e32 v63, v63
	v_cvt_f16_f32_e32 v66, v66
	v_add_co_u32 v87, vcc_lo, 0x80, v87
	v_add_co_ci_u32_e32 v88, vcc_lo, 0, v88, vcc_lo
	s_delay_alu instid0(VALU_DEP_3)
	v_pack_b32_f16 v63, v63, v66
	ds_load_2addr_b32 v[66:67], v205 offset0:208 offset1:228
	ds_load_2addr_b32 v[101:102], v93 offset0:116 offset1:136
	;; [unrolled: 1-line block ×13, first 2 shown]
	v_add_co_u32 v89, vcc_lo, 0x80, v89
	v_add_co_ci_u32_e32 v90, vcc_lo, 0, v90, vcc_lo
	v_add_co_u32 v91, vcc_lo, 0x80, v91
	v_add_co_ci_u32_e32 v92, vcc_lo, 0, v92, vcc_lo
	;; [unrolled: 2-line block ×3, first 2 shown]
	s_waitcnt lgkmcnt(12)
	v_perm_b32 v93, v67, v131, 0x5040100
	s_waitcnt lgkmcnt(10)
	v_perm_b32 v94, v104, v102, 0x5040100
	;; [unrolled: 2-line block ×8, first 2 shown]
	v_add_co_u32 v240, vcc_lo, v240, s68
	v_add_co_ci_u32_e32 v241, vcc_lo, s69, v241, vcc_lo
	s_delay_alu instid0(VALU_DEP_3)
	v_wmma_f16_16x16x16_f16 v[0:7], v[93:100], v[56:63], v[0:7]
	v_add_nc_u32_e32 v95, 0x200, v166
	v_perm_b32 v93, v101, v66, 0x5040100
	v_perm_b32 v94, v107, v103, 0x5040100
	;; [unrolled: 1-line block ×4, first 2 shown]
	ds_load_2addr_b32 v[128:129], v95 offset0:16 offset1:160
	v_perm_b32 v99, v121, v212, 0x5040100
	v_perm_b32 v100, v199, v125, 0x5040100
	v_add_co_u32 v242, vcc_lo, v242, s68
	v_add_co_ci_u32_e32 v243, vcc_lo, s69, v243, vcc_lo
	v_add_co_u32 v244, vcc_lo, v244, s68
	v_add_co_ci_u32_e32 v245, vcc_lo, s69, v245, vcc_lo
	;; [unrolled: 2-line block ×4, first 2 shown]
	v_add_co_u32 v250, vcc_lo, v250, s70
	s_waitcnt lgkmcnt(0)
	v_perm_b32 v95, v113, v128, 0x5040100
	v_perm_b32 v97, v115, v129, 0x5040100
	v_add_co_ci_u32_e32 v251, vcc_lo, s71, v251, vcc_lo
	v_add_co_u32 v252, vcc_lo, v252, s70
	s_delay_alu instid0(VALU_DEP_3)
	v_wmma_f16_16x16x16_f16 v[8:15], v[93:100], v[56:63], v[8:15]
	v_perm_b32 v93, v67, v131, 0x7060302
	v_perm_b32 v95, v108, v105, 0x7060302
	;; [unrolled: 1-line block ×8, first 2 shown]
	v_add_co_ci_u32_e32 v253, vcc_lo, s71, v253, vcc_lo
	s_barrier
	s_delay_alu instid0(VALU_DEP_2)
	v_wmma_f16_16x16x16_f16 v[0:7], v[93:100], v[56:63], v[0:7] op_sel:[0,0,1]
	v_perm_b32 v93, v101, v66, 0x7060302
	v_perm_b32 v94, v107, v103, 0x7060302
	;; [unrolled: 1-line block ×8, first 2 shown]
	buffer_gl0_inv
	v_wmma_f16_16x16x16_f16 v[8:15], v[93:100], v[56:63], v[8:15] op_sel:[0,0,1]
	v_add_f32_e32 v56, v127, v132
	s_delay_alu instid0(VALU_DEP_1) | instskip(NEXT) | instid1(VALU_DEP_1)
	v_add_f32_e32 v56, v196, v56
	v_add_f32_e32 v56, v198, v56
	s_delay_alu instid0(VALU_DEP_1) | instskip(NEXT) | instid1(VALU_DEP_1)
	v_add_f32_e32 v56, v200, v56
	;; [unrolled: 3-line block ×4, first 2 shown]
	v_add_f32_e32 v48, v49, v48
	s_delay_alu instid0(VALU_DEP_1) | instskip(NEXT) | instid1(VALU_DEP_1)
	v_dual_mov_b32 v49, v229 :: v_dual_add_f32 v48, v50, v48
	v_add_f32_e32 v48, v51, v48
	s_delay_alu instid0(VALU_DEP_1) | instskip(NEXT) | instid1(VALU_DEP_1)
	v_add_f32_e32 v48, v52, v48
	v_add_f32_e32 v48, v53, v48
	s_delay_alu instid0(VALU_DEP_1) | instskip(NEXT) | instid1(VALU_DEP_1)
	v_add_f32_e32 v48, v54, v48
	;; [unrolled: 3-line block ×10, first 2 shown]
	v_add_f32_e32 v229, v191, v48
	s_delay_alu instid0(VALU_DEP_1)
	v_fmac_f32_e32 v229, v49, v207
	s_cbranch_scc1 .LBB0_254
; %bb.255:                              ;   in Loop: Header=BB0_14 Depth=1
	v_dual_mov_b32 v212, v167 :: v_dual_mov_b32 v213, v169
	v_dual_mov_b32 v242, v171 :: v_dual_mov_b32 v243, v173
	;; [unrolled: 1-line block ×3, first 2 shown]
	v_mov_b32_e32 v169, v177
	v_dual_mov_b32 v171, v178 :: v_dual_mov_b32 v176, v181
	v_mov_b32_e32 v173, v179
	v_mov_b32_e32 v175, v180
	v_dual_mov_b32 v177, v182 :: v_dual_mov_b32 v182, v144
	v_mov_b32_e32 v179, v184
	v_dual_mov_b32 v181, v186 :: v_dual_mov_b32 v144, v172
	;; [unrolled: 2-line block ×3, first 2 shown]
	v_dual_mov_b32 v168, v141 :: v_dual_mov_b32 v245, v64
	v_dual_mov_b32 v64, v123 :: v_dual_mov_b32 v141, v124
	v_mov_b32_e32 v184, v217
	s_clause 0x5
	scratch_load_b32 v123, off, off
	scratch_load_b32 v124, off, off offset:4
	scratch_load_b32 v133, off, off offset:8
	;; [unrolled: 1-line block ×5, first 2 shown]
	v_mad_i64_i32 v[54:55], null, v236, s48, 0
	v_mad_i64_i32 v[52:53], null, v235, s48, 0
	;; [unrolled: 1-line block ×4, first 2 shown]
	v_mov_b32_e32 v178, v183
	v_dual_mov_b32 v180, v185 :: v_dual_mov_b32 v183, v216
	v_dual_mov_b32 v186, v219 :: v_dual_mov_b32 v185, v218
	s_lshl_b32 s64, s46, 6
	s_delay_alu instid0(SALU_CYCLE_1)
	s_mov_b64 s[2:3], s[64:65]
.LBB0_256:                              ;   in Loop: Header=BB0_14 Depth=1
	v_lshlrev_b32_e32 v56, 1, v145
	s_lshl_b64 s[4:5], s[2:3], 1
	v_lshlrev_b64 v[54:55], 1, v[54:55]
	s_add_u32 s1, s99, s4
	v_dual_mov_b32 v108, s43 :: v_dual_mov_b32 v105, s40
	s_addc_u32 s4, s100, s5
	v_mov_b32_e32 v107, s42
	v_add_co_u32 v56, s1, s1, v56
	s_delay_alu instid0(VALU_DEP_1) | instskip(SKIP_1) | instid1(VALU_DEP_3)
	v_add_co_ci_u32_e64 v57, null, s4, 0, s1
	v_lshlrev_b64 v[52:53], 1, v[52:53]
	v_add_co_u32 v54, vcc_lo, v56, v54
	v_lshlrev_b64 v[50:51], 1, v[50:51]
	s_delay_alu instid0(VALU_DEP_4) | instskip(NEXT) | instid1(VALU_DEP_4)
	v_add_co_ci_u32_e32 v55, vcc_lo, v57, v55, vcc_lo
	v_add_co_u32 v52, vcc_lo, v56, v52
	v_lshlrev_b64 v[48:49], 1, v[48:49]
	v_add_co_ci_u32_e32 v53, vcc_lo, v57, v53, vcc_lo
	v_add_co_u32 v50, vcc_lo, v56, v50
	v_add_co_ci_u32_e32 v51, vcc_lo, v57, v51, vcc_lo
	s_delay_alu instid0(VALU_DEP_4)
	v_add_co_u32 v48, vcc_lo, v56, v48
	v_add_co_ci_u32_e32 v49, vcc_lo, v57, v49, vcc_lo
	s_clause 0x3
	global_load_b32 v54, v[54:55], off
	global_load_b32 v52, v[52:53], off
	;; [unrolled: 1-line block ×4, first 2 shown]
	v_dual_mov_b32 v106, s41 :: v_dual_add_nc_u32 v49, v154, v147
	s_mul_i32 s1, s2, s13
	s_mul_hi_u32 s4, s2, s12
	s_mul_i32 s5, s3, s12
	s_add_i32 s1, s4, s1
	s_mul_i32 s4, s2, s12
	s_add_i32 s5, s1, s5
	v_dual_mov_b32 v104, s39 :: v_dual_add_nc_u32 v51, 0x2400, v49
	v_dual_mov_b32 v102, s37 :: v_dual_add_nc_u32 v49, 0x2800, v49
	s_lshl_b64 s[4:5], s[4:5], 2
	v_mov_b32_e32 v103, s38
	s_add_u32 s1, s97, s4
	s_addc_u32 s4, s98, s5
	v_mov_b32_e32 v101, s36
	s_mul_i32 s3, s3, s10
	v_add_nc_u32_e32 v118, 0x800, v159
	s_waitcnt vmcnt(2)
	ds_store_2addr_b32 v51, v54, v52 offset1:144
	s_waitcnt vmcnt(0)
	ds_store_2addr_b32 v49, v50, v48 offset0:32 offset1:176
	v_add_co_u32 v48, vcc_lo, s1, v76
	v_add_co_ci_u32_e32 v49, vcc_lo, s4, v77, vcc_lo
	s_delay_alu instid0(VALU_DEP_2) | instskip(NEXT) | instid1(VALU_DEP_2)
	v_add_co_u32 v48, vcc_lo, v48, v195
	v_add_co_ci_u32_e32 v49, vcc_lo, 0, v49, vcc_lo
	v_add_co_u32 v50, vcc_lo, s1, v78
	v_add_co_ci_u32_e32 v51, vcc_lo, s4, v79, vcc_lo
	s_delay_alu instid0(VALU_DEP_2) | instskip(NEXT) | instid1(VALU_DEP_2)
	v_add_co_u32 v52, vcc_lo, v50, v195
	v_add_co_ci_u32_e32 v53, vcc_lo, 0, v51, vcc_lo
	s_clause 0x1
	global_load_b128 v[48:51], v[48:49], off
	global_load_b128 v[52:55], v[52:53], off
	s_waitcnt vmcnt(1)
	ds_store_b128 v153, v[48:51]
	s_waitcnt vmcnt(0)
	ds_store_b128 v155, v[52:55]
	v_add_co_u32 v48, vcc_lo, s1, v80
	v_add_co_ci_u32_e32 v49, vcc_lo, s4, v81, vcc_lo
	s_delay_alu instid0(VALU_DEP_2) | instskip(NEXT) | instid1(VALU_DEP_2)
	v_add_co_u32 v48, vcc_lo, v48, v195
	v_add_co_ci_u32_e32 v49, vcc_lo, 0, v49, vcc_lo
	v_add_co_u32 v50, vcc_lo, s1, v82
	v_add_co_ci_u32_e32 v51, vcc_lo, s4, v83, vcc_lo
	s_mul_i32 s1, s2, s11
	s_delay_alu instid0(VALU_DEP_2) | instskip(NEXT) | instid1(VALU_DEP_2)
	v_add_co_u32 v52, vcc_lo, v50, v195
	v_add_co_ci_u32_e32 v53, vcc_lo, 0, v51, vcc_lo
	s_clause 0x1
	global_load_b128 v[48:51], v[48:49], off
	global_load_b128 v[52:55], v[52:53], off
	s_waitcnt vmcnt(1)
	ds_store_b128 v156, v[48:51]
	s_waitcnt vmcnt(0)
	ds_store_b128 v157, v[52:55]
	s_waitcnt lgkmcnt(0)
	s_barrier
	buffer_gl0_inv
	ds_load_b128 v[48:51], v150
	ds_load_b128 v[52:55], v150 offset:16
	ds_load_b128 v[56:59], v150 offset:2304
	;; [unrolled: 1-line block ×7, first 2 shown]
	v_cmp_lt_i32_e32 vcc_lo, v231, v232
	s_mul_hi_u32 s4, s2, s10
	s_mul_i32 s2, s2, s10
	s_add_i32 s1, s4, s1
	s_delay_alu instid0(SALU_CYCLE_1) | instskip(NEXT) | instid1(SALU_CYCLE_1)
	s_add_i32 s3, s1, s3
	s_lshl_b64 s[2:3], s[2:3], 2
	s_delay_alu instid0(SALU_CYCLE_1)
	s_add_u32 s1, s95, s2
	s_addc_u32 s2, s96, s3
	v_cmp_eq_u32_e64 s3, 1, v149
	s_cmp_eq_u64 s[72:73], 0
	s_waitcnt lgkmcnt(6)
	v_wmma_f32_16x16x16_f16 v[109:116], v[48:55], v[40:47], v[101:108]
	s_waitcnt lgkmcnt(4)
	v_wmma_f32_16x16x16_f16 v[48:55], v[56:63], v[40:47], v[101:108]
	;; [unrolled: 2-line block ×4, first 2 shown]
	ds_load_b128 v[40:43], v150 offset:32
	ds_load_b128 v[44:47], v150 offset:48
	s_waitcnt lgkmcnt(0)
	v_wmma_f32_16x16x16_f16 v[109:116], v[40:47], v[16:23], v[109:116]
	ds_load_b128 v[40:43], v150 offset:2336
	ds_load_b128 v[44:47], v150 offset:2352
	s_waitcnt lgkmcnt(0)
	v_wmma_f32_16x16x16_f16 v[48:55], v[40:47], v[16:23], v[48:55]
	;; [unrolled: 4-line block ×11, first 2 shown]
	ds_load_b128 v[16:19], v150 offset:7008
	ds_load_b128 v[20:23], v150 offset:7024
	s_waitcnt lgkmcnt(0)
	s_barrier
	buffer_gl0_inv
	v_wmma_f32_16x16x16_f16 v[125:132], v[16:23], v[32:39], v[125:132]
	ds_load_u16 v16, v158
	ds_load_u16 v17, v158 offset:4
	ds_load_u16 v18, v158 offset:8
	;; [unrolled: 1-line block ×15, first 2 shown]
	s_waitcnt lgkmcnt(15)
	v_cvt_f32_f16_e32 v16, v16
	s_waitcnt lgkmcnt(7)
	v_cvt_f32_f16_e32 v24, v24
	;; [unrolled: 2-line block ×5, first 2 shown]
	v_cvt_f32_f16_e32 v21, v21
	s_waitcnt lgkmcnt(3)
	v_cvt_f32_f16_e32 v28, v28
	v_cvt_f32_f16_e32 v23, v23
	s_waitcnt lgkmcnt(2)
	v_cvt_f32_f16_e32 v29, v29
	s_waitcnt lgkmcnt(1)
	;; [unrolled: 2-line block ×3, first 2 shown]
	v_cvt_f32_f16_e32 v31, v31
	v_dual_add_f32 v21, v114, v21 :: v_dual_add_f32 v104, v52, v28
	v_dual_add_f32 v23, v116, v23 :: v_dual_add_f32 v108, v49, v25
	;; [unrolled: 1-line block ×4, first 2 shown]
	v_add_f32_e32 v103, v53, v29
	v_add_f32_e32 v101, v55, v31
	ds_load_u16 v24, v158 offset:64
	ds_load_u16 v25, v158 offset:68
	;; [unrolled: 1-line block ×8, first 2 shown]
	v_cvt_f32_f16_e32 v17, v17
	v_cvt_f32_f16_e32 v18, v18
	;; [unrolled: 1-line block ×5, first 2 shown]
	v_dual_add_f32 v16, v109, v16 :: v_dual_add_f32 v17, v110, v17
	v_add_f32_e32 v18, v111, v18
	s_delay_alu instid0(VALU_DEP_4) | instskip(NEXT) | instid1(VALU_DEP_4)
	v_dual_add_f32 v20, v113, v20 :: v_dual_add_f32 v19, v112, v19
	v_add_f32_e32 v22, v115, v22
	s_waitcnt lgkmcnt(7)
	v_cvt_f32_f16_e32 v24, v24
	s_waitcnt lgkmcnt(6)
	v_cvt_f32_f16_e32 v25, v25
	;; [unrolled: 2-line block ×8, first 2 shown]
	v_dual_add_f32 v99, v56, v24 :: v_dual_add_f32 v100, v57, v25
	v_add_f32_e32 v98, v58, v26
	v_dual_add_f32 v94, v62, v30 :: v_dual_add_f32 v97, v59, v27
	v_dual_add_f32 v96, v60, v28 :: v_dual_add_f32 v95, v61, v29
	v_add_f32_e32 v93, v63, v31
	ds_load_u16 v24, v158 offset:96
	ds_load_u16 v25, v158 offset:100
	ds_load_u16 v26, v158 offset:104
	ds_load_u16 v27, v158 offset:108
	ds_load_u16 v28, v158 offset:112
	ds_load_u16 v29, v158 offset:116
	ds_load_u16 v30, v158 offset:120
	ds_load_u16 v31, v158 offset:124
	s_waitcnt lgkmcnt(7)
	v_cvt_f32_f16_e32 v24, v24
	s_waitcnt lgkmcnt(6)
	v_cvt_f32_f16_e32 v25, v25
	;; [unrolled: 2-line block ×6, first 2 shown]
	v_add_f32_e32 v92, v126, v25
	s_waitcnt lgkmcnt(1)
	v_cvt_f32_f16_e32 v30, v30
	v_add_f32_e32 v91, v125, v24
	v_dual_add_f32 v24, 0x40051340, v16 :: v_dual_add_f32 v87, v130, v29
	v_add_f32_e32 v25, 0x40051340, v17
	s_waitcnt lgkmcnt(0)
	v_cvt_f32_f16_e32 v31, v31
	v_add_f32_e32 v90, v127, v26
	v_add_f32_e32 v26, 0x40051340, v19
	v_dual_add_f32 v89, v128, v27 :: v_dual_add_f32 v88, v129, v28
	v_max3_f32 v24, v230, v24, v25
	v_add_f32_e32 v25, 0x40051340, v18
	v_dual_add_f32 v85, v132, v31 :: v_dual_add_f32 v86, v131, v30
	s_delay_alu instid0(VALU_DEP_2) | instskip(SKIP_1) | instid1(VALU_DEP_1)
	v_max3_f32 v24, v24, v25, v26
	v_dual_add_f32 v26, 0x40051340, v21 :: v_dual_add_f32 v25, 0x40051340, v20
	v_max3_f32 v24, v24, v25, v26
	v_dual_add_f32 v25, 0x40051340, v22 :: v_dual_add_f32 v26, 0x40051340, v23
	s_delay_alu instid0(VALU_DEP_1) | instskip(SKIP_1) | instid1(VALU_DEP_1)
	v_max3_f32 v24, v24, v25, v26
	v_dual_add_f32 v26, 0x40051340, v108 :: v_dual_add_f32 v25, 0x40051340, v107
	v_max3_f32 v24, v24, v25, v26
	v_dual_add_f32 v25, 0x40051340, v106 :: v_dual_add_f32 v26, 0x40051340, v105
	s_delay_alu instid0(VALU_DEP_1) | instskip(SKIP_1) | instid1(VALU_DEP_1)
	;; [unrolled: 5-line block ×7, first 2 shown]
	v_max3_f32 v24, v24, v25, v26
	v_cndmask_b32_e32 v25, v214, v231, vcc_lo
	v_lshlrev_b32_e32 v63, 2, v25
	ds_bpermute_b32 v25, v63, v24
	s_waitcnt lgkmcnt(0)
	v_max_f32_e32 v25, v25, v25
	s_delay_alu instid0(VALU_DEP_1) | instskip(NEXT) | instid1(VALU_DEP_1)
	v_max_f32_e32 v62, v24, v25
	v_sub_f32_e32 v24, v230, v62
	s_delay_alu instid0(VALU_DEP_1)
	v_mul_f32_e32 v25, 0x3fb8aa3b, v24
	v_sub_f32_e32 v17, v17, v62
	v_cmp_ngt_f32_e32 vcc_lo, 0xc2ce8ed0, v24
	v_sub_f32_e32 v18, v18, v62
	v_sub_f32_e32 v16, v16, v62
	v_fma_f32 v26, 0x3fb8aa3b, v24, -v25
	v_rndne_f32_e32 v27, v25
	v_sub_f32_e32 v20, v20, v62
	v_sub_f32_e32 v22, v22, v62
	v_cmp_ngt_f32_e64 s4, 0xc2ce8ed0, v18
	s_delay_alu instid0(VALU_DEP_4) | instskip(SKIP_1) | instid1(VALU_DEP_2)
	v_dual_fmac_f32 v26, 0x32a5705f, v24 :: v_dual_sub_f32 v25, v25, v27
	v_sub_f32_e32 v23, v23, v62
	v_add_f32_e32 v25, v25, v26
	v_cvt_i32_f32_e32 v26, v27
	s_delay_alu instid0(VALU_DEP_2) | instskip(SKIP_2) | instid1(VALU_DEP_1)
	v_exp_f32_e32 v25, v25
	s_waitcnt_depctr 0xfff
	v_ldexp_f32 v25, v25, v26
	v_cndmask_b32_e32 v25, 0, v25, vcc_lo
	v_cmp_nlt_f32_e32 vcc_lo, 0x42b17218, v24
	s_delay_alu instid0(VALU_DEP_2) | instskip(SKIP_1) | instid1(VALU_DEP_2)
	v_cndmask_b32_e32 v25, 0x7f800000, v25, vcc_lo
	v_cmp_le_f32_e32 vcc_lo, 0xc1a00000, v24
	v_cndmask_b32_e32 v109, 0, v25, vcc_lo
	s_delay_alu instid0(VALU_DEP_1) | instskip(NEXT) | instid1(VALU_DEP_1)
	v_cvt_f16_f32_e32 v24, v109
	v_pk_mul_f16 v0, v24, v0 op_sel_hi:[0,1]
	v_pk_mul_f16 v1, v24, v1 op_sel_hi:[0,1]
	;; [unrolled: 1-line block ×16, first 2 shown]
	v_add_co_u32 v24, vcc_lo, s1, v68
	v_add_co_ci_u32_e32 v25, vcc_lo, s2, v69, vcc_lo
	s_delay_alu instid0(VALU_DEP_2) | instskip(NEXT) | instid1(VALU_DEP_2)
	v_add_co_u32 v24, vcc_lo, v24, v195
	v_add_co_ci_u32_e32 v25, vcc_lo, 0, v25, vcc_lo
	v_add_co_u32 v26, vcc_lo, s1, v70
	v_add_co_ci_u32_e32 v27, vcc_lo, s2, v71, vcc_lo
	s_delay_alu instid0(VALU_DEP_2) | instskip(NEXT) | instid1(VALU_DEP_2)
	v_add_co_u32 v28, vcc_lo, v26, v195
	v_add_co_ci_u32_e32 v29, vcc_lo, 0, v27, vcc_lo
	s_clause 0x1
	global_load_b128 v[24:27], v[24:25], off
	global_load_b128 v[28:31], v[28:29], off
	s_waitcnt vmcnt(1)
	ds_store_b128 v153, v[24:27]
	s_waitcnt vmcnt(0)
	ds_store_b128 v155, v[28:31]
	v_add_co_u32 v24, vcc_lo, s1, v72
	v_add_co_ci_u32_e32 v25, vcc_lo, s2, v73, vcc_lo
	s_delay_alu instid0(VALU_DEP_2) | instskip(NEXT) | instid1(VALU_DEP_2)
	v_add_co_u32 v24, vcc_lo, v24, v195
	v_add_co_ci_u32_e32 v25, vcc_lo, 0, v25, vcc_lo
	v_add_co_u32 v26, vcc_lo, s1, v74
	v_add_co_ci_u32_e32 v27, vcc_lo, s2, v75, vcc_lo
	v_cmp_ngt_f32_e64 s1, 0xc2ce8ed0, v16
	s_delay_alu instid0(VALU_DEP_3) | instskip(NEXT) | instid1(VALU_DEP_3)
	v_add_co_u32 v28, vcc_lo, v26, v195
	v_add_co_ci_u32_e32 v29, vcc_lo, 0, v27, vcc_lo
	s_clause 0x1
	global_load_b128 v[24:27], v[24:25], off
	global_load_b128 v[28:31], v[28:29], off
	s_waitcnt vmcnt(1)
	ds_store_b128 v156, v[24:27]
	s_waitcnt vmcnt(0)
	ds_store_b128 v157, v[28:31]
	v_mul_f32_e32 v24, 0x3fb8aa3b, v17
	v_cmp_eq_u32_e64 s2, 0, v149
	v_add_nc_u32_e32 v31, 0x400, v159
	s_waitcnt lgkmcnt(0)
	s_barrier
	v_fma_f32 v25, 0x3fb8aa3b, v17, -v24
	v_rndne_f32_e32 v26, v24
	buffer_gl0_inv
	ds_load_2addr_b32 v[32:33], v159 offset1:16
	ds_load_2addr_b32 v[34:35], v159 offset0:36 offset1:52
	ds_load_2addr_b32 v[36:37], v159 offset0:72 offset1:88
	;; [unrolled: 1-line block ×4, first 2 shown]
	v_dual_fmac_f32 v25, 0x32a5705f, v17 :: v_dual_sub_f32 v24, v24, v26
	v_cvt_i32_f32_e32 v26, v26
	ds_load_2addr_b32 v[40:41], v159 offset0:196 offset1:216
	ds_load_2addr_b32 v[42:43], v159 offset0:232 offset1:252
	;; [unrolled: 1-line block ×6, first 2 shown]
	v_dual_add_f32 v24, v24, v25 :: v_dual_mul_f32 v25, 0x3fb8aa3b, v16
	v_cmp_ngt_f32_e32 vcc_lo, 0xc2ce8ed0, v17
	ds_load_2addr_b32 v[54:55], v31 offset0:176 offset1:212
	ds_load_2addr_b32 v[56:57], v31 offset0:228 offset1:248
	;; [unrolled: 1-line block ×3, first 2 shown]
	v_exp_f32_e32 v24, v24
	v_fma_f32 v27, 0x3fb8aa3b, v16, -v25
	v_rndne_f32_e32 v28, v25
	s_delay_alu instid0(VALU_DEP_1)
	v_sub_f32_e32 v25, v25, v28
	s_waitcnt_depctr 0xfff
	v_ldexp_f32 v24, v24, v26
	v_cvt_i32_f32_e32 v26, v28
	s_waitcnt lgkmcnt(3)
	v_perm_b32 v29, v50, v48, 0x5040100
	s_delay_alu instid0(VALU_DEP_3)
	v_cndmask_b32_e32 v24, 0, v24, vcc_lo
	v_cmp_nlt_f32_e32 vcc_lo, 0x42b17218, v17
	s_waitcnt lgkmcnt(2)
	v_perm_b32 v30, v55, v54, 0x5040100
	s_waitcnt lgkmcnt(0)
	v_perm_b32 v31, v59, v57, 0x5040100
	v_cndmask_b32_e32 v111, 0x7f800000, v24, vcc_lo
	v_cmp_eq_u32_e32 vcc_lo, 1, v152
	v_fmac_f32_e32 v27, 0x32a5705f, v16
	v_sub_f32_e32 v19, v19, v62
	v_sub_f32_e32 v21, v21, v62
	ds_bpermute_b32 v24, v63, v111
	v_add_f32_e32 v25, v25, v27
	s_delay_alu instid0(VALU_DEP_1) | instskip(SKIP_2) | instid1(VALU_DEP_1)
	v_exp_f32_e32 v25, v25
	s_waitcnt_depctr 0xfff
	v_ldexp_f32 v25, v25, v26
	v_cndmask_b32_e64 v17, 0, v25, s1
	v_cmp_nlt_f32_e64 s1, 0x42b17218, v16
	s_delay_alu instid0(VALU_DEP_1)
	v_cndmask_b32_e64 v110, 0x7f800000, v17, s1
	v_cmp_eq_u32_e64 s1, 0, v152
	ds_bpermute_b32 v16, v63, v110
	s_waitcnt lgkmcnt(0)
	v_cndmask_b32_e64 v17, v110, v16, s1
	v_cndmask_b32_e32 v16, v110, v16, vcc_lo
	s_delay_alu instid0(VALU_DEP_2) | instskip(NEXT) | instid1(VALU_DEP_2)
	v_cndmask_b32_e64 v25, v17, v111, s2
	v_cndmask_b32_e64 v26, v16, v111, s3
	v_cvt_f16_f32_e32 v17, v17
	v_cvt_f16_f32_e32 v16, v16
	s_delay_alu instid0(VALU_DEP_4) | instskip(NEXT) | instid1(VALU_DEP_4)
	v_cndmask_b32_e64 v25, v25, v24, s1
	v_cndmask_b32_e32 v24, v26, v24, vcc_lo
	s_delay_alu instid0(VALU_DEP_3) | instskip(NEXT) | instid1(VALU_DEP_3)
	v_pack_b32_f16 v16, v17, v16
	v_cvt_f16_f32_e32 v26, v25
	s_delay_alu instid0(VALU_DEP_3) | instskip(NEXT) | instid1(VALU_DEP_1)
	v_cvt_f16_f32_e32 v27, v24
	v_pack_b32_f16 v17, v26, v27
	v_mul_f32_e32 v26, 0x3fb8aa3b, v18
	s_delay_alu instid0(VALU_DEP_1) | instskip(SKIP_1) | instid1(VALU_DEP_1)
	v_fma_f32 v27, 0x3fb8aa3b, v18, -v26
	v_rndne_f32_e32 v28, v26
	v_dual_fmac_f32 v27, 0x32a5705f, v18 :: v_dual_sub_f32 v26, v26, v28
	s_delay_alu instid0(VALU_DEP_1) | instskip(SKIP_1) | instid1(VALU_DEP_2)
	v_add_f32_e32 v26, v26, v27
	v_cvt_i32_f32_e32 v27, v28
	v_exp_f32_e32 v26, v26
	s_waitcnt_depctr 0xfff
	v_ldexp_f32 v26, v26, v27
	s_delay_alu instid0(VALU_DEP_1) | instskip(SKIP_1) | instid1(VALU_DEP_1)
	v_cndmask_b32_e64 v26, 0, v26, s4
	v_cmp_nlt_f32_e64 s4, 0x42b17218, v18
	v_cndmask_b32_e64 v112, 0x7f800000, v26, s4
	v_cmp_ngt_f32_e64 s4, 0xc2ce8ed0, v19
	s_delay_alu instid0(VALU_DEP_2) | instskip(SKIP_4) | instid1(VALU_DEP_2)
	v_cndmask_b32_e64 v18, v25, v112, s2
	ds_bpermute_b32 v25, v63, v112
	v_cndmask_b32_e64 v24, v24, v112, s3
	s_waitcnt lgkmcnt(0)
	v_cndmask_b32_e64 v26, v18, v25, s1
	v_cndmask_b32_e32 v24, v24, v25, vcc_lo
	s_delay_alu instid0(VALU_DEP_2) | instskip(NEXT) | instid1(VALU_DEP_2)
	v_cvt_f16_f32_e32 v18, v26
	v_cvt_f16_f32_e32 v25, v24
	s_delay_alu instid0(VALU_DEP_1) | instskip(SKIP_1) | instid1(VALU_DEP_1)
	v_pack_b32_f16 v18, v18, v25
	v_mul_f32_e32 v25, 0x3fb8aa3b, v19
	v_fma_f32 v27, 0x3fb8aa3b, v19, -v25
	v_rndne_f32_e32 v28, v25
	s_delay_alu instid0(VALU_DEP_2) | instskip(NEXT) | instid1(VALU_DEP_2)
	v_fmac_f32_e32 v27, 0x32a5705f, v19
	v_sub_f32_e32 v25, v25, v28
	s_delay_alu instid0(VALU_DEP_1) | instskip(SKIP_1) | instid1(VALU_DEP_2)
	v_add_f32_e32 v25, v25, v27
	v_cvt_i32_f32_e32 v27, v28
	v_exp_f32_e32 v25, v25
	s_waitcnt_depctr 0xfff
	v_ldexp_f32 v25, v25, v27
	s_delay_alu instid0(VALU_DEP_1) | instskip(SKIP_1) | instid1(VALU_DEP_1)
	v_cndmask_b32_e64 v25, 0, v25, s4
	v_cmp_nlt_f32_e64 s4, 0x42b17218, v19
	v_cndmask_b32_e64 v113, 0x7f800000, v25, s4
	v_cmp_ngt_f32_e64 s4, 0xc2ce8ed0, v20
	ds_bpermute_b32 v25, v63, v113
	v_cndmask_b32_e64 v19, v26, v113, s2
	v_cndmask_b32_e64 v24, v24, v113, s3
	s_waitcnt lgkmcnt(0)
	s_delay_alu instid0(VALU_DEP_2) | instskip(NEXT) | instid1(VALU_DEP_2)
	v_cndmask_b32_e64 v26, v19, v25, s1
	v_cndmask_b32_e32 v24, v24, v25, vcc_lo
	s_delay_alu instid0(VALU_DEP_2) | instskip(NEXT) | instid1(VALU_DEP_2)
	v_cvt_f16_f32_e32 v19, v26
	v_cvt_f16_f32_e32 v25, v24
	s_delay_alu instid0(VALU_DEP_1) | instskip(SKIP_1) | instid1(VALU_DEP_1)
	v_pack_b32_f16 v19, v19, v25
	v_mul_f32_e32 v25, 0x3fb8aa3b, v20
	v_fma_f32 v27, 0x3fb8aa3b, v20, -v25
	v_rndne_f32_e32 v28, v25
	s_delay_alu instid0(VALU_DEP_2) | instskip(NEXT) | instid1(VALU_DEP_2)
	v_fmac_f32_e32 v27, 0x32a5705f, v20
	v_sub_f32_e32 v25, v25, v28
	s_delay_alu instid0(VALU_DEP_1) | instskip(SKIP_1) | instid1(VALU_DEP_2)
	v_add_f32_e32 v25, v25, v27
	v_cvt_i32_f32_e32 v27, v28
	v_exp_f32_e32 v25, v25
	s_waitcnt_depctr 0xfff
	v_ldexp_f32 v25, v25, v27
	s_delay_alu instid0(VALU_DEP_1) | instskip(SKIP_1) | instid1(VALU_DEP_1)
	v_cndmask_b32_e64 v25, 0, v25, s4
	v_cmp_nlt_f32_e64 s4, 0x42b17218, v20
	v_cndmask_b32_e64 v114, 0x7f800000, v25, s4
	v_cmp_ngt_f32_e64 s4, 0xc2ce8ed0, v21
	ds_bpermute_b32 v25, v63, v114
	v_cndmask_b32_e64 v20, v26, v114, s2
	v_cndmask_b32_e64 v24, v24, v114, s3
	s_waitcnt lgkmcnt(0)
	s_delay_alu instid0(VALU_DEP_2) | instskip(NEXT) | instid1(VALU_DEP_2)
	;; [unrolled: 29-line block ×4, first 2 shown]
	v_cndmask_b32_e64 v26, v22, v25, s1
	v_cndmask_b32_e32 v24, v24, v25, vcc_lo
	s_delay_alu instid0(VALU_DEP_2) | instskip(NEXT) | instid1(VALU_DEP_2)
	v_cvt_f16_f32_e32 v22, v26
	v_cvt_f16_f32_e32 v25, v24
	s_delay_alu instid0(VALU_DEP_1) | instskip(SKIP_1) | instid1(VALU_DEP_1)
	v_pack_b32_f16 v22, v22, v25
	v_mul_f32_e32 v25, 0x3fb8aa3b, v23
	v_fma_f32 v27, 0x3fb8aa3b, v23, -v25
	v_rndne_f32_e32 v28, v25
	s_delay_alu instid0(VALU_DEP_2) | instskip(NEXT) | instid1(VALU_DEP_2)
	v_fmac_f32_e32 v27, 0x32a5705f, v23
	v_sub_f32_e32 v25, v25, v28
	s_delay_alu instid0(VALU_DEP_1) | instskip(SKIP_2) | instid1(VALU_DEP_3)
	v_add_f32_e32 v25, v25, v27
	v_cvt_i32_f32_e32 v27, v28
	v_perm_b32 v28, v44, v47, 0x5040100
	v_exp_f32_e32 v25, v25
	s_waitcnt_depctr 0xfff
	v_ldexp_f32 v25, v25, v27
	v_perm_b32 v27, v43, v41, 0x5040100
	s_delay_alu instid0(VALU_DEP_2) | instskip(SKIP_1) | instid1(VALU_DEP_1)
	v_cndmask_b32_e64 v25, 0, v25, s4
	v_cmp_nlt_f32_e64 s4, 0x42b17218, v23
	v_cndmask_b32_e64 v117, 0x7f800000, v25, s4
	ds_bpermute_b32 v25, v63, v117
	v_cndmask_b32_e64 v23, v24, v117, s3
	v_cndmask_b32_e64 v24, v26, v117, s2
	v_perm_b32 v26, v53, v52, 0x5040100
	s_waitcnt lgkmcnt(0)
	s_delay_alu instid0(VALU_DEP_2) | instskip(SKIP_2) | instid1(VALU_DEP_3)
	v_cndmask_b32_e64 v24, v24, v25, s1
	v_cndmask_b32_e32 v23, v23, v25, vcc_lo
	v_perm_b32 v25, v38, v36, 0x5040100
	v_cvt_f16_f32_e32 v24, v24
	s_delay_alu instid0(VALU_DEP_3) | instskip(NEXT) | instid1(VALU_DEP_1)
	v_cvt_f16_f32_e32 v23, v23
	v_pack_b32_f16 v23, v24, v23
	v_perm_b32 v24, v34, v32, 0x5040100
	s_delay_alu instid0(VALU_DEP_1)
	v_wmma_f16_16x16x16_f16 v[0:7], v[24:31], v[16:23], v[0:7]
	v_add_nc_u32_e32 v26, 0x200, v163
	v_perm_b32 v24, v35, v33, 0x5040100
	v_perm_b32 v25, v39, v37, 0x5040100
	;; [unrolled: 1-line block ×4, first 2 shown]
	ds_load_2addr_b32 v[60:61], v26 offset0:16 offset1:160
	ds_load_b32 v119, v163 offset:1728
	ds_load_b32 v120, v164 offset:1728
	;; [unrolled: 1-line block ×5, first 2 shown]
	ds_load_2addr_b32 v[66:67], v118 offset0:44 offset1:64
	s_waitcnt lgkmcnt(5)
	v_perm_b32 v30, v56, v119, 0x5040100
	v_perm_b32 v26, v40, v60, 0x5040100
	;; [unrolled: 1-line block ×3, first 2 shown]
	s_waitcnt lgkmcnt(0)
	v_perm_b32 v31, v66, v58, 0x5040100
	s_delay_alu instid0(VALU_DEP_1)
	v_wmma_f16_16x16x16_f16 v[8:15], v[24:31], v[16:23], v[8:15]
	v_perm_b32 v26, v53, v52, 0x7060302
	v_perm_b32 v30, v55, v54, 0x7060302
	;; [unrolled: 1-line block ×8, first 2 shown]
	v_add_nc_u32_e32 v38, 0xe00, v159
	s_delay_alu instid0(VALU_DEP_2)
	v_wmma_f16_16x16x16_f16 v[0:7], v[24:31], v[16:23], v[0:7] op_sel:[0,0,1]
	v_perm_b32 v24, v35, v33, 0x7060302
	v_perm_b32 v25, v39, v37, 0x7060302
	;; [unrolled: 1-line block ×8, first 2 shown]
	v_add_nc_u32_e32 v37, 0xc00, v159
	ds_load_2addr_b32 v[40:41], v118 offset0:80 offset1:100
	ds_load_2addr_b32 v[42:43], v118 offset0:116 offset1:136
	;; [unrolled: 1-line block ×3, first 2 shown]
	v_wmma_f16_16x16x16_f16 v[8:15], v[24:31], v[16:23], v[8:15] op_sel:[0,0,1]
	v_sub_f32_e32 v16, v108, v62
	s_delay_alu instid0(VALU_DEP_1) | instskip(SKIP_1) | instid1(VALU_DEP_2)
	v_mul_f32_e32 v17, 0x3fb8aa3b, v16
	v_cmp_ngt_f32_e64 s4, 0xc2ce8ed0, v16
	v_fma_f32 v18, 0x3fb8aa3b, v16, -v17
	v_rndne_f32_e32 v19, v17
	s_delay_alu instid0(VALU_DEP_1) | instskip(SKIP_1) | instid1(VALU_DEP_2)
	v_dual_fmac_f32 v18, 0x32a5705f, v16 :: v_dual_sub_f32 v17, v17, v19
	v_cvt_i32_f32_e32 v19, v19
	v_add_f32_e32 v17, v17, v18
	v_dual_sub_f32 v18, v107, v62 :: v_dual_add_nc_u32 v107, 0x1000, v159
	s_delay_alu instid0(VALU_DEP_2) | instskip(NEXT) | instid1(VALU_DEP_1)
	v_exp_f32_e32 v17, v17
	v_mul_f32_e32 v20, 0x3fb8aa3b, v18
	v_cmp_ngt_f32_e64 s5, 0xc2ce8ed0, v18
	s_delay_alu instid0(VALU_DEP_2)
	v_fma_f32 v21, 0x3fb8aa3b, v18, -v20
	v_rndne_f32_e32 v22, v20
	s_waitcnt_depctr 0xfff
	v_ldexp_f32 v17, v17, v19
	v_fmac_f32_e32 v21, 0x32a5705f, v18
	v_sub_f32_e32 v20, v20, v22
	s_delay_alu instid0(VALU_DEP_3) | instskip(SKIP_1) | instid1(VALU_DEP_3)
	v_cndmask_b32_e64 v17, 0, v17, s4
	v_cmp_nlt_f32_e64 s4, 0x42b17218, v16
	v_add_f32_e32 v20, v20, v21
	s_delay_alu instid0(VALU_DEP_2) | instskip(NEXT) | instid1(VALU_DEP_2)
	v_cndmask_b32_e64 v17, 0x7f800000, v17, s4
	v_exp_f32_e32 v19, v20
	v_cvt_i32_f32_e32 v20, v22
	s_waitcnt_depctr 0xfff
	v_ldexp_f32 v19, v19, v20
	ds_bpermute_b32 v20, v63, v17
	v_cndmask_b32_e64 v16, 0, v19, s5
	v_cmp_nlt_f32_e64 s5, 0x42b17218, v18
	s_delay_alu instid0(VALU_DEP_1) | instskip(SKIP_4) | instid1(VALU_DEP_2)
	v_cndmask_b32_e64 v16, 0x7f800000, v16, s5
	ds_bpermute_b32 v18, v63, v16
	s_waitcnt lgkmcnt(0)
	v_cndmask_b32_e64 v19, v16, v18, s1
	v_cndmask_b32_e32 v18, v16, v18, vcc_lo
	v_cndmask_b32_e64 v21, v19, v17, s2
	s_delay_alu instid0(VALU_DEP_2) | instskip(SKIP_2) | instid1(VALU_DEP_4)
	v_cndmask_b32_e64 v22, v18, v17, s3
	v_cvt_f16_f32_e32 v19, v19
	v_cvt_f16_f32_e32 v18, v18
	v_cndmask_b32_e64 v21, v21, v20, s1
	s_delay_alu instid0(VALU_DEP_4) | instskip(NEXT) | instid1(VALU_DEP_3)
	v_cndmask_b32_e32 v20, v22, v20, vcc_lo
	v_pack_b32_f16 v24, v19, v18
	v_sub_f32_e32 v18, v106, v62
	s_delay_alu instid0(VALU_DEP_4) | instskip(NEXT) | instid1(VALU_DEP_4)
	v_cvt_f16_f32_e32 v22, v21
	v_cvt_f16_f32_e32 v23, v20
	s_delay_alu instid0(VALU_DEP_3) | instskip(SKIP_1) | instid1(VALU_DEP_3)
	v_mul_f32_e32 v19, 0x3fb8aa3b, v18
	v_cmp_ngt_f32_e64 s4, 0xc2ce8ed0, v18
	v_pack_b32_f16 v25, v22, v23
	s_delay_alu instid0(VALU_DEP_3) | instskip(SKIP_1) | instid1(VALU_DEP_1)
	v_fma_f32 v22, 0x3fb8aa3b, v18, -v19
	v_rndne_f32_e32 v23, v19
	v_dual_fmac_f32 v22, 0x32a5705f, v18 :: v_dual_sub_f32 v19, v19, v23
	s_delay_alu instid0(VALU_DEP_1) | instskip(SKIP_1) | instid1(VALU_DEP_2)
	v_add_f32_e32 v19, v19, v22
	v_cvt_i32_f32_e32 v22, v23
	v_exp_f32_e32 v19, v19
	s_waitcnt_depctr 0xfff
	v_ldexp_f32 v19, v19, v22
	s_delay_alu instid0(VALU_DEP_1) | instskip(SKIP_1) | instid1(VALU_DEP_1)
	v_cndmask_b32_e64 v19, 0, v19, s4
	v_cmp_nlt_f32_e64 s4, 0x42b17218, v18
	v_cndmask_b32_e64 v18, 0x7f800000, v19, s4
	s_delay_alu instid0(VALU_DEP_1) | instskip(SKIP_4) | instid1(VALU_DEP_2)
	v_cndmask_b32_e64 v19, v21, v18, s2
	ds_bpermute_b32 v21, v63, v18
	v_cndmask_b32_e64 v20, v20, v18, s3
	s_waitcnt lgkmcnt(0)
	v_cndmask_b32_e64 v22, v19, v21, s1
	v_cndmask_b32_e32 v20, v20, v21, vcc_lo
	s_delay_alu instid0(VALU_DEP_2) | instskip(NEXT) | instid1(VALU_DEP_2)
	v_cvt_f16_f32_e32 v19, v22
	v_cvt_f16_f32_e32 v21, v20
	s_delay_alu instid0(VALU_DEP_1) | instskip(SKIP_1) | instid1(VALU_DEP_1)
	v_pack_b32_f16 v26, v19, v21
	v_sub_f32_e32 v19, v105, v62
	v_mul_f32_e32 v21, 0x3fb8aa3b, v19
	v_cmp_ngt_f32_e64 s4, 0xc2ce8ed0, v19
	s_delay_alu instid0(VALU_DEP_2) | instskip(SKIP_1) | instid1(VALU_DEP_2)
	v_fma_f32 v23, 0x3fb8aa3b, v19, -v21
	v_rndne_f32_e32 v27, v21
	v_fmac_f32_e32 v23, 0x32a5705f, v19
	s_delay_alu instid0(VALU_DEP_2) | instskip(NEXT) | instid1(VALU_DEP_1)
	v_sub_f32_e32 v21, v21, v27
	v_add_f32_e32 v21, v21, v23
	v_cvt_i32_f32_e32 v23, v27
	s_delay_alu instid0(VALU_DEP_2) | instskip(SKIP_2) | instid1(VALU_DEP_1)
	v_exp_f32_e32 v21, v21
	s_waitcnt_depctr 0xfff
	v_ldexp_f32 v21, v21, v23
	v_cndmask_b32_e64 v21, 0, v21, s4
	v_cmp_nlt_f32_e64 s4, 0x42b17218, v19
	s_delay_alu instid0(VALU_DEP_1) | instskip(NEXT) | instid1(VALU_DEP_1)
	v_cndmask_b32_e64 v19, 0x7f800000, v21, s4
	v_cndmask_b32_e64 v21, v22, v19, s2
	ds_bpermute_b32 v22, v63, v19
	v_cndmask_b32_e64 v20, v20, v19, s3
	s_waitcnt lgkmcnt(0)
	v_cndmask_b32_e64 v21, v21, v22, s1
	s_delay_alu instid0(VALU_DEP_2) | instskip(NEXT) | instid1(VALU_DEP_2)
	v_cndmask_b32_e32 v22, v20, v22, vcc_lo
	v_cvt_f16_f32_e32 v20, v21
	s_delay_alu instid0(VALU_DEP_2) | instskip(NEXT) | instid1(VALU_DEP_1)
	v_cvt_f16_f32_e32 v23, v22
	v_pack_b32_f16 v27, v20, v23
	v_sub_f32_e32 v20, v104, v62
	s_delay_alu instid0(VALU_DEP_1) | instskip(SKIP_1) | instid1(VALU_DEP_2)
	v_mul_f32_e32 v23, 0x3fb8aa3b, v20
	v_cmp_ngt_f32_e64 s4, 0xc2ce8ed0, v20
	v_fma_f32 v28, 0x3fb8aa3b, v20, -v23
	v_rndne_f32_e32 v29, v23
	s_delay_alu instid0(VALU_DEP_1) | instskip(NEXT) | instid1(VALU_DEP_1)
	v_dual_fmac_f32 v28, 0x32a5705f, v20 :: v_dual_sub_f32 v23, v23, v29
	v_add_f32_e32 v23, v23, v28
	v_cvt_i32_f32_e32 v28, v29
	s_delay_alu instid0(VALU_DEP_2) | instskip(SKIP_2) | instid1(VALU_DEP_1)
	v_exp_f32_e32 v23, v23
	s_waitcnt_depctr 0xfff
	v_ldexp_f32 v23, v23, v28
	v_cndmask_b32_e64 v23, 0, v23, s4
	v_cmp_nlt_f32_e64 s4, 0x42b17218, v20
	s_delay_alu instid0(VALU_DEP_1) | instskip(SKIP_4) | instid1(VALU_DEP_2)
	v_cndmask_b32_e64 v20, 0x7f800000, v23, s4
	ds_bpermute_b32 v23, v63, v20
	v_cndmask_b32_e64 v21, v21, v20, s2
	v_cndmask_b32_e64 v22, v22, v20, s3
	s_waitcnt lgkmcnt(0)
	v_cndmask_b32_e64 v29, v21, v23, s1
	s_delay_alu instid0(VALU_DEP_2) | instskip(NEXT) | instid1(VALU_DEP_2)
	v_cndmask_b32_e32 v22, v22, v23, vcc_lo
	v_cvt_f16_f32_e32 v21, v29
	s_delay_alu instid0(VALU_DEP_2) | instskip(NEXT) | instid1(VALU_DEP_1)
	v_cvt_f16_f32_e32 v23, v22
	v_pack_b32_f16 v28, v21, v23
	v_sub_f32_e32 v21, v103, v62
	s_delay_alu instid0(VALU_DEP_1) | instskip(SKIP_1) | instid1(VALU_DEP_2)
	v_mul_f32_e32 v23, 0x3fb8aa3b, v21
	v_cmp_ngt_f32_e64 s4, 0xc2ce8ed0, v21
	v_fma_f32 v30, 0x3fb8aa3b, v21, -v23
	v_rndne_f32_e32 v31, v23
	s_delay_alu instid0(VALU_DEP_1) | instskip(NEXT) | instid1(VALU_DEP_1)
	v_dual_fmac_f32 v30, 0x32a5705f, v21 :: v_dual_sub_f32 v23, v23, v31
	v_add_f32_e32 v23, v23, v30
	v_cvt_i32_f32_e32 v30, v31
	s_delay_alu instid0(VALU_DEP_2) | instskip(SKIP_2) | instid1(VALU_DEP_1)
	v_exp_f32_e32 v23, v23
	s_waitcnt_depctr 0xfff
	v_ldexp_f32 v23, v23, v30
	v_cndmask_b32_e64 v23, 0, v23, s4
	v_cmp_nlt_f32_e64 s4, 0x42b17218, v21
	s_delay_alu instid0(VALU_DEP_1) | instskip(NEXT) | instid1(VALU_DEP_1)
	v_cndmask_b32_e64 v21, 0x7f800000, v23, s4
	v_cndmask_b32_e64 v23, v29, v21, s2
	ds_bpermute_b32 v29, v63, v21
	v_cndmask_b32_e64 v22, v22, v21, s3
	s_waitcnt lgkmcnt(0)
	v_cndmask_b32_e64 v23, v23, v29, s1
	s_delay_alu instid0(VALU_DEP_2) | instskip(NEXT) | instid1(VALU_DEP_2)
	v_cndmask_b32_e32 v30, v22, v29, vcc_lo
	v_cvt_f16_f32_e32 v22, v23
	s_delay_alu instid0(VALU_DEP_2) | instskip(NEXT) | instid1(VALU_DEP_1)
	v_cvt_f16_f32_e32 v29, v30
	v_pack_b32_f16 v29, v22, v29
	v_sub_f32_e32 v22, v102, v62
	s_delay_alu instid0(VALU_DEP_1) | instskip(SKIP_1) | instid1(VALU_DEP_2)
	v_mul_f32_e32 v31, 0x3fb8aa3b, v22
	v_cmp_ngt_f32_e64 s4, 0xc2ce8ed0, v22
	v_fma_f32 v32, 0x3fb8aa3b, v22, -v31
	v_rndne_f32_e32 v33, v31
	s_delay_alu instid0(VALU_DEP_1) | instskip(NEXT) | instid1(VALU_DEP_1)
	v_dual_fmac_f32 v32, 0x32a5705f, v22 :: v_dual_sub_f32 v31, v31, v33
	v_add_f32_e32 v31, v31, v32
	v_cvt_i32_f32_e32 v32, v33
	s_delay_alu instid0(VALU_DEP_2) | instskip(SKIP_2) | instid1(VALU_DEP_1)
	v_exp_f32_e32 v31, v31
	s_waitcnt_depctr 0xfff
	v_ldexp_f32 v31, v31, v32
	v_cndmask_b32_e64 v31, 0, v31, s4
	v_cmp_nlt_f32_e64 s4, 0x42b17218, v22
	s_delay_alu instid0(VALU_DEP_1) | instskip(SKIP_4) | instid1(VALU_DEP_2)
	v_cndmask_b32_e64 v22, 0x7f800000, v31, s4
	ds_bpermute_b32 v31, v63, v22
	v_cndmask_b32_e64 v23, v23, v22, s2
	v_cndmask_b32_e64 v30, v30, v22, s3
	s_waitcnt lgkmcnt(0)
	v_cndmask_b32_e64 v32, v23, v31, s1
	s_delay_alu instid0(VALU_DEP_2) | instskip(NEXT) | instid1(VALU_DEP_2)
	v_cndmask_b32_e32 v31, v30, v31, vcc_lo
	v_cvt_f16_f32_e32 v23, v32
	s_delay_alu instid0(VALU_DEP_2) | instskip(NEXT) | instid1(VALU_DEP_1)
	v_cvt_f16_f32_e32 v30, v31
	v_pack_b32_f16 v30, v23, v30
	v_sub_f32_e32 v23, v101, v62
	s_delay_alu instid0(VALU_DEP_1) | instskip(SKIP_1) | instid1(VALU_DEP_2)
	v_mul_f32_e32 v33, 0x3fb8aa3b, v23
	v_cmp_ngt_f32_e64 s4, 0xc2ce8ed0, v23
	v_fma_f32 v34, 0x3fb8aa3b, v23, -v33
	v_rndne_f32_e32 v35, v33
	s_delay_alu instid0(VALU_DEP_2) | instskip(NEXT) | instid1(VALU_DEP_2)
	v_fmac_f32_e32 v34, 0x32a5705f, v23
	v_sub_f32_e32 v33, v33, v35
	s_delay_alu instid0(VALU_DEP_1) | instskip(SKIP_1) | instid1(VALU_DEP_2)
	v_add_f32_e32 v33, v33, v34
	v_cvt_i32_f32_e32 v34, v35
	v_exp_f32_e32 v33, v33
	s_waitcnt_depctr 0xfff
	v_ldexp_f32 v33, v33, v34
	v_add_nc_u32_e32 v34, 0x200, v160
	ds_load_2addr_b32 v[46:47], v34 offset0:16 offset1:160
	ds_load_2addr_b32 v[48:49], v118 offset0:188 offset1:244
	v_cndmask_b32_e64 v33, 0, v33, s4
	v_cmp_nlt_f32_e64 s4, 0x42b17218, v23
	ds_load_2addr_b32 v[50:51], v37 offset0:4 offset1:24
	ds_load_2addr_b32 v[52:53], v37 offset0:40 offset1:60
	;; [unrolled: 1-line block ×6, first 2 shown]
	ds_load_b32 v66, v160 offset:1728
	ds_load_b32 v105, v161 offset:1728
	;; [unrolled: 1-line block ×3, first 2 shown]
	v_cndmask_b32_e64 v23, 0x7f800000, v33, s4
	ds_load_2addr_b32 v[101:102], v107 offset0:36 offset1:56
	ds_load_2addr_b32 v[103:104], v107 offset0:72 offset1:92
	ds_bpermute_b32 v33, v63, v23
	v_cndmask_b32_e64 v32, v32, v23, s2
	v_cndmask_b32_e64 v31, v31, v23, s3
	s_waitcnt lgkmcnt(12)
	v_perm_b32 v34, v49, v46, 0x5040100
	s_waitcnt lgkmcnt(10)
	v_perm_b32 v35, v53, v51, 0x5040100
	;; [unrolled: 2-line block ×6, first 2 shown]
	s_waitcnt lgkmcnt(0)
	v_cndmask_b32_e64 v32, v32, v33, s1
	v_cndmask_b32_e32 v31, v31, v33, vcc_lo
	v_perm_b32 v33, v45, v43, 0x5040100
	s_delay_alu instid0(VALU_DEP_3) | instskip(NEXT) | instid1(VALU_DEP_3)
	v_cvt_f16_f32_e32 v32, v32
	v_cvt_f16_f32_e32 v31, v31
	s_delay_alu instid0(VALU_DEP_1) | instskip(SKIP_1) | instid1(VALU_DEP_1)
	v_pack_b32_f16 v31, v32, v31
	v_perm_b32 v32, v41, v67, 0x5040100
	v_wmma_f16_16x16x16_f16 v[0:7], v[32:39], v[24:31], v[0:7]
	v_perm_b32 v32, v41, v67, 0x7060302
	v_perm_b32 v34, v49, v46, 0x7060302
	;; [unrolled: 1-line block ×8, first 2 shown]
	ds_load_2addr_b32 v[66:67], v107 offset0:108 offset1:128
	v_wmma_f16_16x16x16_f16 v[0:7], v[32:39], v[24:31], v[0:7] op_sel:[0,0,1]
	v_add_nc_u32_e32 v34, 0x200, v164
	v_perm_b32 v32, v42, v40, 0x5040100
	v_perm_b32 v33, v48, v44, 0x5040100
	;; [unrolled: 1-line block ×4, first 2 shown]
	ds_load_2addr_b32 v[45:46], v34 offset0:16 offset1:160
	v_perm_b32 v38, v101, v120, 0x5040100
	s_waitcnt lgkmcnt(1)
	v_perm_b32 v39, v66, v103, 0x5040100
	s_waitcnt lgkmcnt(0)
	v_perm_b32 v34, v50, v45, 0x5040100
	v_perm_b32 v36, v56, v46, 0x5040100
	s_delay_alu instid0(VALU_DEP_1)
	v_wmma_f16_16x16x16_f16 v[8:15], v[32:39], v[24:31], v[8:15]
	v_perm_b32 v32, v42, v40, 0x7060302
	v_perm_b32 v33, v48, v44, 0x7060302
	;; [unrolled: 1-line block ×8, first 2 shown]
	ds_load_2addr_b32 v[40:41], v107 offset0:144 offset1:164
	ds_load_2addr_b32 v[42:43], v107 offset0:180 offset1:200
	;; [unrolled: 1-line block ×3, first 2 shown]
	v_add_nc_u32_e32 v107, 0x1800, v159
	v_wmma_f16_16x16x16_f16 v[8:15], v[32:39], v[24:31], v[8:15] op_sel:[0,0,1]
	v_sub_f32_e32 v24, v100, v62
	v_add_nc_u32_e32 v38, 0x1600, v159
	v_add_nc_u32_e32 v37, 0x1400, v159
	s_delay_alu instid0(VALU_DEP_3) | instskip(SKIP_1) | instid1(VALU_DEP_2)
	v_mul_f32_e32 v25, 0x3fb8aa3b, v24
	v_cmp_ngt_f32_e64 s4, 0xc2ce8ed0, v24
	v_fma_f32 v26, 0x3fb8aa3b, v24, -v25
	v_rndne_f32_e32 v27, v25
	s_delay_alu instid0(VALU_DEP_1) | instskip(SKIP_1) | instid1(VALU_DEP_2)
	v_dual_fmac_f32 v26, 0x32a5705f, v24 :: v_dual_sub_f32 v25, v25, v27
	v_cvt_i32_f32_e32 v27, v27
	v_add_f32_e32 v25, v25, v26
	v_sub_f32_e32 v26, v99, v62
	s_delay_alu instid0(VALU_DEP_2) | instskip(NEXT) | instid1(VALU_DEP_1)
	v_exp_f32_e32 v25, v25
	v_mul_f32_e32 v28, 0x3fb8aa3b, v26
	v_cmp_ngt_f32_e64 s5, 0xc2ce8ed0, v26
	s_delay_alu instid0(VALU_DEP_2)
	v_fma_f32 v29, 0x3fb8aa3b, v26, -v28
	v_rndne_f32_e32 v30, v28
	s_waitcnt_depctr 0xfff
	v_ldexp_f32 v25, v25, v27
	v_fmac_f32_e32 v29, 0x32a5705f, v26
	v_sub_f32_e32 v28, v28, v30
	s_delay_alu instid0(VALU_DEP_3) | instskip(SKIP_1) | instid1(VALU_DEP_3)
	v_cndmask_b32_e64 v25, 0, v25, s4
	v_cmp_nlt_f32_e64 s4, 0x42b17218, v24
	v_add_f32_e32 v28, v28, v29
	s_delay_alu instid0(VALU_DEP_2) | instskip(NEXT) | instid1(VALU_DEP_2)
	v_cndmask_b32_e64 v100, 0x7f800000, v25, s4
	v_exp_f32_e32 v27, v28
	v_cvt_i32_f32_e32 v28, v30
	s_waitcnt_depctr 0xfff
	v_ldexp_f32 v27, v27, v28
	s_delay_alu instid0(VALU_DEP_1)
	v_cndmask_b32_e64 v24, 0, v27, s5
	v_cmp_nlt_f32_e64 s5, 0x42b17218, v26
	ds_bpermute_b32 v26, v63, v100
	v_cndmask_b32_e64 v99, 0x7f800000, v24, s5
	ds_bpermute_b32 v24, v63, v99
	s_waitcnt lgkmcnt(0)
	v_cndmask_b32_e64 v25, v99, v24, s1
	v_cndmask_b32_e32 v24, v99, v24, vcc_lo
	s_delay_alu instid0(VALU_DEP_2) | instskip(NEXT) | instid1(VALU_DEP_2)
	v_cndmask_b32_e64 v27, v25, v100, s2
	v_cndmask_b32_e64 v28, v24, v100, s3
	v_cvt_f16_f32_e32 v25, v25
	v_cvt_f16_f32_e32 v24, v24
	s_delay_alu instid0(VALU_DEP_4) | instskip(NEXT) | instid1(VALU_DEP_4)
	v_cndmask_b32_e64 v27, v27, v26, s1
	v_cndmask_b32_e32 v26, v28, v26, vcc_lo
	s_delay_alu instid0(VALU_DEP_3) | instskip(NEXT) | instid1(VALU_DEP_3)
	v_pack_b32_f16 v24, v25, v24
	v_cvt_f16_f32_e32 v28, v27
	s_delay_alu instid0(VALU_DEP_3) | instskip(NEXT) | instid1(VALU_DEP_1)
	v_cvt_f16_f32_e32 v29, v26
	v_pack_b32_f16 v25, v28, v29
	v_sub_f32_e32 v28, v98, v62
	s_delay_alu instid0(VALU_DEP_1) | instskip(SKIP_1) | instid1(VALU_DEP_2)
	v_mul_f32_e32 v29, 0x3fb8aa3b, v28
	v_cmp_ngt_f32_e64 s4, 0xc2ce8ed0, v28
	v_fma_f32 v30, 0x3fb8aa3b, v28, -v29
	v_rndne_f32_e32 v31, v29
	s_delay_alu instid0(VALU_DEP_1) | instskip(NEXT) | instid1(VALU_DEP_1)
	v_dual_fmac_f32 v30, 0x32a5705f, v28 :: v_dual_sub_f32 v29, v29, v31
	v_add_f32_e32 v29, v29, v30
	v_cvt_i32_f32_e32 v30, v31
	s_delay_alu instid0(VALU_DEP_2) | instskip(SKIP_2) | instid1(VALU_DEP_1)
	v_exp_f32_e32 v29, v29
	s_waitcnt_depctr 0xfff
	v_ldexp_f32 v29, v29, v30
	v_cndmask_b32_e64 v29, 0, v29, s4
	v_cmp_nlt_f32_e64 s4, 0x42b17218, v28
	s_delay_alu instid0(VALU_DEP_1) | instskip(SKIP_4) | instid1(VALU_DEP_2)
	v_cndmask_b32_e64 v98, 0x7f800000, v29, s4
	ds_bpermute_b32 v28, v63, v98
	v_cndmask_b32_e64 v27, v27, v98, s2
	v_cndmask_b32_e64 v26, v26, v98, s3
	s_waitcnt lgkmcnt(0)
	v_cndmask_b32_e64 v27, v27, v28, s1
	s_delay_alu instid0(VALU_DEP_2) | instskip(NEXT) | instid1(VALU_DEP_2)
	v_cndmask_b32_e32 v28, v26, v28, vcc_lo
	v_cvt_f16_f32_e32 v26, v27
	s_delay_alu instid0(VALU_DEP_2) | instskip(NEXT) | instid1(VALU_DEP_1)
	v_cvt_f16_f32_e32 v29, v28
	v_pack_b32_f16 v26, v26, v29
	v_sub_f32_e32 v29, v97, v62
	s_delay_alu instid0(VALU_DEP_1) | instskip(SKIP_1) | instid1(VALU_DEP_2)
	v_mul_f32_e32 v30, 0x3fb8aa3b, v29
	v_cmp_ngt_f32_e64 s4, 0xc2ce8ed0, v29
	v_fma_f32 v31, 0x3fb8aa3b, v29, -v30
	v_rndne_f32_e32 v32, v30
	s_delay_alu instid0(VALU_DEP_1) | instskip(NEXT) | instid1(VALU_DEP_1)
	v_dual_fmac_f32 v31, 0x32a5705f, v29 :: v_dual_sub_f32 v30, v30, v32
	v_add_f32_e32 v30, v30, v31
	v_cvt_i32_f32_e32 v31, v32
	s_delay_alu instid0(VALU_DEP_2) | instskip(SKIP_2) | instid1(VALU_DEP_1)
	v_exp_f32_e32 v30, v30
	s_waitcnt_depctr 0xfff
	v_ldexp_f32 v30, v30, v31
	v_cndmask_b32_e64 v30, 0, v30, s4
	v_cmp_nlt_f32_e64 s4, 0x42b17218, v29
	s_delay_alu instid0(VALU_DEP_1) | instskip(SKIP_4) | instid1(VALU_DEP_2)
	v_cndmask_b32_e64 v97, 0x7f800000, v30, s4
	ds_bpermute_b32 v29, v63, v97
	v_cndmask_b32_e64 v27, v27, v97, s2
	v_cndmask_b32_e64 v28, v28, v97, s3
	s_waitcnt lgkmcnt(0)
	v_cndmask_b32_e64 v30, v27, v29, s1
	s_delay_alu instid0(VALU_DEP_2) | instskip(NEXT) | instid1(VALU_DEP_2)
	v_cndmask_b32_e32 v28, v28, v29, vcc_lo
	v_cvt_f16_f32_e32 v27, v30
	s_delay_alu instid0(VALU_DEP_2) | instskip(NEXT) | instid1(VALU_DEP_1)
	v_cvt_f16_f32_e32 v29, v28
	v_pack_b32_f16 v27, v27, v29
	v_sub_f32_e32 v29, v96, v62
	s_delay_alu instid0(VALU_DEP_1) | instskip(SKIP_1) | instid1(VALU_DEP_2)
	v_mul_f32_e32 v31, 0x3fb8aa3b, v29
	v_cmp_ngt_f32_e64 s4, 0xc2ce8ed0, v29
	v_fma_f32 v32, 0x3fb8aa3b, v29, -v31
	v_rndne_f32_e32 v33, v31
	s_delay_alu instid0(VALU_DEP_2) | instskip(NEXT) | instid1(VALU_DEP_2)
	v_fmac_f32_e32 v32, 0x32a5705f, v29
	v_sub_f32_e32 v31, v31, v33
	s_delay_alu instid0(VALU_DEP_1) | instskip(SKIP_1) | instid1(VALU_DEP_2)
	v_add_f32_e32 v31, v31, v32
	v_cvt_i32_f32_e32 v32, v33
	v_exp_f32_e32 v31, v31
	s_waitcnt_depctr 0xfff
	v_ldexp_f32 v31, v31, v32
	s_delay_alu instid0(VALU_DEP_1) | instskip(SKIP_1) | instid1(VALU_DEP_1)
	v_cndmask_b32_e64 v31, 0, v31, s4
	v_cmp_nlt_f32_e64 s4, 0x42b17218, v29
	v_cndmask_b32_e64 v101, 0x7f800000, v31, s4
	s_delay_alu instid0(VALU_DEP_1) | instskip(SKIP_4) | instid1(VALU_DEP_2)
	v_cndmask_b32_e64 v29, v30, v101, s2
	ds_bpermute_b32 v30, v63, v101
	v_cndmask_b32_e64 v28, v28, v101, s3
	s_waitcnt lgkmcnt(0)
	v_cndmask_b32_e64 v29, v29, v30, s1
	v_cndmask_b32_e32 v30, v28, v30, vcc_lo
	s_delay_alu instid0(VALU_DEP_2) | instskip(NEXT) | instid1(VALU_DEP_2)
	v_cvt_f16_f32_e32 v28, v29
	v_cvt_f16_f32_e32 v31, v30
	s_delay_alu instid0(VALU_DEP_1) | instskip(SKIP_1) | instid1(VALU_DEP_1)
	v_pack_b32_f16 v28, v28, v31
	v_sub_f32_e32 v31, v95, v62
	v_mul_f32_e32 v32, 0x3fb8aa3b, v31
	v_cmp_ngt_f32_e64 s4, 0xc2ce8ed0, v31
	s_delay_alu instid0(VALU_DEP_2) | instskip(SKIP_1) | instid1(VALU_DEP_1)
	v_fma_f32 v33, 0x3fb8aa3b, v31, -v32
	v_rndne_f32_e32 v34, v32
	v_dual_fmac_f32 v33, 0x32a5705f, v31 :: v_dual_sub_f32 v32, v32, v34
	s_delay_alu instid0(VALU_DEP_1) | instskip(SKIP_1) | instid1(VALU_DEP_2)
	v_add_f32_e32 v32, v32, v33
	v_cvt_i32_f32_e32 v33, v34
	v_exp_f32_e32 v32, v32
	s_waitcnt_depctr 0xfff
	v_ldexp_f32 v32, v32, v33
	s_delay_alu instid0(VALU_DEP_1) | instskip(SKIP_1) | instid1(VALU_DEP_1)
	v_cndmask_b32_e64 v32, 0, v32, s4
	v_cmp_nlt_f32_e64 s4, 0x42b17218, v31
	v_cndmask_b32_e64 v102, 0x7f800000, v32, s4
	ds_bpermute_b32 v31, v63, v102
	v_cndmask_b32_e64 v29, v29, v102, s2
	v_cndmask_b32_e64 v30, v30, v102, s3
	s_waitcnt lgkmcnt(0)
	s_delay_alu instid0(VALU_DEP_2) | instskip(NEXT) | instid1(VALU_DEP_2)
	v_cndmask_b32_e64 v32, v29, v31, s1
	v_cndmask_b32_e32 v30, v30, v31, vcc_lo
	s_delay_alu instid0(VALU_DEP_2) | instskip(NEXT) | instid1(VALU_DEP_2)
	v_cvt_f16_f32_e32 v29, v32
	v_cvt_f16_f32_e32 v31, v30
	s_delay_alu instid0(VALU_DEP_1) | instskip(SKIP_1) | instid1(VALU_DEP_1)
	v_pack_b32_f16 v29, v29, v31
	v_sub_f32_e32 v31, v94, v62
	v_mul_f32_e32 v33, 0x3fb8aa3b, v31
	v_cmp_ngt_f32_e64 s4, 0xc2ce8ed0, v31
	s_delay_alu instid0(VALU_DEP_2) | instskip(SKIP_1) | instid1(VALU_DEP_2)
	v_fma_f32 v34, 0x3fb8aa3b, v31, -v33
	v_rndne_f32_e32 v35, v33
	v_fmac_f32_e32 v34, 0x32a5705f, v31
	s_delay_alu instid0(VALU_DEP_2) | instskip(NEXT) | instid1(VALU_DEP_1)
	v_sub_f32_e32 v33, v33, v35
	v_add_f32_e32 v33, v33, v34
	v_cvt_i32_f32_e32 v34, v35
	s_delay_alu instid0(VALU_DEP_2) | instskip(SKIP_2) | instid1(VALU_DEP_1)
	v_exp_f32_e32 v33, v33
	s_waitcnt_depctr 0xfff
	v_ldexp_f32 v33, v33, v34
	v_cndmask_b32_e64 v33, 0, v33, s4
	v_cmp_nlt_f32_e64 s4, 0x42b17218, v31
	s_delay_alu instid0(VALU_DEP_1) | instskip(NEXT) | instid1(VALU_DEP_1)
	v_cndmask_b32_e64 v103, 0x7f800000, v33, s4
	v_cndmask_b32_e64 v31, v32, v103, s2
	ds_bpermute_b32 v32, v63, v103
	v_cndmask_b32_e64 v30, v30, v103, s3
	s_waitcnt lgkmcnt(0)
	v_cndmask_b32_e64 v31, v31, v32, s1
	s_delay_alu instid0(VALU_DEP_2) | instskip(NEXT) | instid1(VALU_DEP_2)
	v_cndmask_b32_e32 v32, v30, v32, vcc_lo
	v_cvt_f16_f32_e32 v30, v31
	s_delay_alu instid0(VALU_DEP_2) | instskip(NEXT) | instid1(VALU_DEP_1)
	v_cvt_f16_f32_e32 v33, v32
	v_pack_b32_f16 v30, v30, v33
	v_sub_f32_e32 v33, v93, v62
	s_delay_alu instid0(VALU_DEP_1) | instskip(SKIP_1) | instid1(VALU_DEP_2)
	v_mul_f32_e32 v34, 0x3fb8aa3b, v33
	v_cmp_ngt_f32_e64 s4, 0xc2ce8ed0, v33
	v_fma_f32 v35, 0x3fb8aa3b, v33, -v34
	v_rndne_f32_e32 v36, v34
	s_delay_alu instid0(VALU_DEP_1) | instskip(NEXT) | instid1(VALU_DEP_1)
	v_dual_fmac_f32 v35, 0x32a5705f, v33 :: v_dual_sub_f32 v34, v34, v36
	v_add_f32_e32 v34, v34, v35
	v_cvt_i32_f32_e32 v35, v36
	s_delay_alu instid0(VALU_DEP_2) | instskip(SKIP_3) | instid1(VALU_DEP_2)
	v_exp_f32_e32 v34, v34
	s_waitcnt_depctr 0xfff
	v_ldexp_f32 v34, v34, v35
	v_add_nc_u32_e32 v35, 0x1200, v159
	v_cndmask_b32_e64 v34, 0, v34, s4
	v_cmp_nlt_f32_e64 s4, 0x42b17218, v33
	s_delay_alu instid0(VALU_DEP_1)
	v_cndmask_b32_e64 v104, 0x7f800000, v34, s4
	v_add_nc_u32_e32 v34, 0x200, v161
	ds_load_2addr_b32 v[46:47], v34 offset0:16 offset1:160
	ds_load_2addr_b32 v[48:49], v35 offset0:124 offset1:180
	ds_bpermute_b32 v33, v63, v104
	ds_load_2addr_b32 v[50:51], v37 offset0:68 offset1:88
	ds_load_2addr_b32 v[52:53], v37 offset0:104 offset1:124
	;; [unrolled: 1-line block ×8, first 2 shown]
	v_cndmask_b32_e64 v32, v32, v104, s3
	v_cndmask_b32_e64 v31, v31, v104, s2
	s_waitcnt lgkmcnt(9)
	v_perm_b32 v34, v49, v46, 0x5040100
	s_waitcnt lgkmcnt(8)
	s_delay_alu instid0(VALU_DEP_2)
	v_cndmask_b32_e64 v31, v31, v33, s1
	v_cndmask_b32_e32 v32, v32, v33, vcc_lo
	v_perm_b32 v33, v45, v43, 0x5040100
	s_waitcnt lgkmcnt(6)
	v_perm_b32 v35, v53, v51, 0x5040100
	s_waitcnt lgkmcnt(5)
	v_perm_b32 v36, v55, v47, 0x5040100
	v_cvt_f16_f32_e32 v31, v31
	v_cvt_f16_f32_e32 v32, v32
	s_waitcnt lgkmcnt(3)
	v_perm_b32 v37, v59, v57, 0x5040100
	s_waitcnt lgkmcnt(2)
	v_perm_b32 v38, v61, v105, 0x5040100
	;; [unrolled: 2-line block ×3, first 2 shown]
	v_pack_b32_f16 v31, v31, v32
	v_perm_b32 v32, v41, v67, 0x5040100
	s_delay_alu instid0(VALU_DEP_1)
	v_wmma_f16_16x16x16_f16 v[0:7], v[32:39], v[24:31], v[0:7]
	v_perm_b32 v32, v41, v67, 0x7060302
	v_perm_b32 v34, v49, v46, 0x7060302
	;; [unrolled: 1-line block ×8, first 2 shown]
	ds_load_2addr_b32 v[66:67], v107 offset0:172 offset1:192
	v_wmma_f16_16x16x16_f16 v[0:7], v[32:39], v[24:31], v[0:7] op_sel:[0,0,1]
	v_add_nc_u32_e32 v34, 0x200, v165
	v_perm_b32 v32, v42, v40, 0x5040100
	v_perm_b32 v33, v48, v44, 0x5040100
	;; [unrolled: 1-line block ×4, first 2 shown]
	ds_load_2addr_b32 v[45:46], v34 offset0:16 offset1:160
	v_perm_b32 v38, v93, v121, 0x5040100
	s_waitcnt lgkmcnt(1)
	v_perm_b32 v39, v66, v95, 0x5040100
	s_waitcnt lgkmcnt(0)
	v_perm_b32 v34, v50, v45, 0x5040100
	v_perm_b32 v36, v56, v46, 0x5040100
	s_delay_alu instid0(VALU_DEP_1)
	v_wmma_f16_16x16x16_f16 v[8:15], v[32:39], v[24:31], v[8:15]
	v_perm_b32 v32, v42, v40, 0x7060302
	v_perm_b32 v33, v48, v44, 0x7060302
	;; [unrolled: 1-line block ×8, first 2 shown]
	s_delay_alu instid0(VALU_DEP_1) | instskip(SKIP_1) | instid1(VALU_DEP_1)
	v_wmma_f16_16x16x16_f16 v[8:15], v[32:39], v[24:31], v[8:15] op_sel:[0,0,1]
	v_dual_sub_f32 v24, v92, v62 :: v_dual_add_nc_u32 v39, 0x2000, v159
	v_mul_f32_e32 v25, 0x3fb8aa3b, v24
	v_cmp_ngt_f32_e64 s4, 0xc2ce8ed0, v24
	s_delay_alu instid0(VALU_DEP_2) | instskip(SKIP_1) | instid1(VALU_DEP_1)
	v_fma_f32 v26, 0x3fb8aa3b, v24, -v25
	v_rndne_f32_e32 v27, v25
	v_dual_fmac_f32 v26, 0x32a5705f, v24 :: v_dual_sub_f32 v25, v25, v27
	v_cvt_i32_f32_e32 v27, v27
	s_delay_alu instid0(VALU_DEP_2) | instskip(SKIP_1) | instid1(VALU_DEP_2)
	v_add_f32_e32 v25, v25, v26
	v_sub_f32_e32 v26, v91, v62
	v_exp_f32_e32 v25, v25
	s_delay_alu instid0(VALU_DEP_1) | instskip(SKIP_1) | instid1(VALU_DEP_2)
	v_mul_f32_e32 v28, 0x3fb8aa3b, v26
	v_cmp_ngt_f32_e64 s5, 0xc2ce8ed0, v26
	v_fma_f32 v29, 0x3fb8aa3b, v26, -v28
	v_rndne_f32_e32 v30, v28
	s_waitcnt_depctr 0xfff
	v_ldexp_f32 v25, v25, v27
	v_fmac_f32_e32 v29, 0x32a5705f, v26
	v_sub_f32_e32 v28, v28, v30
	s_delay_alu instid0(VALU_DEP_3) | instskip(SKIP_1) | instid1(VALU_DEP_3)
	v_cndmask_b32_e64 v25, 0, v25, s4
	v_cmp_nlt_f32_e64 s4, 0x42b17218, v24
	v_add_f32_e32 v28, v28, v29
	s_delay_alu instid0(VALU_DEP_2) | instskip(NEXT) | instid1(VALU_DEP_2)
	v_cndmask_b32_e64 v91, 0x7f800000, v25, s4
	v_exp_f32_e32 v27, v28
	v_cvt_i32_f32_e32 v28, v30
	s_waitcnt_depctr 0xfff
	v_ldexp_f32 v27, v27, v28
	s_delay_alu instid0(VALU_DEP_1)
	v_cndmask_b32_e64 v24, 0, v27, s5
	v_cmp_nlt_f32_e64 s5, 0x42b17218, v26
	ds_bpermute_b32 v26, v63, v91
	v_cndmask_b32_e64 v66, 0x7f800000, v24, s5
	ds_bpermute_b32 v24, v63, v66
	s_waitcnt lgkmcnt(0)
	v_cndmask_b32_e32 v25, v66, v24, vcc_lo
	v_cndmask_b32_e64 v24, v66, v24, s1
	s_delay_alu instid0(VALU_DEP_2) | instskip(NEXT) | instid1(VALU_DEP_2)
	v_cndmask_b32_e64 v28, v25, v91, s3
	v_cndmask_b32_e64 v27, v24, v91, s2
	v_cvt_f16_f32_e32 v24, v24
	v_cvt_f16_f32_e32 v25, v25
	s_delay_alu instid0(VALU_DEP_3) | instskip(SKIP_1) | instid1(VALU_DEP_3)
	v_cndmask_b32_e64 v27, v27, v26, s1
	v_cndmask_b32_e32 v26, v28, v26, vcc_lo
	v_pack_b32_f16 v24, v24, v25
	s_delay_alu instid0(VALU_DEP_3) | instskip(NEXT) | instid1(VALU_DEP_3)
	v_cvt_f16_f32_e32 v28, v27
	v_cvt_f16_f32_e32 v29, v26
	s_delay_alu instid0(VALU_DEP_1) | instskip(SKIP_1) | instid1(VALU_DEP_1)
	v_pack_b32_f16 v25, v28, v29
	v_sub_f32_e32 v28, v90, v62
	v_mul_f32_e32 v29, 0x3fb8aa3b, v28
	v_cmp_ngt_f32_e64 s4, 0xc2ce8ed0, v28
	s_delay_alu instid0(VALU_DEP_2) | instskip(SKIP_1) | instid1(VALU_DEP_1)
	v_fma_f32 v30, 0x3fb8aa3b, v28, -v29
	v_rndne_f32_e32 v31, v29
	v_dual_fmac_f32 v30, 0x32a5705f, v28 :: v_dual_sub_f32 v29, v29, v31
	s_delay_alu instid0(VALU_DEP_1) | instskip(SKIP_1) | instid1(VALU_DEP_2)
	v_add_f32_e32 v29, v29, v30
	v_cvt_i32_f32_e32 v30, v31
	v_exp_f32_e32 v29, v29
	s_waitcnt_depctr 0xfff
	v_ldexp_f32 v29, v29, v30
	s_delay_alu instid0(VALU_DEP_1) | instskip(SKIP_1) | instid1(VALU_DEP_1)
	v_cndmask_b32_e64 v29, 0, v29, s4
	v_cmp_nlt_f32_e64 s4, 0x42b17218, v28
	v_cndmask_b32_e64 v92, 0x7f800000, v29, s4
	ds_bpermute_b32 v28, v63, v92
	v_cndmask_b32_e64 v26, v26, v92, s3
	v_cndmask_b32_e64 v27, v27, v92, s2
	s_waitcnt lgkmcnt(0)
	s_delay_alu instid0(VALU_DEP_1) | instskip(NEXT) | instid1(VALU_DEP_3)
	v_cndmask_b32_e64 v27, v27, v28, s1
	v_cndmask_b32_e32 v28, v26, v28, vcc_lo
	s_delay_alu instid0(VALU_DEP_2) | instskip(NEXT) | instid1(VALU_DEP_2)
	v_cvt_f16_f32_e32 v26, v27
	v_cvt_f16_f32_e32 v29, v28
	s_delay_alu instid0(VALU_DEP_1) | instskip(SKIP_1) | instid1(VALU_DEP_1)
	v_pack_b32_f16 v26, v26, v29
	v_sub_f32_e32 v29, v89, v62
	v_mul_f32_e32 v30, 0x3fb8aa3b, v29
	v_cmp_ngt_f32_e64 s4, 0xc2ce8ed0, v29
	s_delay_alu instid0(VALU_DEP_2) | instskip(SKIP_1) | instid1(VALU_DEP_1)
	v_fma_f32 v31, 0x3fb8aa3b, v29, -v30
	v_rndne_f32_e32 v32, v30
	v_dual_fmac_f32 v31, 0x32a5705f, v29 :: v_dual_sub_f32 v30, v30, v32
	s_delay_alu instid0(VALU_DEP_1) | instskip(SKIP_1) | instid1(VALU_DEP_2)
	v_add_f32_e32 v30, v30, v31
	v_cvt_i32_f32_e32 v31, v32
	v_exp_f32_e32 v30, v30
	s_waitcnt_depctr 0xfff
	v_ldexp_f32 v30, v30, v31
	s_delay_alu instid0(VALU_DEP_1) | instskip(SKIP_1) | instid1(VALU_DEP_1)
	v_cndmask_b32_e64 v30, 0, v30, s4
	v_cmp_nlt_f32_e64 s4, 0x42b17218, v29
	v_cndmask_b32_e64 v93, 0x7f800000, v30, s4
	ds_bpermute_b32 v29, v63, v93
	v_cndmask_b32_e64 v28, v28, v93, s3
	v_cndmask_b32_e64 v27, v27, v93, s2
	s_waitcnt lgkmcnt(0)
	s_delay_alu instid0(VALU_DEP_1) | instskip(NEXT) | instid1(VALU_DEP_3)
	v_cndmask_b32_e64 v30, v27, v29, s1
	v_cndmask_b32_e32 v28, v28, v29, vcc_lo
	s_delay_alu instid0(VALU_DEP_2) | instskip(NEXT) | instid1(VALU_DEP_2)
	v_cvt_f16_f32_e32 v27, v30
	v_cvt_f16_f32_e32 v29, v28
	s_delay_alu instid0(VALU_DEP_1) | instskip(SKIP_1) | instid1(VALU_DEP_1)
	v_pack_b32_f16 v27, v27, v29
	v_sub_f32_e32 v29, v88, v62
	v_mul_f32_e32 v31, 0x3fb8aa3b, v29
	v_cmp_ngt_f32_e64 s4, 0xc2ce8ed0, v29
	s_delay_alu instid0(VALU_DEP_2) | instskip(SKIP_1) | instid1(VALU_DEP_2)
	v_fma_f32 v32, 0x3fb8aa3b, v29, -v31
	v_rndne_f32_e32 v33, v31
	v_fmac_f32_e32 v32, 0x32a5705f, v29
	s_delay_alu instid0(VALU_DEP_2) | instskip(NEXT) | instid1(VALU_DEP_1)
	v_sub_f32_e32 v31, v31, v33
	v_add_f32_e32 v31, v31, v32
	v_cvt_i32_f32_e32 v32, v33
	s_delay_alu instid0(VALU_DEP_2) | instskip(SKIP_2) | instid1(VALU_DEP_1)
	v_exp_f32_e32 v31, v31
	s_waitcnt_depctr 0xfff
	v_ldexp_f32 v31, v31, v32
	v_cndmask_b32_e64 v31, 0, v31, s4
	v_cmp_nlt_f32_e64 s4, 0x42b17218, v29
	s_delay_alu instid0(VALU_DEP_1) | instskip(NEXT) | instid1(VALU_DEP_1)
	v_cndmask_b32_e64 v94, 0x7f800000, v31, s4
	v_cndmask_b32_e64 v29, v30, v94, s2
	ds_bpermute_b32 v30, v63, v94
	v_cndmask_b32_e64 v28, v28, v94, s3
	s_waitcnt lgkmcnt(0)
	v_cndmask_b32_e64 v29, v29, v30, s1
	s_delay_alu instid0(VALU_DEP_2) | instskip(NEXT) | instid1(VALU_DEP_2)
	v_cndmask_b32_e32 v30, v28, v30, vcc_lo
	v_cvt_f16_f32_e32 v28, v29
	s_delay_alu instid0(VALU_DEP_2) | instskip(NEXT) | instid1(VALU_DEP_1)
	v_cvt_f16_f32_e32 v31, v30
	v_pack_b32_f16 v28, v28, v31
	v_sub_f32_e32 v31, v87, v62
	s_delay_alu instid0(VALU_DEP_1) | instskip(SKIP_1) | instid1(VALU_DEP_2)
	v_mul_f32_e32 v32, 0x3fb8aa3b, v31
	v_cmp_ngt_f32_e64 s4, 0xc2ce8ed0, v31
	v_fma_f32 v33, 0x3fb8aa3b, v31, -v32
	v_rndne_f32_e32 v34, v32
	s_delay_alu instid0(VALU_DEP_1) | instskip(NEXT) | instid1(VALU_DEP_1)
	v_dual_fmac_f32 v33, 0x32a5705f, v31 :: v_dual_sub_f32 v32, v32, v34
	v_add_f32_e32 v32, v32, v33
	v_cvt_i32_f32_e32 v33, v34
	s_delay_alu instid0(VALU_DEP_2) | instskip(SKIP_2) | instid1(VALU_DEP_1)
	v_exp_f32_e32 v32, v32
	s_waitcnt_depctr 0xfff
	v_ldexp_f32 v32, v32, v33
	v_cndmask_b32_e64 v32, 0, v32, s4
	v_cmp_nlt_f32_e64 s4, 0x42b17218, v31
	s_delay_alu instid0(VALU_DEP_1) | instskip(SKIP_4) | instid1(VALU_DEP_1)
	v_cndmask_b32_e64 v95, 0x7f800000, v32, s4
	ds_bpermute_b32 v31, v63, v95
	v_cndmask_b32_e64 v30, v30, v95, s3
	v_cndmask_b32_e64 v29, v29, v95, s2
	s_waitcnt lgkmcnt(0)
	v_cndmask_b32_e64 v32, v29, v31, s1
	s_delay_alu instid0(VALU_DEP_3) | instskip(NEXT) | instid1(VALU_DEP_2)
	v_cndmask_b32_e32 v30, v30, v31, vcc_lo
	v_cvt_f16_f32_e32 v29, v32
	s_delay_alu instid0(VALU_DEP_2) | instskip(NEXT) | instid1(VALU_DEP_1)
	v_cvt_f16_f32_e32 v31, v30
	v_pack_b32_f16 v29, v29, v31
	v_sub_f32_e32 v31, v86, v62
	s_delay_alu instid0(VALU_DEP_1) | instskip(SKIP_1) | instid1(VALU_DEP_2)
	v_mul_f32_e32 v33, 0x3fb8aa3b, v31
	v_cmp_ngt_f32_e64 s4, 0xc2ce8ed0, v31
	v_fma_f32 v34, 0x3fb8aa3b, v31, -v33
	v_rndne_f32_e32 v35, v33
	s_delay_alu instid0(VALU_DEP_2) | instskip(NEXT) | instid1(VALU_DEP_2)
	v_fmac_f32_e32 v34, 0x32a5705f, v31
	v_sub_f32_e32 v33, v33, v35
	s_delay_alu instid0(VALU_DEP_1) | instskip(SKIP_1) | instid1(VALU_DEP_2)
	v_add_f32_e32 v33, v33, v34
	v_cvt_i32_f32_e32 v34, v35
	v_exp_f32_e32 v33, v33
	s_waitcnt_depctr 0xfff
	v_ldexp_f32 v33, v33, v34
	s_delay_alu instid0(VALU_DEP_1) | instskip(SKIP_1) | instid1(VALU_DEP_1)
	v_cndmask_b32_e64 v33, 0, v33, s4
	v_cmp_nlt_f32_e64 s4, 0x42b17218, v31
	v_cndmask_b32_e64 v96, 0x7f800000, v33, s4
	s_delay_alu instid0(VALU_DEP_1) | instskip(SKIP_4) | instid1(VALU_DEP_2)
	v_cndmask_b32_e64 v31, v32, v96, s2
	ds_bpermute_b32 v32, v63, v96
	v_cndmask_b32_e64 v30, v30, v96, s3
	s_waitcnt lgkmcnt(0)
	v_cndmask_b32_e64 v31, v31, v32, s1
	v_cndmask_b32_e32 v32, v30, v32, vcc_lo
	s_delay_alu instid0(VALU_DEP_2) | instskip(NEXT) | instid1(VALU_DEP_2)
	v_cvt_f16_f32_e32 v30, v31
	v_cvt_f16_f32_e32 v33, v32
	s_delay_alu instid0(VALU_DEP_1) | instskip(SKIP_1) | instid1(VALU_DEP_1)
	v_pack_b32_f16 v30, v30, v33
	v_sub_f32_e32 v33, v85, v62
	v_mul_f32_e32 v34, 0x3fb8aa3b, v33
	v_cmp_ngt_f32_e64 s4, 0xc2ce8ed0, v33
	s_delay_alu instid0(VALU_DEP_2) | instskip(SKIP_1) | instid1(VALU_DEP_1)
	v_fma_f32 v35, 0x3fb8aa3b, v33, -v34
	v_rndne_f32_e32 v36, v34
	v_dual_fmac_f32 v35, 0x32a5705f, v33 :: v_dual_sub_f32 v34, v34, v36
	s_delay_alu instid0(VALU_DEP_1) | instskip(SKIP_2) | instid1(VALU_DEP_3)
	v_add_f32_e32 v34, v34, v35
	v_cvt_i32_f32_e32 v35, v36
	v_add_nc_u32_e32 v36, 0x1e00, v159
	v_exp_f32_e32 v34, v34
	s_waitcnt_depctr 0xfff
	v_ldexp_f32 v34, v34, v35
	v_add_nc_u32_e32 v35, 0x1c00, v159
	s_delay_alu instid0(VALU_DEP_2) | instskip(SKIP_1) | instid1(VALU_DEP_1)
	v_cndmask_b32_e64 v34, 0, v34, s4
	v_cmp_nlt_f32_e64 s4, 0x42b17218, v33
	v_cndmask_b32_e64 v105, 0x7f800000, v34, s4
	v_add_nc_u32_e32 v34, 0x200, v162
	ds_bpermute_b32 v33, v63, v105
	v_cndmask_b32_e64 v31, v31, v105, s2
	v_cndmask_b32_e64 v32, v32, v105, s3
	s_waitcnt lgkmcnt(0)
	s_delay_alu instid0(VALU_DEP_2) | instskip(NEXT) | instid1(VALU_DEP_2)
	v_cndmask_b32_e64 v31, v31, v33, s1
	v_cndmask_b32_e32 v32, v32, v33, vcc_lo
	s_delay_alu instid0(VALU_DEP_2) | instskip(NEXT) | instid1(VALU_DEP_2)
	v_cvt_f16_f32_e32 v31, v31
	v_cvt_f16_f32_e32 v32, v32
	s_delay_alu instid0(VALU_DEP_1)
	v_pack_b32_f16 v31, v31, v32
	v_add_nc_u32_e32 v32, 0x1a00, v159
	ds_load_2addr_b32 v[40:41], v107 offset0:208 offset1:228
	ds_load_2addr_b32 v[42:43], v32 offset0:116 offset1:136
	;; [unrolled: 1-line block ×13, first 2 shown]
	s_waitcnt lgkmcnt(12)
	v_perm_b32 v32, v41, v67, 0x5040100
	s_waitcnt lgkmcnt(10)
	v_perm_b32 v33, v45, v43, 0x5040100
	;; [unrolled: 2-line block ×8, first 2 shown]
	s_delay_alu instid0(VALU_DEP_1)
	v_wmma_f16_16x16x16_f16 v[0:7], v[32:39], v[24:31], v[0:7]
	v_add_nc_u32_e32 v34, 0x200, v166
	v_perm_b32 v32, v42, v40, 0x5040100
	v_perm_b32 v33, v48, v44, 0x5040100
	;; [unrolled: 1-line block ×4, first 2 shown]
	ds_load_2addr_b32 v[89:90], v34 offset0:16 offset1:160
	v_perm_b32 v38, v85, v122, 0x5040100
	v_perm_b32 v39, v106, v87, 0x5040100
	s_waitcnt lgkmcnt(0)
	s_barrier
	buffer_gl0_inv
	v_perm_b32 v34, v50, v89, 0x5040100
	v_perm_b32 v36, v56, v90, 0x5040100
	s_delay_alu instid0(VALU_DEP_1)
	v_wmma_f16_16x16x16_f16 v[8:15], v[32:39], v[24:31], v[8:15]
	v_perm_b32 v32, v41, v67, 0x7060302
	v_perm_b32 v34, v49, v46, 0x7060302
	;; [unrolled: 1-line block ×8, first 2 shown]
	s_delay_alu instid0(VALU_DEP_1)
	v_wmma_f16_16x16x16_f16 v[0:7], v[32:39], v[24:31], v[0:7] op_sel:[0,0,1]
	v_perm_b32 v32, v42, v40, 0x7060302
	v_perm_b32 v33, v48, v44, 0x7060302
	;; [unrolled: 1-line block ×8, first 2 shown]
	s_delay_alu instid0(VALU_DEP_1) | instskip(SKIP_1) | instid1(VALU_DEP_1)
	v_wmma_f16_16x16x16_f16 v[8:15], v[32:39], v[24:31], v[8:15] op_sel:[0,0,1]
	v_add_f32_e32 v24, v110, v111
	v_add_f32_e32 v24, v112, v24
	s_delay_alu instid0(VALU_DEP_1) | instskip(NEXT) | instid1(VALU_DEP_1)
	v_add_f32_e32 v24, v113, v24
	v_add_f32_e32 v24, v114, v24
	s_delay_alu instid0(VALU_DEP_1) | instskip(NEXT) | instid1(VALU_DEP_1)
	;; [unrolled: 3-line block ×15, first 2 shown]
	v_add_f32_e32 v16, v105, v16
	v_fmac_f32_e32 v16, v229, v109
	ds_bpermute_b32 v17, v63, v16
	s_waitcnt lgkmcnt(0)
	v_add_f32_e32 v16, v16, v17
	s_cbranch_scc1 .LBB0_258
; %bb.257:                              ;   in Loop: Header=BB0_14 Depth=1
	v_dual_max_f32 v18, v62, v62 :: v_dual_lshlrev_b32 v17, 2, v167
	global_load_b32 v17, v17, s[72:73]
	s_waitcnt vmcnt(0)
	v_max_f32_e32 v19, v17, v17
	s_delay_alu instid0(VALU_DEP_1) | instskip(NEXT) | instid1(VALU_DEP_1)
	v_max_f32_e32 v18, v18, v19
	v_sub_f32_e32 v17, v17, v18
	s_delay_alu instid0(VALU_DEP_1) | instskip(SKIP_2) | instid1(VALU_DEP_3)
	v_mul_f32_e32 v23, 0x3fb8aa3b, v17
	v_sub_f32_e32 v19, v62, v18
	v_mov_b32_e32 v62, v18
	v_rndne_f32_e32 v25, v23
	s_delay_alu instid0(VALU_DEP_3) | instskip(NEXT) | instid1(VALU_DEP_1)
	v_mul_f32_e32 v20, 0x3fb8aa3b, v19
	v_fma_f32 v21, 0x3fb8aa3b, v19, -v20
	v_rndne_f32_e32 v22, v20
	s_delay_alu instid0(VALU_DEP_1) | instskip(SKIP_1) | instid1(VALU_DEP_2)
	v_dual_fmac_f32 v21, 0x32a5705f, v19 :: v_dual_sub_f32 v20, v20, v22
	v_cvt_i32_f32_e32 v22, v22
	v_add_f32_e32 v20, v20, v21
	v_cmp_ngt_f32_e32 vcc_lo, 0xc2ce8ed0, v19
	v_sub_f32_e32 v21, v23, v25
	s_delay_alu instid0(VALU_DEP_3) | instskip(SKIP_3) | instid1(VALU_DEP_2)
	v_exp_f32_e32 v20, v20
	s_waitcnt_depctr 0xfff
	v_ldexp_f32 v20, v20, v22
	v_cvt_i32_f32_e32 v22, v25
	v_cndmask_b32_e32 v20, 0, v20, vcc_lo
	v_fma_f32 v24, 0x3fb8aa3b, v17, -v23
	v_cmp_nlt_f32_e32 vcc_lo, 0x42b17218, v19
	s_delay_alu instid0(VALU_DEP_2) | instskip(NEXT) | instid1(VALU_DEP_4)
	v_fmac_f32_e32 v24, 0x32a5705f, v17
	v_cndmask_b32_e32 v20, 0x7f800000, v20, vcc_lo
	v_cmp_ngt_f32_e32 vcc_lo, 0xc2ce8ed0, v17
	s_delay_alu instid0(VALU_DEP_3) | instskip(NEXT) | instid1(VALU_DEP_1)
	v_add_f32_e32 v21, v21, v24
	v_exp_f32_e32 v21, v21
	s_waitcnt_depctr 0xfff
	v_ldexp_f32 v21, v21, v22
	s_delay_alu instid0(VALU_DEP_1) | instskip(SKIP_3) | instid1(VALU_DEP_2)
	v_cndmask_b32_e32 v21, 0, v21, vcc_lo
	v_cmp_le_f32_e32 vcc_lo, 0xc1a00000, v19
	v_cndmask_b32_e32 v19, 0, v20, vcc_lo
	v_cmp_nlt_f32_e32 vcc_lo, 0x42b17218, v17
	v_cvt_f16_f32_e32 v20, v19
	v_cndmask_b32_e32 v17, 0x7f800000, v21, vcc_lo
	s_delay_alu instid0(VALU_DEP_2) | instskip(NEXT) | instid1(VALU_DEP_2)
	v_pk_mul_f16 v0, v20, v0 op_sel_hi:[0,1]
	v_fmac_f32_e32 v17, v16, v19
	v_pk_mul_f16 v1, v20, v1 op_sel_hi:[0,1]
	v_pk_mul_f16 v2, v20, v2 op_sel_hi:[0,1]
	;; [unrolled: 1-line block ×4, first 2 shown]
	v_mov_b32_e32 v16, v17
	v_pk_mul_f16 v5, v20, v5 op_sel_hi:[0,1]
	v_pk_mul_f16 v6, v20, v6 op_sel_hi:[0,1]
	;; [unrolled: 1-line block ×11, first 2 shown]
.LBB0_258:                              ;   in Loop: Header=BB0_14 Depth=1
	s_and_saveexec_b32 s1, s0
	s_cbranch_execz .LBB0_260
; %bb.259:                              ;   in Loop: Header=BB0_14 Depth=1
	scratch_load_b32 v17, off, off offset:32 ; 4-byte Folded Reload
	s_waitcnt vmcnt(0)
	ds_store_2addr_b32 v17, v62, v16 offset0:32 offset1:33
.LBB0_260:                              ;   in Loop: Header=BB0_14 Depth=1
	s_or_b32 exec_lo, exec_lo, s1
	s_waitcnt lgkmcnt(0)
	s_barrier
	buffer_gl0_inv
	ds_store_2addr_b32 v197, v0, v1 offset1:2
	ds_store_2addr_b32 v197, v2, v3 offset0:4 offset1:6
	ds_store_2addr_b32 v197, v4, v5 offset0:8 offset1:10
	;; [unrolled: 1-line block ×6, first 2 shown]
	v_mov_b32_e32 v0, 50
	ds_store_2addr_b32 v197, v14, v15 offset0:28 offset1:30
	s_waitcnt lgkmcnt(0)
	s_barrier
	buffer_gl0_inv
	s_and_saveexec_b32 s2, s66
	s_cbranch_execz .LBB0_262
; %bb.261:                              ;   in Loop: Header=BB0_14 Depth=1
	ds_load_b32 v0, v168
	ds_load_b32 v3, v186 offset:132
	s_waitcnt lgkmcnt(1)
	v_lshrrev_b32_e32 v1, 16, v0
	v_cvt_f32_f16_e32 v0, v0
	s_delay_alu instid0(VALU_DEP_2) | instskip(NEXT) | instid1(VALU_DEP_2)
	v_cvt_f32_f16_e32 v1, v1
	v_add_f32_e32 v2, 0, v0
	s_waitcnt lgkmcnt(0)
	s_delay_alu instid0(VALU_DEP_1) | instskip(NEXT) | instid1(VALU_DEP_1)
	v_div_scale_f32 v5, null, v3, v3, v2
	v_rcp_f32_e32 v7, v5
	s_waitcnt_depctr 0xfff
	v_fma_f32 v0, -v5, v7, 1.0
	s_delay_alu instid0(VALU_DEP_1) | instskip(SKIP_1) | instid1(VALU_DEP_1)
	v_fmac_f32_e32 v7, v0, v7
	v_div_scale_f32 v9, vcc_lo, v2, v3, v2
	v_dual_add_f32 v4, 0, v1 :: v_dual_mul_f32 v11, v9, v7
	s_delay_alu instid0(VALU_DEP_1) | instskip(SKIP_1) | instid1(VALU_DEP_2)
	v_div_scale_f32 v6, null, v3, v3, v4
	v_div_scale_f32 v10, s1, v4, v3, v4
	v_rcp_f32_e32 v8, v6
	s_waitcnt_depctr 0xfff
	v_fma_f32 v1, -v6, v8, 1.0
	s_delay_alu instid0(VALU_DEP_1) | instskip(SKIP_2) | instid1(VALU_DEP_1)
	v_fmac_f32_e32 v8, v1, v8
	v_mad_u64_u32 v[0:1], null, v228, s9, v[65:66]
	v_fma_f32 v1, -v5, v11, v9
	v_dual_mul_f32 v12, v10, v8 :: v_dual_fmac_f32 v11, v1, v7
	s_delay_alu instid0(VALU_DEP_3) | instskip(NEXT) | instid1(VALU_DEP_2)
	v_lshl_add_u32 v0, v0, 5, v64
	v_fma_f32 v13, -v6, v12, v10
	s_delay_alu instid0(VALU_DEP_3) | instskip(NEXT) | instid1(VALU_DEP_3)
	v_fma_f32 v5, -v5, v11, v9
	v_ashrrev_i32_e32 v1, 31, v0
	s_delay_alu instid0(VALU_DEP_3) | instskip(NEXT) | instid1(VALU_DEP_3)
	v_fmac_f32_e32 v12, v13, v8
	v_div_fmas_f32 v5, v5, v7, v11
	s_mov_b32 vcc_lo, s1
	s_delay_alu instid0(VALU_DEP_2) | instskip(SKIP_1) | instid1(VALU_DEP_3)
	v_fma_f32 v6, -v6, v12, v10
	v_lshlrev_b64 v[0:1], 3, v[0:1]
	v_div_fixup_f32 v2, v5, v3, v2
	s_delay_alu instid0(VALU_DEP_3) | instskip(NEXT) | instid1(VALU_DEP_1)
	v_div_fmas_f32 v6, v6, v8, v12
	v_div_fixup_f32 v3, v6, v3, v4
	s_delay_alu instid0(VALU_DEP_4)
	v_add_co_u32 v4, vcc_lo, s49, v0
	v_add_co_ci_u32_e32 v5, vcc_lo, s67, v1, vcc_lo
	v_mov_b32_e32 v0, 0
	global_store_b64 v[4:5], v[2:3], off
.LBB0_262:                              ;   in Loop: Header=BB0_14 Depth=1
	s_or_b32 exec_lo, exec_lo, s2
	s_mov_b32 s1, -1
	s_mov_b32 s2, exec_lo
	v_cmpx_gt_i32_e32 50, v0
; %bb.263:                              ;   in Loop: Header=BB0_14 Depth=1
	v_cmp_eq_u32_e32 vcc_lo, 0, v0
	s_or_not1_b32 s1, vcc_lo, exec_lo
; %bb.264:                              ;   in Loop: Header=BB0_14 Depth=1
	s_or_b32 exec_lo, exec_lo, s2
                                        ; implicit-def: $vgpr1
	s_and_saveexec_b32 s2, s1
	s_cbranch_execz .LBB0_352
; %bb.265:                              ;   in Loop: Header=BB0_14 Depth=1
	v_mov_b32_e32 v0, 50
	s_and_saveexec_b32 s3, s94
	s_cbranch_execz .LBB0_267
; %bb.266:                              ;   in Loop: Header=BB0_14 Depth=1
	ds_load_b32 v0, v170
	ds_load_b32 v3, v186 offset:708
	s_waitcnt lgkmcnt(1)
	v_lshrrev_b32_e32 v1, 16, v0
	v_cvt_f32_f16_e32 v0, v0
	s_delay_alu instid0(VALU_DEP_2) | instskip(NEXT) | instid1(VALU_DEP_2)
	v_cvt_f32_f16_e32 v1, v1
	v_add_f32_e32 v2, 0, v0
	s_waitcnt lgkmcnt(0)
	s_delay_alu instid0(VALU_DEP_1) | instskip(NEXT) | instid1(VALU_DEP_1)
	v_div_scale_f32 v5, null, v3, v3, v2
	v_rcp_f32_e32 v7, v5
	s_waitcnt_depctr 0xfff
	v_fma_f32 v0, -v5, v7, 1.0
	s_delay_alu instid0(VALU_DEP_1) | instskip(SKIP_1) | instid1(VALU_DEP_1)
	v_fmac_f32_e32 v7, v0, v7
	v_div_scale_f32 v9, vcc_lo, v2, v3, v2
	v_dual_add_f32 v4, 0, v1 :: v_dual_mul_f32 v11, v9, v7
	s_delay_alu instid0(VALU_DEP_1) | instskip(SKIP_1) | instid1(VALU_DEP_2)
	v_div_scale_f32 v6, null, v3, v3, v4
	v_div_scale_f32 v10, s1, v4, v3, v4
	v_rcp_f32_e32 v8, v6
	s_waitcnt_depctr 0xfff
	v_fma_f32 v1, -v6, v8, 1.0
	s_delay_alu instid0(VALU_DEP_1) | instskip(SKIP_2) | instid1(VALU_DEP_1)
	v_fmac_f32_e32 v8, v1, v8
	v_mad_u64_u32 v[0:1], null, v227, s9, v[65:66]
	v_fma_f32 v1, -v5, v11, v9
	v_dual_mul_f32 v12, v10, v8 :: v_dual_fmac_f32 v11, v1, v7
	s_delay_alu instid0(VALU_DEP_3) | instskip(NEXT) | instid1(VALU_DEP_2)
	v_lshl_add_u32 v0, v0, 5, v64
	v_fma_f32 v13, -v6, v12, v10
	s_delay_alu instid0(VALU_DEP_3) | instskip(NEXT) | instid1(VALU_DEP_3)
	v_fma_f32 v5, -v5, v11, v9
	v_ashrrev_i32_e32 v1, 31, v0
	s_delay_alu instid0(VALU_DEP_3) | instskip(NEXT) | instid1(VALU_DEP_3)
	v_fmac_f32_e32 v12, v13, v8
	v_div_fmas_f32 v5, v5, v7, v11
	s_mov_b32 vcc_lo, s1
	s_delay_alu instid0(VALU_DEP_2) | instskip(SKIP_1) | instid1(VALU_DEP_3)
	v_fma_f32 v6, -v6, v12, v10
	v_lshlrev_b64 v[0:1], 3, v[0:1]
	v_div_fixup_f32 v2, v5, v3, v2
	s_delay_alu instid0(VALU_DEP_3) | instskip(NEXT) | instid1(VALU_DEP_1)
	v_div_fmas_f32 v6, v6, v8, v12
	v_div_fixup_f32 v3, v6, v3, v4
	s_delay_alu instid0(VALU_DEP_4)
	v_add_co_u32 v4, vcc_lo, s49, v0
	v_add_co_ci_u32_e32 v5, vcc_lo, s67, v1, vcc_lo
	v_mov_b32_e32 v0, 0
	global_store_b64 v[4:5], v[2:3], off
.LBB0_267:                              ;   in Loop: Header=BB0_14 Depth=1
	s_or_b32 exec_lo, exec_lo, s3
	s_mov_b32 s4, -1
	s_mov_b32 s1, exec_lo
	v_cmpx_gt_i32_e32 50, v0
; %bb.268:                              ;   in Loop: Header=BB0_14 Depth=1
	v_cmp_eq_u32_e32 vcc_lo, 0, v0
	s_or_not1_b32 s4, vcc_lo, exec_lo
; %bb.269:                              ;   in Loop: Header=BB0_14 Depth=1
	s_or_b32 exec_lo, exec_lo, s1
	s_mov_b32 s1, s75
                                        ; implicit-def: $vgpr1
	s_and_saveexec_b32 s3, s4
	s_cbranch_execz .LBB0_351
; %bb.270:                              ;   in Loop: Header=BB0_14 Depth=1
	v_mov_b32_e32 v0, 50
	s_and_saveexec_b32 s4, s93
	s_cbranch_execz .LBB0_272
; %bb.271:                              ;   in Loop: Header=BB0_14 Depth=1
	ds_load_b32 v0, v172
	ds_load_b32 v3, v186 offset:1284
	s_waitcnt lgkmcnt(1)
	v_lshrrev_b32_e32 v1, 16, v0
	v_cvt_f32_f16_e32 v0, v0
	s_delay_alu instid0(VALU_DEP_2) | instskip(NEXT) | instid1(VALU_DEP_2)
	v_cvt_f32_f16_e32 v1, v1
	v_add_f32_e32 v2, 0, v0
	s_waitcnt lgkmcnt(0)
	s_delay_alu instid0(VALU_DEP_1) | instskip(NEXT) | instid1(VALU_DEP_1)
	v_div_scale_f32 v5, null, v3, v3, v2
	v_rcp_f32_e32 v7, v5
	s_waitcnt_depctr 0xfff
	v_fma_f32 v0, -v5, v7, 1.0
	s_delay_alu instid0(VALU_DEP_1) | instskip(SKIP_1) | instid1(VALU_DEP_1)
	v_fmac_f32_e32 v7, v0, v7
	v_div_scale_f32 v9, vcc_lo, v2, v3, v2
	v_dual_add_f32 v4, 0, v1 :: v_dual_mul_f32 v11, v9, v7
	s_delay_alu instid0(VALU_DEP_1) | instskip(SKIP_1) | instid1(VALU_DEP_2)
	v_div_scale_f32 v6, null, v3, v3, v4
	v_div_scale_f32 v10, s1, v4, v3, v4
	v_rcp_f32_e32 v8, v6
	s_waitcnt_depctr 0xfff
	v_fma_f32 v1, -v6, v8, 1.0
	s_delay_alu instid0(VALU_DEP_1) | instskip(SKIP_2) | instid1(VALU_DEP_1)
	v_fmac_f32_e32 v8, v1, v8
	v_mad_u64_u32 v[0:1], null, v226, s9, v[65:66]
	v_fma_f32 v1, -v5, v11, v9
	v_dual_mul_f32 v12, v10, v8 :: v_dual_fmac_f32 v11, v1, v7
	s_delay_alu instid0(VALU_DEP_3) | instskip(NEXT) | instid1(VALU_DEP_2)
	v_lshl_add_u32 v0, v0, 5, v64
	v_fma_f32 v13, -v6, v12, v10
	s_delay_alu instid0(VALU_DEP_3) | instskip(NEXT) | instid1(VALU_DEP_3)
	v_fma_f32 v5, -v5, v11, v9
	v_ashrrev_i32_e32 v1, 31, v0
	s_delay_alu instid0(VALU_DEP_3) | instskip(NEXT) | instid1(VALU_DEP_3)
	v_fmac_f32_e32 v12, v13, v8
	v_div_fmas_f32 v5, v5, v7, v11
	s_mov_b32 vcc_lo, s1
	s_delay_alu instid0(VALU_DEP_2) | instskip(SKIP_1) | instid1(VALU_DEP_3)
	v_fma_f32 v6, -v6, v12, v10
	v_lshlrev_b64 v[0:1], 3, v[0:1]
	v_div_fixup_f32 v2, v5, v3, v2
	s_delay_alu instid0(VALU_DEP_3) | instskip(NEXT) | instid1(VALU_DEP_1)
	v_div_fmas_f32 v6, v6, v8, v12
	v_div_fixup_f32 v3, v6, v3, v4
	s_delay_alu instid0(VALU_DEP_4)
	v_add_co_u32 v4, vcc_lo, s49, v0
	v_add_co_ci_u32_e32 v5, vcc_lo, s67, v1, vcc_lo
	v_mov_b32_e32 v0, 0
	global_store_b64 v[4:5], v[2:3], off
.LBB0_272:                              ;   in Loop: Header=BB0_14 Depth=1
	s_or_b32 exec_lo, exec_lo, s4
	s_mov_b32 s5, -1
	s_mov_b32 s1, exec_lo
	v_cmpx_gt_i32_e32 50, v0
; %bb.273:                              ;   in Loop: Header=BB0_14 Depth=1
	v_cmp_eq_u32_e32 vcc_lo, 0, v0
	s_or_not1_b32 s5, vcc_lo, exec_lo
; %bb.274:                              ;   in Loop: Header=BB0_14 Depth=1
	s_or_b32 exec_lo, exec_lo, s1
	s_mov_b32 s1, s75
                                        ; implicit-def: $vgpr1
	s_and_saveexec_b32 s4, s5
	s_cbranch_execz .LBB0_350
; %bb.275:                              ;   in Loop: Header=BB0_14 Depth=1
	v_mov_b32_e32 v0, 50
	s_and_saveexec_b32 s5, s92
	s_cbranch_execz .LBB0_277
; %bb.276:                              ;   in Loop: Header=BB0_14 Depth=1
	ds_load_b32 v0, v174
	ds_load_b32 v3, v186 offset:1860
	s_waitcnt lgkmcnt(1)
	v_lshrrev_b32_e32 v1, 16, v0
	v_cvt_f32_f16_e32 v0, v0
	s_delay_alu instid0(VALU_DEP_2) | instskip(NEXT) | instid1(VALU_DEP_2)
	v_cvt_f32_f16_e32 v1, v1
	v_add_f32_e32 v2, 0, v0
	s_waitcnt lgkmcnt(0)
	s_delay_alu instid0(VALU_DEP_1) | instskip(NEXT) | instid1(VALU_DEP_1)
	v_div_scale_f32 v5, null, v3, v3, v2
	v_rcp_f32_e32 v7, v5
	s_waitcnt_depctr 0xfff
	v_fma_f32 v0, -v5, v7, 1.0
	s_delay_alu instid0(VALU_DEP_1) | instskip(SKIP_1) | instid1(VALU_DEP_1)
	v_fmac_f32_e32 v7, v0, v7
	v_div_scale_f32 v9, vcc_lo, v2, v3, v2
	v_dual_add_f32 v4, 0, v1 :: v_dual_mul_f32 v11, v9, v7
	s_delay_alu instid0(VALU_DEP_1) | instskip(SKIP_1) | instid1(VALU_DEP_2)
	v_div_scale_f32 v6, null, v3, v3, v4
	v_div_scale_f32 v10, s1, v4, v3, v4
	v_rcp_f32_e32 v8, v6
	s_waitcnt_depctr 0xfff
	v_fma_f32 v1, -v6, v8, 1.0
	s_delay_alu instid0(VALU_DEP_1) | instskip(SKIP_2) | instid1(VALU_DEP_1)
	v_fmac_f32_e32 v8, v1, v8
	v_mad_u64_u32 v[0:1], null, v225, s9, v[65:66]
	v_fma_f32 v1, -v5, v11, v9
	v_dual_mul_f32 v12, v10, v8 :: v_dual_fmac_f32 v11, v1, v7
	s_delay_alu instid0(VALU_DEP_3) | instskip(NEXT) | instid1(VALU_DEP_2)
	v_lshl_add_u32 v0, v0, 5, v64
	v_fma_f32 v13, -v6, v12, v10
	s_delay_alu instid0(VALU_DEP_3) | instskip(NEXT) | instid1(VALU_DEP_3)
	v_fma_f32 v5, -v5, v11, v9
	v_ashrrev_i32_e32 v1, 31, v0
	s_delay_alu instid0(VALU_DEP_3) | instskip(NEXT) | instid1(VALU_DEP_3)
	v_fmac_f32_e32 v12, v13, v8
	v_div_fmas_f32 v5, v5, v7, v11
	s_mov_b32 vcc_lo, s1
	s_delay_alu instid0(VALU_DEP_2) | instskip(SKIP_1) | instid1(VALU_DEP_3)
	v_fma_f32 v6, -v6, v12, v10
	v_lshlrev_b64 v[0:1], 3, v[0:1]
	v_div_fixup_f32 v2, v5, v3, v2
	s_delay_alu instid0(VALU_DEP_3) | instskip(NEXT) | instid1(VALU_DEP_1)
	v_div_fmas_f32 v6, v6, v8, v12
	v_div_fixup_f32 v3, v6, v3, v4
	s_delay_alu instid0(VALU_DEP_4)
	v_add_co_u32 v4, vcc_lo, s49, v0
	v_add_co_ci_u32_e32 v5, vcc_lo, s67, v1, vcc_lo
	v_mov_b32_e32 v0, 0
	global_store_b64 v[4:5], v[2:3], off
.LBB0_277:                              ;   in Loop: Header=BB0_14 Depth=1
	s_or_b32 exec_lo, exec_lo, s5
	s_mov_b32 s6, -1
	s_mov_b32 s1, exec_lo
	v_cmpx_gt_i32_e32 50, v0
; %bb.278:                              ;   in Loop: Header=BB0_14 Depth=1
	v_cmp_eq_u32_e32 vcc_lo, 0, v0
	s_or_not1_b32 s6, vcc_lo, exec_lo
; %bb.279:                              ;   in Loop: Header=BB0_14 Depth=1
	s_or_b32 exec_lo, exec_lo, s1
	s_mov_b32 s1, s75
                                        ; implicit-def: $vgpr1
	s_and_saveexec_b32 s5, s6
	s_cbranch_execz .LBB0_349
; %bb.280:                              ;   in Loop: Header=BB0_14 Depth=1
	v_mov_b32_e32 v0, 50
	s_and_saveexec_b32 s6, s91
	s_cbranch_execz .LBB0_282
; %bb.281:                              ;   in Loop: Header=BB0_14 Depth=1
	s_clause 0x1
	scratch_load_b32 v0, off, off offset:148
	scratch_load_b32 v1, off, off offset:152
	s_waitcnt vmcnt(1)
	ds_load_b32 v0, v0
	s_waitcnt vmcnt(0)
	ds_load_b32 v3, v1 offset:132
	s_waitcnt lgkmcnt(1)
	v_lshrrev_b32_e32 v1, 16, v0
	v_cvt_f32_f16_e32 v0, v0
	s_delay_alu instid0(VALU_DEP_2) | instskip(NEXT) | instid1(VALU_DEP_2)
	v_cvt_f32_f16_e32 v1, v1
	v_add_f32_e32 v2, 0, v0
	s_waitcnt lgkmcnt(0)
	s_delay_alu instid0(VALU_DEP_1) | instskip(NEXT) | instid1(VALU_DEP_1)
	v_div_scale_f32 v5, null, v3, v3, v2
	v_rcp_f32_e32 v7, v5
	s_waitcnt_depctr 0xfff
	v_fma_f32 v0, -v5, v7, 1.0
	s_delay_alu instid0(VALU_DEP_1) | instskip(SKIP_1) | instid1(VALU_DEP_1)
	v_fmac_f32_e32 v7, v0, v7
	v_div_scale_f32 v9, vcc_lo, v2, v3, v2
	v_dual_add_f32 v4, 0, v1 :: v_dual_mul_f32 v11, v9, v7
	s_delay_alu instid0(VALU_DEP_1) | instskip(SKIP_1) | instid1(VALU_DEP_2)
	v_div_scale_f32 v6, null, v3, v3, v4
	v_div_scale_f32 v10, s1, v4, v3, v4
	v_rcp_f32_e32 v8, v6
	s_waitcnt_depctr 0xfff
	v_fma_f32 v1, -v6, v8, 1.0
	s_delay_alu instid0(VALU_DEP_1) | instskip(SKIP_2) | instid1(VALU_DEP_1)
	v_fmac_f32_e32 v8, v1, v8
	v_mad_u64_u32 v[0:1], null, v224, s9, v[65:66]
	v_fma_f32 v1, -v5, v11, v9
	v_dual_mul_f32 v12, v10, v8 :: v_dual_fmac_f32 v11, v1, v7
	s_delay_alu instid0(VALU_DEP_3) | instskip(NEXT) | instid1(VALU_DEP_2)
	v_lshl_add_u32 v0, v0, 5, v64
	v_fma_f32 v13, -v6, v12, v10
	s_delay_alu instid0(VALU_DEP_3) | instskip(NEXT) | instid1(VALU_DEP_3)
	v_fma_f32 v5, -v5, v11, v9
	v_ashrrev_i32_e32 v1, 31, v0
	s_delay_alu instid0(VALU_DEP_3) | instskip(NEXT) | instid1(VALU_DEP_3)
	v_fmac_f32_e32 v12, v13, v8
	v_div_fmas_f32 v5, v5, v7, v11
	s_mov_b32 vcc_lo, s1
	s_delay_alu instid0(VALU_DEP_2) | instskip(SKIP_1) | instid1(VALU_DEP_3)
	v_fma_f32 v6, -v6, v12, v10
	v_lshlrev_b64 v[0:1], 3, v[0:1]
	v_div_fixup_f32 v2, v5, v3, v2
	s_delay_alu instid0(VALU_DEP_3) | instskip(NEXT) | instid1(VALU_DEP_1)
	v_div_fmas_f32 v6, v6, v8, v12
	v_div_fixup_f32 v3, v6, v3, v4
	s_delay_alu instid0(VALU_DEP_4)
	v_add_co_u32 v4, vcc_lo, s49, v0
	v_add_co_ci_u32_e32 v5, vcc_lo, s67, v1, vcc_lo
	v_mov_b32_e32 v0, 0
	global_store_b64 v[4:5], v[2:3], off
.LBB0_282:                              ;   in Loop: Header=BB0_14 Depth=1
	s_or_b32 exec_lo, exec_lo, s6
	s_mov_b32 s7, -1
	s_mov_b32 s1, exec_lo
	v_cmpx_gt_i32_e32 50, v0
; %bb.283:                              ;   in Loop: Header=BB0_14 Depth=1
	v_cmp_eq_u32_e32 vcc_lo, 0, v0
	s_or_not1_b32 s7, vcc_lo, exec_lo
; %bb.284:                              ;   in Loop: Header=BB0_14 Depth=1
	s_or_b32 exec_lo, exec_lo, s1
	s_mov_b32 s1, s75
                                        ; implicit-def: $vgpr1
	s_and_saveexec_b32 s6, s7
	s_cbranch_execz .LBB0_348
; %bb.285:                              ;   in Loop: Header=BB0_14 Depth=1
	v_mov_b32_e32 v0, 50
	s_and_saveexec_b32 s7, s90
	s_cbranch_execz .LBB0_287
; %bb.286:                              ;   in Loop: Header=BB0_14 Depth=1
	ds_load_b32 v0, v174 offset:1152
	ds_load_b32 v3, v186 offset:3012
	s_waitcnt lgkmcnt(1)
	v_lshrrev_b32_e32 v1, 16, v0
	v_cvt_f32_f16_e32 v0, v0
	s_delay_alu instid0(VALU_DEP_2) | instskip(NEXT) | instid1(VALU_DEP_2)
	v_cvt_f32_f16_e32 v1, v1
	v_add_f32_e32 v2, 0, v0
	s_waitcnt lgkmcnt(0)
	s_delay_alu instid0(VALU_DEP_1) | instskip(NEXT) | instid1(VALU_DEP_1)
	v_div_scale_f32 v5, null, v3, v3, v2
	v_rcp_f32_e32 v7, v5
	s_waitcnt_depctr 0xfff
	v_fma_f32 v0, -v5, v7, 1.0
	s_delay_alu instid0(VALU_DEP_1) | instskip(SKIP_1) | instid1(VALU_DEP_1)
	v_fmac_f32_e32 v7, v0, v7
	v_div_scale_f32 v9, vcc_lo, v2, v3, v2
	v_dual_add_f32 v4, 0, v1 :: v_dual_mul_f32 v11, v9, v7
	s_delay_alu instid0(VALU_DEP_1) | instskip(SKIP_1) | instid1(VALU_DEP_2)
	v_div_scale_f32 v6, null, v3, v3, v4
	v_div_scale_f32 v10, s1, v4, v3, v4
	v_rcp_f32_e32 v8, v6
	s_waitcnt_depctr 0xfff
	v_fma_f32 v1, -v6, v8, 1.0
	s_delay_alu instid0(VALU_DEP_1) | instskip(SKIP_2) | instid1(VALU_DEP_1)
	v_fmac_f32_e32 v8, v1, v8
	v_mad_u64_u32 v[0:1], null, v223, s9, v[65:66]
	v_fma_f32 v1, -v5, v11, v9
	v_dual_mul_f32 v12, v10, v8 :: v_dual_fmac_f32 v11, v1, v7
	s_delay_alu instid0(VALU_DEP_3) | instskip(NEXT) | instid1(VALU_DEP_2)
	v_lshl_add_u32 v0, v0, 5, v64
	v_fma_f32 v13, -v6, v12, v10
	s_delay_alu instid0(VALU_DEP_3) | instskip(NEXT) | instid1(VALU_DEP_3)
	v_fma_f32 v5, -v5, v11, v9
	v_ashrrev_i32_e32 v1, 31, v0
	s_delay_alu instid0(VALU_DEP_3) | instskip(NEXT) | instid1(VALU_DEP_3)
	v_fmac_f32_e32 v12, v13, v8
	v_div_fmas_f32 v5, v5, v7, v11
	s_mov_b32 vcc_lo, s1
	s_delay_alu instid0(VALU_DEP_2) | instskip(SKIP_1) | instid1(VALU_DEP_3)
	v_fma_f32 v6, -v6, v12, v10
	v_lshlrev_b64 v[0:1], 3, v[0:1]
	v_div_fixup_f32 v2, v5, v3, v2
	s_delay_alu instid0(VALU_DEP_3) | instskip(NEXT) | instid1(VALU_DEP_1)
	v_div_fmas_f32 v6, v6, v8, v12
	v_div_fixup_f32 v3, v6, v3, v4
	s_delay_alu instid0(VALU_DEP_4)
	v_add_co_u32 v4, vcc_lo, s49, v0
	v_add_co_ci_u32_e32 v5, vcc_lo, s67, v1, vcc_lo
	v_mov_b32_e32 v0, 0
	global_store_b64 v[4:5], v[2:3], off
.LBB0_287:                              ;   in Loop: Header=BB0_14 Depth=1
	s_or_b32 exec_lo, exec_lo, s7
	s_mov_b32 s14, -1
	s_mov_b32 s1, exec_lo
	v_cmpx_gt_i32_e32 50, v0
; %bb.288:                              ;   in Loop: Header=BB0_14 Depth=1
	v_cmp_eq_u32_e32 vcc_lo, 0, v0
	s_or_not1_b32 s14, vcc_lo, exec_lo
; %bb.289:                              ;   in Loop: Header=BB0_14 Depth=1
	s_or_b32 exec_lo, exec_lo, s1
	s_mov_b32 s1, s75
                                        ; implicit-def: $vgpr1
	s_and_saveexec_b32 s7, s14
	s_cbranch_execz .LBB0_347
; %bb.290:                              ;   in Loop: Header=BB0_14 Depth=1
	v_mov_b32_e32 v0, 50
	s_and_saveexec_b32 s14, s89
	s_cbranch_execz .LBB0_292
; %bb.291:                              ;   in Loop: Header=BB0_14 Depth=1
	ds_load_b32 v0, v174 offset:1728
	ds_load_b32 v3, v186 offset:3588
	s_waitcnt lgkmcnt(1)
	v_lshrrev_b32_e32 v1, 16, v0
	v_cvt_f32_f16_e32 v0, v0
	s_delay_alu instid0(VALU_DEP_2) | instskip(NEXT) | instid1(VALU_DEP_2)
	v_cvt_f32_f16_e32 v1, v1
	v_add_f32_e32 v2, 0, v0
	s_waitcnt lgkmcnt(0)
	s_delay_alu instid0(VALU_DEP_1) | instskip(NEXT) | instid1(VALU_DEP_1)
	v_div_scale_f32 v5, null, v3, v3, v2
	v_rcp_f32_e32 v7, v5
	s_waitcnt_depctr 0xfff
	v_fma_f32 v0, -v5, v7, 1.0
	s_delay_alu instid0(VALU_DEP_1) | instskip(SKIP_1) | instid1(VALU_DEP_1)
	v_fmac_f32_e32 v7, v0, v7
	v_div_scale_f32 v9, vcc_lo, v2, v3, v2
	v_dual_add_f32 v4, 0, v1 :: v_dual_mul_f32 v11, v9, v7
	s_delay_alu instid0(VALU_DEP_1) | instskip(SKIP_1) | instid1(VALU_DEP_2)
	v_div_scale_f32 v6, null, v3, v3, v4
	v_div_scale_f32 v10, s1, v4, v3, v4
	v_rcp_f32_e32 v8, v6
	s_waitcnt_depctr 0xfff
	v_fma_f32 v1, -v6, v8, 1.0
	s_delay_alu instid0(VALU_DEP_1) | instskip(SKIP_2) | instid1(VALU_DEP_1)
	v_fmac_f32_e32 v8, v1, v8
	v_mad_u64_u32 v[0:1], null, v222, s9, v[65:66]
	v_fma_f32 v1, -v5, v11, v9
	v_dual_mul_f32 v12, v10, v8 :: v_dual_fmac_f32 v11, v1, v7
	s_delay_alu instid0(VALU_DEP_3) | instskip(NEXT) | instid1(VALU_DEP_2)
	v_lshl_add_u32 v0, v0, 5, v64
	v_fma_f32 v13, -v6, v12, v10
	s_delay_alu instid0(VALU_DEP_3) | instskip(NEXT) | instid1(VALU_DEP_3)
	v_fma_f32 v5, -v5, v11, v9
	v_ashrrev_i32_e32 v1, 31, v0
	s_delay_alu instid0(VALU_DEP_3) | instskip(NEXT) | instid1(VALU_DEP_3)
	v_fmac_f32_e32 v12, v13, v8
	v_div_fmas_f32 v5, v5, v7, v11
	s_mov_b32 vcc_lo, s1
	s_delay_alu instid0(VALU_DEP_2) | instskip(SKIP_1) | instid1(VALU_DEP_3)
	v_fma_f32 v6, -v6, v12, v10
	v_lshlrev_b64 v[0:1], 3, v[0:1]
	v_div_fixup_f32 v2, v5, v3, v2
	s_delay_alu instid0(VALU_DEP_3) | instskip(NEXT) | instid1(VALU_DEP_1)
	v_div_fmas_f32 v6, v6, v8, v12
	v_div_fixup_f32 v3, v6, v3, v4
	s_delay_alu instid0(VALU_DEP_4)
	v_add_co_u32 v4, vcc_lo, s49, v0
	v_add_co_ci_u32_e32 v5, vcc_lo, s67, v1, vcc_lo
	v_mov_b32_e32 v0, 0
	global_store_b64 v[4:5], v[2:3], off
.LBB0_292:                              ;   in Loop: Header=BB0_14 Depth=1
	s_or_b32 exec_lo, exec_lo, s14
	s_mov_b32 s15, -1
	s_mov_b32 s1, exec_lo
	v_cmpx_gt_i32_e32 50, v0
; %bb.293:                              ;   in Loop: Header=BB0_14 Depth=1
	v_cmp_eq_u32_e32 vcc_lo, 0, v0
	s_or_not1_b32 s15, vcc_lo, exec_lo
; %bb.294:                              ;   in Loop: Header=BB0_14 Depth=1
	s_or_b32 exec_lo, exec_lo, s1
	s_mov_b32 s1, s75
                                        ; implicit-def: $vgpr1
	s_and_saveexec_b32 s14, s15
	s_cbranch_execz .LBB0_346
; %bb.295:                              ;   in Loop: Header=BB0_14 Depth=1
	v_mov_b32_e32 v0, 50
	s_and_saveexec_b32 s15, s88
	s_cbranch_execz .LBB0_297
; %bb.296:                              ;   in Loop: Header=BB0_14 Depth=1
	ds_load_b32 v0, v174 offset:2304
	ds_load_b32 v3, v186 offset:4164
	s_waitcnt lgkmcnt(1)
	v_lshrrev_b32_e32 v1, 16, v0
	v_cvt_f32_f16_e32 v0, v0
	s_delay_alu instid0(VALU_DEP_2) | instskip(NEXT) | instid1(VALU_DEP_2)
	v_cvt_f32_f16_e32 v1, v1
	v_add_f32_e32 v2, 0, v0
	s_waitcnt lgkmcnt(0)
	s_delay_alu instid0(VALU_DEP_1) | instskip(NEXT) | instid1(VALU_DEP_1)
	v_div_scale_f32 v5, null, v3, v3, v2
	v_rcp_f32_e32 v7, v5
	s_waitcnt_depctr 0xfff
	v_fma_f32 v0, -v5, v7, 1.0
	s_delay_alu instid0(VALU_DEP_1) | instskip(SKIP_1) | instid1(VALU_DEP_1)
	v_fmac_f32_e32 v7, v0, v7
	v_div_scale_f32 v9, vcc_lo, v2, v3, v2
	v_dual_add_f32 v4, 0, v1 :: v_dual_mul_f32 v11, v9, v7
	s_delay_alu instid0(VALU_DEP_1) | instskip(SKIP_1) | instid1(VALU_DEP_2)
	v_div_scale_f32 v6, null, v3, v3, v4
	v_div_scale_f32 v10, s1, v4, v3, v4
	v_rcp_f32_e32 v8, v6
	s_waitcnt_depctr 0xfff
	v_fma_f32 v1, -v6, v8, 1.0
	s_delay_alu instid0(VALU_DEP_1) | instskip(SKIP_2) | instid1(VALU_DEP_1)
	v_fmac_f32_e32 v8, v1, v8
	v_mad_u64_u32 v[0:1], null, v221, s9, v[65:66]
	v_fma_f32 v1, -v5, v11, v9
	v_dual_mul_f32 v12, v10, v8 :: v_dual_fmac_f32 v11, v1, v7
	s_delay_alu instid0(VALU_DEP_3) | instskip(NEXT) | instid1(VALU_DEP_2)
	v_lshl_add_u32 v0, v0, 5, v64
	v_fma_f32 v13, -v6, v12, v10
	s_delay_alu instid0(VALU_DEP_3) | instskip(NEXT) | instid1(VALU_DEP_3)
	v_fma_f32 v5, -v5, v11, v9
	v_ashrrev_i32_e32 v1, 31, v0
	s_delay_alu instid0(VALU_DEP_3) | instskip(NEXT) | instid1(VALU_DEP_3)
	v_fmac_f32_e32 v12, v13, v8
	v_div_fmas_f32 v5, v5, v7, v11
	s_mov_b32 vcc_lo, s1
	s_delay_alu instid0(VALU_DEP_2) | instskip(SKIP_1) | instid1(VALU_DEP_3)
	v_fma_f32 v6, -v6, v12, v10
	v_lshlrev_b64 v[0:1], 3, v[0:1]
	v_div_fixup_f32 v2, v5, v3, v2
	s_delay_alu instid0(VALU_DEP_3) | instskip(NEXT) | instid1(VALU_DEP_1)
	v_div_fmas_f32 v6, v6, v8, v12
	v_div_fixup_f32 v3, v6, v3, v4
	s_delay_alu instid0(VALU_DEP_4)
	v_add_co_u32 v4, vcc_lo, s49, v0
	v_add_co_ci_u32_e32 v5, vcc_lo, s67, v1, vcc_lo
	v_mov_b32_e32 v0, 0
	global_store_b64 v[4:5], v[2:3], off
.LBB0_297:                              ;   in Loop: Header=BB0_14 Depth=1
	s_or_b32 exec_lo, exec_lo, s15
	s_mov_b32 s46, -1
	s_mov_b32 s1, exec_lo
	v_cmpx_gt_i32_e32 50, v0
; %bb.298:                              ;   in Loop: Header=BB0_14 Depth=1
	v_cmp_eq_u32_e32 vcc_lo, 0, v0
	s_or_not1_b32 s46, vcc_lo, exec_lo
; %bb.299:                              ;   in Loop: Header=BB0_14 Depth=1
	s_or_b32 exec_lo, exec_lo, s1
	s_mov_b32 s1, s75
                                        ; implicit-def: $vgpr1
	s_and_saveexec_b32 s15, s46
	s_cbranch_execz .LBB0_345
; %bb.300:                              ;   in Loop: Header=BB0_14 Depth=1
	v_mov_b32_e32 v0, 50
	s_and_saveexec_b32 s46, s61
	s_cbranch_execz .LBB0_302
; %bb.301:                              ;   in Loop: Header=BB0_14 Depth=1
	s_clause 0x1
	scratch_load_b32 v0, off, off offset:156
	scratch_load_b32 v1, off, off offset:160
	s_waitcnt vmcnt(1)
	ds_load_b32 v0, v0
	s_waitcnt vmcnt(0)
	ds_load_b32 v3, v1 offset:132
	s_waitcnt lgkmcnt(1)
	v_lshrrev_b32_e32 v1, 16, v0
	v_cvt_f32_f16_e32 v0, v0
	s_delay_alu instid0(VALU_DEP_2) | instskip(NEXT) | instid1(VALU_DEP_2)
	v_cvt_f32_f16_e32 v1, v1
	v_add_f32_e32 v2, 0, v0
	s_waitcnt lgkmcnt(0)
	s_delay_alu instid0(VALU_DEP_1) | instskip(NEXT) | instid1(VALU_DEP_1)
	v_div_scale_f32 v5, null, v3, v3, v2
	v_rcp_f32_e32 v7, v5
	s_waitcnt_depctr 0xfff
	v_fma_f32 v0, -v5, v7, 1.0
	s_delay_alu instid0(VALU_DEP_1) | instskip(SKIP_1) | instid1(VALU_DEP_1)
	v_fmac_f32_e32 v7, v0, v7
	v_div_scale_f32 v9, vcc_lo, v2, v3, v2
	v_dual_add_f32 v4, 0, v1 :: v_dual_mul_f32 v11, v9, v7
	s_delay_alu instid0(VALU_DEP_1) | instskip(SKIP_1) | instid1(VALU_DEP_2)
	v_div_scale_f32 v6, null, v3, v3, v4
	v_div_scale_f32 v10, s1, v4, v3, v4
	v_rcp_f32_e32 v8, v6
	s_waitcnt_depctr 0xfff
	v_fma_f32 v1, -v6, v8, 1.0
	s_delay_alu instid0(VALU_DEP_1) | instskip(SKIP_2) | instid1(VALU_DEP_1)
	v_fmac_f32_e32 v8, v1, v8
	v_mad_u64_u32 v[0:1], null, v220, s9, v[65:66]
	v_fma_f32 v1, -v5, v11, v9
	v_dual_mul_f32 v12, v10, v8 :: v_dual_fmac_f32 v11, v1, v7
	s_delay_alu instid0(VALU_DEP_3) | instskip(NEXT) | instid1(VALU_DEP_2)
	v_lshl_add_u32 v0, v0, 5, v64
	v_fma_f32 v13, -v6, v12, v10
	s_delay_alu instid0(VALU_DEP_3) | instskip(NEXT) | instid1(VALU_DEP_3)
	v_fma_f32 v5, -v5, v11, v9
	v_ashrrev_i32_e32 v1, 31, v0
	s_delay_alu instid0(VALU_DEP_3) | instskip(NEXT) | instid1(VALU_DEP_3)
	v_fmac_f32_e32 v12, v13, v8
	v_div_fmas_f32 v5, v5, v7, v11
	s_mov_b32 vcc_lo, s1
	s_delay_alu instid0(VALU_DEP_2) | instskip(SKIP_1) | instid1(VALU_DEP_3)
	v_fma_f32 v6, -v6, v12, v10
	v_lshlrev_b64 v[0:1], 3, v[0:1]
	v_div_fixup_f32 v2, v5, v3, v2
	s_delay_alu instid0(VALU_DEP_3) | instskip(NEXT) | instid1(VALU_DEP_1)
	v_div_fmas_f32 v6, v6, v8, v12
	v_div_fixup_f32 v3, v6, v3, v4
	s_delay_alu instid0(VALU_DEP_4)
	v_add_co_u32 v4, vcc_lo, s49, v0
	v_add_co_ci_u32_e32 v5, vcc_lo, s67, v1, vcc_lo
	v_mov_b32_e32 v0, 0
	global_store_b64 v[4:5], v[2:3], off
.LBB0_302:                              ;   in Loop: Header=BB0_14 Depth=1
	s_or_b32 exec_lo, exec_lo, s46
	s_mov_b32 s55, -1
	s_mov_b32 s1, exec_lo
	v_cmpx_gt_i32_e32 50, v0
; %bb.303:                              ;   in Loop: Header=BB0_14 Depth=1
	v_cmp_eq_u32_e32 vcc_lo, 0, v0
	s_or_not1_b32 s55, vcc_lo, exec_lo
; %bb.304:                              ;   in Loop: Header=BB0_14 Depth=1
	s_or_b32 exec_lo, exec_lo, s1
	s_mov_b32 s1, s75
                                        ; implicit-def: $vgpr1
	s_and_saveexec_b32 s46, s55
	s_cbranch_execz .LBB0_344
; %bb.305:                              ;   in Loop: Header=BB0_14 Depth=1
	v_mov_b32_e32 v0, 50
	s_and_saveexec_b32 s55, s54
	s_cbranch_execz .LBB0_307
; %bb.306:                              ;   in Loop: Header=BB0_14 Depth=1
	ds_load_b32 v0, v174 offset:3456
	ds_load_b32 v3, v186 offset:5316
	s_waitcnt lgkmcnt(1)
	v_lshrrev_b32_e32 v1, 16, v0
	v_cvt_f32_f16_e32 v0, v0
	s_delay_alu instid0(VALU_DEP_2) | instskip(NEXT) | instid1(VALU_DEP_2)
	v_cvt_f32_f16_e32 v1, v1
	v_add_f32_e32 v2, 0, v0
	s_waitcnt lgkmcnt(0)
	s_delay_alu instid0(VALU_DEP_1) | instskip(NEXT) | instid1(VALU_DEP_1)
	v_div_scale_f32 v5, null, v3, v3, v2
	v_rcp_f32_e32 v7, v5
	s_waitcnt_depctr 0xfff
	v_fma_f32 v0, -v5, v7, 1.0
	s_delay_alu instid0(VALU_DEP_1) | instskip(SKIP_1) | instid1(VALU_DEP_1)
	v_fmac_f32_e32 v7, v0, v7
	v_div_scale_f32 v9, vcc_lo, v2, v3, v2
	v_dual_add_f32 v4, 0, v1 :: v_dual_mul_f32 v11, v9, v7
	s_delay_alu instid0(VALU_DEP_1) | instskip(SKIP_1) | instid1(VALU_DEP_2)
	v_div_scale_f32 v6, null, v3, v3, v4
	v_div_scale_f32 v10, s1, v4, v3, v4
	v_rcp_f32_e32 v8, v6
	s_waitcnt_depctr 0xfff
	v_fma_f32 v1, -v6, v8, 1.0
	s_delay_alu instid0(VALU_DEP_1) | instskip(SKIP_2) | instid1(VALU_DEP_1)
	v_fmac_f32_e32 v8, v1, v8
	v_mad_u64_u32 v[0:1], null, v136, s9, v[65:66]
	v_fma_f32 v1, -v5, v11, v9
	v_dual_mul_f32 v12, v10, v8 :: v_dual_fmac_f32 v11, v1, v7
	s_delay_alu instid0(VALU_DEP_3) | instskip(NEXT) | instid1(VALU_DEP_2)
	v_lshl_add_u32 v0, v0, 5, v64
	v_fma_f32 v13, -v6, v12, v10
	s_delay_alu instid0(VALU_DEP_3) | instskip(NEXT) | instid1(VALU_DEP_3)
	v_fma_f32 v5, -v5, v11, v9
	v_ashrrev_i32_e32 v1, 31, v0
	s_delay_alu instid0(VALU_DEP_3) | instskip(NEXT) | instid1(VALU_DEP_3)
	v_fmac_f32_e32 v12, v13, v8
	v_div_fmas_f32 v5, v5, v7, v11
	s_mov_b32 vcc_lo, s1
	s_delay_alu instid0(VALU_DEP_2) | instskip(SKIP_1) | instid1(VALU_DEP_3)
	v_fma_f32 v6, -v6, v12, v10
	v_lshlrev_b64 v[0:1], 3, v[0:1]
	v_div_fixup_f32 v2, v5, v3, v2
	s_delay_alu instid0(VALU_DEP_3) | instskip(NEXT) | instid1(VALU_DEP_1)
	v_div_fmas_f32 v6, v6, v8, v12
	v_div_fixup_f32 v3, v6, v3, v4
	s_delay_alu instid0(VALU_DEP_4)
	v_add_co_u32 v4, vcc_lo, s49, v0
	v_add_co_ci_u32_e32 v5, vcc_lo, s67, v1, vcc_lo
	v_mov_b32_e32 v0, 0
	global_store_b64 v[4:5], v[2:3], off
.LBB0_307:                              ;   in Loop: Header=BB0_14 Depth=1
	s_or_b32 exec_lo, exec_lo, s55
	s_mov_b32 s55, -1
	s_mov_b32 s1, exec_lo
	v_cmpx_gt_i32_e32 50, v0
; %bb.308:                              ;   in Loop: Header=BB0_14 Depth=1
	v_cmp_eq_u32_e32 vcc_lo, 0, v0
	s_or_not1_b32 s55, vcc_lo, exec_lo
; %bb.309:                              ;   in Loop: Header=BB0_14 Depth=1
	s_or_b32 exec_lo, exec_lo, s1
	s_mov_b32 s1, s75
                                        ; implicit-def: $vgpr1
	s_and_saveexec_b32 s54, s55
	s_cbranch_execz .LBB0_343
; %bb.310:                              ;   in Loop: Header=BB0_14 Depth=1
	v_mov_b32_e32 v0, 50
	s_and_saveexec_b32 s55, s77
	s_cbranch_execz .LBB0_312
; %bb.311:                              ;   in Loop: Header=BB0_14 Depth=1
	ds_load_b32 v0, v174 offset:4032
	ds_load_b32 v3, v186 offset:5892
	s_waitcnt lgkmcnt(1)
	v_lshrrev_b32_e32 v1, 16, v0
	v_cvt_f32_f16_e32 v0, v0
	s_delay_alu instid0(VALU_DEP_2) | instskip(NEXT) | instid1(VALU_DEP_2)
	v_cvt_f32_f16_e32 v1, v1
	v_add_f32_e32 v2, 0, v0
	s_waitcnt lgkmcnt(0)
	s_delay_alu instid0(VALU_DEP_1) | instskip(NEXT) | instid1(VALU_DEP_1)
	v_div_scale_f32 v5, null, v3, v3, v2
	v_rcp_f32_e32 v7, v5
	s_waitcnt_depctr 0xfff
	v_fma_f32 v0, -v5, v7, 1.0
	s_delay_alu instid0(VALU_DEP_1) | instskip(SKIP_1) | instid1(VALU_DEP_1)
	v_fmac_f32_e32 v7, v0, v7
	v_div_scale_f32 v9, vcc_lo, v2, v3, v2
	v_dual_add_f32 v4, 0, v1 :: v_dual_mul_f32 v11, v9, v7
	s_delay_alu instid0(VALU_DEP_1) | instskip(SKIP_1) | instid1(VALU_DEP_2)
	v_div_scale_f32 v6, null, v3, v3, v4
	v_div_scale_f32 v10, s1, v4, v3, v4
	v_rcp_f32_e32 v8, v6
	s_waitcnt_depctr 0xfff
	v_fma_f32 v1, -v6, v8, 1.0
	s_delay_alu instid0(VALU_DEP_1) | instskip(SKIP_2) | instid1(VALU_DEP_1)
	v_fmac_f32_e32 v8, v1, v8
	v_mad_u64_u32 v[0:1], null, v135, s9, v[65:66]
	v_fma_f32 v1, -v5, v11, v9
	v_dual_mul_f32 v12, v10, v8 :: v_dual_fmac_f32 v11, v1, v7
	s_delay_alu instid0(VALU_DEP_3) | instskip(NEXT) | instid1(VALU_DEP_2)
	v_lshl_add_u32 v0, v0, 5, v64
	v_fma_f32 v13, -v6, v12, v10
	s_delay_alu instid0(VALU_DEP_3) | instskip(NEXT) | instid1(VALU_DEP_3)
	v_fma_f32 v5, -v5, v11, v9
	v_ashrrev_i32_e32 v1, 31, v0
	s_delay_alu instid0(VALU_DEP_3) | instskip(NEXT) | instid1(VALU_DEP_3)
	v_fmac_f32_e32 v12, v13, v8
	v_div_fmas_f32 v5, v5, v7, v11
	s_mov_b32 vcc_lo, s1
	s_delay_alu instid0(VALU_DEP_2) | instskip(SKIP_1) | instid1(VALU_DEP_3)
	v_fma_f32 v6, -v6, v12, v10
	v_lshlrev_b64 v[0:1], 3, v[0:1]
	v_div_fixup_f32 v2, v5, v3, v2
	s_delay_alu instid0(VALU_DEP_3) | instskip(NEXT) | instid1(VALU_DEP_1)
	v_div_fmas_f32 v6, v6, v8, v12
	v_div_fixup_f32 v3, v6, v3, v4
	s_delay_alu instid0(VALU_DEP_4)
	v_add_co_u32 v4, vcc_lo, s49, v0
	v_add_co_ci_u32_e32 v5, vcc_lo, s67, v1, vcc_lo
	v_mov_b32_e32 v0, 0
	global_store_b64 v[4:5], v[2:3], off
.LBB0_312:                              ;   in Loop: Header=BB0_14 Depth=1
	s_or_b32 exec_lo, exec_lo, s55
	s_mov_b32 s59, -1
	s_mov_b32 s1, exec_lo
	v_cmpx_gt_i32_e32 50, v0
; %bb.313:                              ;   in Loop: Header=BB0_14 Depth=1
	v_cmp_eq_u32_e32 vcc_lo, 0, v0
	s_or_not1_b32 s59, vcc_lo, exec_lo
; %bb.314:                              ;   in Loop: Header=BB0_14 Depth=1
	s_or_b32 exec_lo, exec_lo, s1
	s_mov_b32 s1, s75
                                        ; implicit-def: $vgpr1
	s_and_saveexec_b32 s55, s59
	s_cbranch_execz .LBB0_342
; %bb.315:                              ;   in Loop: Header=BB0_14 Depth=1
	v_mov_b32_e32 v0, 50
	s_and_saveexec_b32 s59, s80
	s_cbranch_execz .LBB0_317
; %bb.316:                              ;   in Loop: Header=BB0_14 Depth=1
	ds_load_b32 v0, v174 offset:4608
	ds_load_b32 v3, v186 offset:6468
	s_waitcnt lgkmcnt(1)
	v_lshrrev_b32_e32 v1, 16, v0
	v_cvt_f32_f16_e32 v0, v0
	s_delay_alu instid0(VALU_DEP_2) | instskip(NEXT) | instid1(VALU_DEP_2)
	v_cvt_f32_f16_e32 v1, v1
	v_add_f32_e32 v2, 0, v0
	s_waitcnt lgkmcnt(0)
	s_delay_alu instid0(VALU_DEP_1) | instskip(NEXT) | instid1(VALU_DEP_1)
	v_div_scale_f32 v5, null, v3, v3, v2
	v_rcp_f32_e32 v7, v5
	s_waitcnt_depctr 0xfff
	v_fma_f32 v0, -v5, v7, 1.0
	s_delay_alu instid0(VALU_DEP_1) | instskip(SKIP_1) | instid1(VALU_DEP_1)
	v_fmac_f32_e32 v7, v0, v7
	v_div_scale_f32 v9, vcc_lo, v2, v3, v2
	v_dual_add_f32 v4, 0, v1 :: v_dual_mul_f32 v11, v9, v7
	s_delay_alu instid0(VALU_DEP_1) | instskip(SKIP_1) | instid1(VALU_DEP_2)
	v_div_scale_f32 v6, null, v3, v3, v4
	v_div_scale_f32 v10, s1, v4, v3, v4
	v_rcp_f32_e32 v8, v6
	s_waitcnt_depctr 0xfff
	v_fma_f32 v1, -v6, v8, 1.0
	s_delay_alu instid0(VALU_DEP_1) | instskip(SKIP_2) | instid1(VALU_DEP_1)
	v_fmac_f32_e32 v8, v1, v8
	v_mad_u64_u32 v[0:1], null, v134, s9, v[65:66]
	v_fma_f32 v1, -v5, v11, v9
	v_dual_mul_f32 v12, v10, v8 :: v_dual_fmac_f32 v11, v1, v7
	s_delay_alu instid0(VALU_DEP_3) | instskip(NEXT) | instid1(VALU_DEP_2)
	v_lshl_add_u32 v0, v0, 5, v64
	v_fma_f32 v13, -v6, v12, v10
	s_delay_alu instid0(VALU_DEP_3) | instskip(NEXT) | instid1(VALU_DEP_3)
	v_fma_f32 v5, -v5, v11, v9
	v_ashrrev_i32_e32 v1, 31, v0
	s_delay_alu instid0(VALU_DEP_3) | instskip(NEXT) | instid1(VALU_DEP_3)
	v_fmac_f32_e32 v12, v13, v8
	v_div_fmas_f32 v5, v5, v7, v11
	s_mov_b32 vcc_lo, s1
	s_delay_alu instid0(VALU_DEP_2) | instskip(SKIP_1) | instid1(VALU_DEP_3)
	v_fma_f32 v6, -v6, v12, v10
	v_lshlrev_b64 v[0:1], 3, v[0:1]
	v_div_fixup_f32 v2, v5, v3, v2
	s_delay_alu instid0(VALU_DEP_3) | instskip(NEXT) | instid1(VALU_DEP_1)
	v_div_fmas_f32 v6, v6, v8, v12
	v_div_fixup_f32 v3, v6, v3, v4
	s_delay_alu instid0(VALU_DEP_4)
	v_add_co_u32 v4, vcc_lo, s49, v0
	v_add_co_ci_u32_e32 v5, vcc_lo, s67, v1, vcc_lo
	v_mov_b32_e32 v0, 0
	global_store_b64 v[4:5], v[2:3], off
.LBB0_317:                              ;   in Loop: Header=BB0_14 Depth=1
	s_or_b32 exec_lo, exec_lo, s59
	s_mov_b32 s60, -1
	s_mov_b32 s1, exec_lo
	v_cmpx_gt_i32_e32 50, v0
; %bb.318:                              ;   in Loop: Header=BB0_14 Depth=1
	v_cmp_eq_u32_e32 vcc_lo, 0, v0
	s_or_not1_b32 s60, vcc_lo, exec_lo
; %bb.319:                              ;   in Loop: Header=BB0_14 Depth=1
	s_or_b32 exec_lo, exec_lo, s1
	s_mov_b32 s1, s75
                                        ; implicit-def: $vgpr1
	s_and_saveexec_b32 s59, s60
	s_cbranch_execz .LBB0_341
; %bb.320:                              ;   in Loop: Header=BB0_14 Depth=1
	v_mov_b32_e32 v0, 50
	s_and_saveexec_b32 s60, s79
	s_cbranch_execz .LBB0_322
; %bb.321:                              ;   in Loop: Header=BB0_14 Depth=1
	s_clause 0x1
	scratch_load_b32 v0, off, off offset:164
	scratch_load_b32 v1, off, off offset:168
	s_waitcnt vmcnt(1)
	ds_load_b32 v0, v0
	s_waitcnt vmcnt(0)
	ds_load_b32 v3, v1 offset:132
	s_waitcnt lgkmcnt(1)
	v_lshrrev_b32_e32 v1, 16, v0
	v_cvt_f32_f16_e32 v0, v0
	s_delay_alu instid0(VALU_DEP_2) | instskip(NEXT) | instid1(VALU_DEP_2)
	v_cvt_f32_f16_e32 v1, v1
	v_add_f32_e32 v2, 0, v0
	s_waitcnt lgkmcnt(0)
	s_delay_alu instid0(VALU_DEP_1) | instskip(NEXT) | instid1(VALU_DEP_1)
	v_div_scale_f32 v5, null, v3, v3, v2
	v_rcp_f32_e32 v7, v5
	s_waitcnt_depctr 0xfff
	v_fma_f32 v0, -v5, v7, 1.0
	s_delay_alu instid0(VALU_DEP_1) | instskip(SKIP_1) | instid1(VALU_DEP_1)
	v_fmac_f32_e32 v7, v0, v7
	v_div_scale_f32 v9, vcc_lo, v2, v3, v2
	v_dual_add_f32 v4, 0, v1 :: v_dual_mul_f32 v11, v9, v7
	s_delay_alu instid0(VALU_DEP_1) | instskip(SKIP_1) | instid1(VALU_DEP_2)
	v_div_scale_f32 v6, null, v3, v3, v4
	v_div_scale_f32 v10, s1, v4, v3, v4
	v_rcp_f32_e32 v8, v6
	s_waitcnt_depctr 0xfff
	v_fma_f32 v1, -v6, v8, 1.0
	s_delay_alu instid0(VALU_DEP_1) | instskip(SKIP_2) | instid1(VALU_DEP_1)
	v_fmac_f32_e32 v8, v1, v8
	v_mad_u64_u32 v[0:1], null, v133, s9, v[65:66]
	v_fma_f32 v1, -v5, v11, v9
	v_dual_mul_f32 v12, v10, v8 :: v_dual_fmac_f32 v11, v1, v7
	s_delay_alu instid0(VALU_DEP_3) | instskip(NEXT) | instid1(VALU_DEP_2)
	v_lshl_add_u32 v0, v0, 5, v64
	v_fma_f32 v13, -v6, v12, v10
	s_delay_alu instid0(VALU_DEP_3) | instskip(NEXT) | instid1(VALU_DEP_3)
	v_fma_f32 v5, -v5, v11, v9
	v_ashrrev_i32_e32 v1, 31, v0
	s_delay_alu instid0(VALU_DEP_3) | instskip(NEXT) | instid1(VALU_DEP_3)
	v_fmac_f32_e32 v12, v13, v8
	v_div_fmas_f32 v5, v5, v7, v11
	s_mov_b32 vcc_lo, s1
	s_delay_alu instid0(VALU_DEP_2) | instskip(SKIP_1) | instid1(VALU_DEP_3)
	v_fma_f32 v6, -v6, v12, v10
	v_lshlrev_b64 v[0:1], 3, v[0:1]
	v_div_fixup_f32 v2, v5, v3, v2
	s_delay_alu instid0(VALU_DEP_3) | instskip(NEXT) | instid1(VALU_DEP_1)
	v_div_fmas_f32 v6, v6, v8, v12
	v_div_fixup_f32 v3, v6, v3, v4
	s_delay_alu instid0(VALU_DEP_4)
	v_add_co_u32 v4, vcc_lo, s49, v0
	v_add_co_ci_u32_e32 v5, vcc_lo, s67, v1, vcc_lo
	v_mov_b32_e32 v0, 0
	global_store_b64 v[4:5], v[2:3], off
.LBB0_322:                              ;   in Loop: Header=BB0_14 Depth=1
	s_or_b32 exec_lo, exec_lo, s60
	s_mov_b32 s61, -1
	s_mov_b32 s1, exec_lo
	v_cmpx_gt_i32_e32 50, v0
; %bb.323:                              ;   in Loop: Header=BB0_14 Depth=1
	v_cmp_eq_u32_e32 vcc_lo, 0, v0
	s_or_not1_b32 s61, vcc_lo, exec_lo
; %bb.324:                              ;   in Loop: Header=BB0_14 Depth=1
	s_or_b32 exec_lo, exec_lo, s1
	s_mov_b32 s1, s75
                                        ; implicit-def: $vgpr1
	s_and_saveexec_b32 s60, s61
	s_cbranch_execz .LBB0_340
; %bb.325:                              ;   in Loop: Header=BB0_14 Depth=1
	v_mov_b32_e32 v0, 50
	s_and_saveexec_b32 s61, s102
	s_cbranch_execz .LBB0_327
; %bb.326:                              ;   in Loop: Header=BB0_14 Depth=1
	ds_load_b32 v0, v174 offset:5760
	ds_load_b32 v3, v186 offset:7620
	s_waitcnt lgkmcnt(1)
	v_lshrrev_b32_e32 v1, 16, v0
	v_cvt_f32_f16_e32 v0, v0
	s_delay_alu instid0(VALU_DEP_2) | instskip(NEXT) | instid1(VALU_DEP_2)
	v_cvt_f32_f16_e32 v1, v1
	v_add_f32_e32 v2, 0, v0
	s_waitcnt lgkmcnt(0)
	s_delay_alu instid0(VALU_DEP_1) | instskip(NEXT) | instid1(VALU_DEP_1)
	v_div_scale_f32 v5, null, v3, v3, v2
	v_rcp_f32_e32 v7, v5
	s_waitcnt_depctr 0xfff
	v_fma_f32 v0, -v5, v7, 1.0
	s_delay_alu instid0(VALU_DEP_1) | instskip(SKIP_1) | instid1(VALU_DEP_1)
	v_fmac_f32_e32 v7, v0, v7
	v_div_scale_f32 v9, vcc_lo, v2, v3, v2
	v_dual_add_f32 v4, 0, v1 :: v_dual_mul_f32 v11, v9, v7
	s_delay_alu instid0(VALU_DEP_1) | instskip(SKIP_1) | instid1(VALU_DEP_2)
	v_div_scale_f32 v6, null, v3, v3, v4
	v_div_scale_f32 v10, s1, v4, v3, v4
	v_rcp_f32_e32 v8, v6
	s_waitcnt_depctr 0xfff
	v_fma_f32 v1, -v6, v8, 1.0
	s_delay_alu instid0(VALU_DEP_1) | instskip(SKIP_2) | instid1(VALU_DEP_1)
	v_fmac_f32_e32 v8, v1, v8
	v_mad_u64_u32 v[0:1], null, v124, s9, v[65:66]
	v_fma_f32 v1, -v5, v11, v9
	v_dual_mul_f32 v12, v10, v8 :: v_dual_fmac_f32 v11, v1, v7
	s_delay_alu instid0(VALU_DEP_3) | instskip(NEXT) | instid1(VALU_DEP_2)
	v_lshl_add_u32 v0, v0, 5, v64
	v_fma_f32 v13, -v6, v12, v10
	s_delay_alu instid0(VALU_DEP_3) | instskip(NEXT) | instid1(VALU_DEP_3)
	v_fma_f32 v5, -v5, v11, v9
	v_ashrrev_i32_e32 v1, 31, v0
	s_delay_alu instid0(VALU_DEP_3) | instskip(NEXT) | instid1(VALU_DEP_3)
	v_fmac_f32_e32 v12, v13, v8
	v_div_fmas_f32 v5, v5, v7, v11
	s_mov_b32 vcc_lo, s1
	s_delay_alu instid0(VALU_DEP_2) | instskip(SKIP_1) | instid1(VALU_DEP_3)
	v_fma_f32 v6, -v6, v12, v10
	v_lshlrev_b64 v[0:1], 3, v[0:1]
	v_div_fixup_f32 v2, v5, v3, v2
	s_delay_alu instid0(VALU_DEP_3) | instskip(NEXT) | instid1(VALU_DEP_1)
	v_div_fmas_f32 v6, v6, v8, v12
	v_div_fixup_f32 v3, v6, v3, v4
	s_delay_alu instid0(VALU_DEP_4)
	v_add_co_u32 v4, vcc_lo, s49, v0
	v_add_co_ci_u32_e32 v5, vcc_lo, s67, v1, vcc_lo
	v_mov_b32_e32 v0, 0
	global_store_b64 v[4:5], v[2:3], off
.LBB0_327:                              ;   in Loop: Header=BB0_14 Depth=1
	s_or_b32 exec_lo, exec_lo, s61
	s_mov_b32 s64, -1
	s_mov_b32 s1, exec_lo
	v_cmpx_gt_i32_e32 50, v0
; %bb.328:                              ;   in Loop: Header=BB0_14 Depth=1
	v_cmp_eq_u32_e32 vcc_lo, 0, v0
	s_or_not1_b32 s64, vcc_lo, exec_lo
; %bb.329:                              ;   in Loop: Header=BB0_14 Depth=1
	s_or_b32 exec_lo, exec_lo, s1
	s_mov_b32 s1, s75
                                        ; implicit-def: $vgpr1
	s_and_saveexec_b32 s61, s64
	s_cbranch_execz .LBB0_339
; %bb.330:                              ;   in Loop: Header=BB0_14 Depth=1
	v_mov_b32_e32 v0, 50
	s_and_saveexec_b32 s64, s78
	s_cbranch_execz .LBB0_332
; %bb.331:                              ;   in Loop: Header=BB0_14 Depth=1
	ds_load_b32 v0, v174 offset:6336
	ds_load_b32 v3, v186 offset:8196
	s_waitcnt lgkmcnt(1)
	v_lshrrev_b32_e32 v1, 16, v0
	v_cvt_f32_f16_e32 v0, v0
	s_delay_alu instid0(VALU_DEP_2) | instskip(NEXT) | instid1(VALU_DEP_2)
	v_cvt_f32_f16_e32 v1, v1
	v_add_f32_e32 v2, 0, v0
	s_waitcnt lgkmcnt(0)
	s_delay_alu instid0(VALU_DEP_1) | instskip(NEXT) | instid1(VALU_DEP_1)
	v_div_scale_f32 v5, null, v3, v3, v2
	v_rcp_f32_e32 v7, v5
	s_waitcnt_depctr 0xfff
	v_fma_f32 v0, -v5, v7, 1.0
	s_delay_alu instid0(VALU_DEP_1) | instskip(SKIP_1) | instid1(VALU_DEP_1)
	v_fmac_f32_e32 v7, v0, v7
	v_div_scale_f32 v9, vcc_lo, v2, v3, v2
	v_dual_add_f32 v4, 0, v1 :: v_dual_mul_f32 v11, v9, v7
	s_delay_alu instid0(VALU_DEP_1) | instskip(SKIP_1) | instid1(VALU_DEP_2)
	v_div_scale_f32 v6, null, v3, v3, v4
	v_div_scale_f32 v10, s1, v4, v3, v4
	v_rcp_f32_e32 v8, v6
	s_waitcnt_depctr 0xfff
	v_fma_f32 v1, -v6, v8, 1.0
	s_delay_alu instid0(VALU_DEP_1) | instskip(SKIP_2) | instid1(VALU_DEP_1)
	v_fmac_f32_e32 v8, v1, v8
	v_mad_u64_u32 v[0:1], null, v123, s9, v[65:66]
	v_fma_f32 v1, -v5, v11, v9
	v_dual_mul_f32 v12, v10, v8 :: v_dual_fmac_f32 v11, v1, v7
	s_delay_alu instid0(VALU_DEP_3) | instskip(NEXT) | instid1(VALU_DEP_2)
	v_lshl_add_u32 v0, v0, 5, v64
	v_fma_f32 v13, -v6, v12, v10
	s_delay_alu instid0(VALU_DEP_3) | instskip(NEXT) | instid1(VALU_DEP_3)
	v_fma_f32 v5, -v5, v11, v9
	v_ashrrev_i32_e32 v1, 31, v0
	s_delay_alu instid0(VALU_DEP_3) | instskip(NEXT) | instid1(VALU_DEP_3)
	v_fmac_f32_e32 v12, v13, v8
	v_div_fmas_f32 v5, v5, v7, v11
	s_mov_b32 vcc_lo, s1
	s_delay_alu instid0(VALU_DEP_2) | instskip(SKIP_1) | instid1(VALU_DEP_3)
	v_fma_f32 v6, -v6, v12, v10
	v_lshlrev_b64 v[0:1], 3, v[0:1]
	v_div_fixup_f32 v2, v5, v3, v2
	s_delay_alu instid0(VALU_DEP_3) | instskip(NEXT) | instid1(VALU_DEP_1)
	v_div_fmas_f32 v6, v6, v8, v12
	v_div_fixup_f32 v3, v6, v3, v4
	s_delay_alu instid0(VALU_DEP_4)
	v_add_co_u32 v4, vcc_lo, s49, v0
	v_add_co_ci_u32_e32 v5, vcc_lo, s67, v1, vcc_lo
	v_mov_b32_e32 v0, 0
	global_store_b64 v[4:5], v[2:3], off
.LBB0_332:                              ;   in Loop: Header=BB0_14 Depth=1
	s_or_b32 exec_lo, exec_lo, s64
	s_mov_b32 s66, -1
	s_mov_b32 s1, exec_lo
	v_cmpx_gt_i32_e32 50, v0
; %bb.333:                              ;   in Loop: Header=BB0_14 Depth=1
	v_cmp_eq_u32_e32 vcc_lo, 0, v0
	s_or_not1_b32 s66, vcc_lo, exec_lo
; %bb.334:                              ;   in Loop: Header=BB0_14 Depth=1
	s_or_b32 exec_lo, exec_lo, s1
	s_mov_b32 s1, s75
                                        ; implicit-def: $vgpr1
	s_and_saveexec_b32 s64, s66
	s_cbranch_execz .LBB0_338
; %bb.335:                              ;   in Loop: Header=BB0_14 Depth=1
	s_mov_b32 s1, s75
                                        ; implicit-def: $vgpr1
	s_and_saveexec_b32 s66, s74
	s_cbranch_execz .LBB0_337
; %bb.336:                              ;   in Loop: Header=BB0_14 Depth=1
	ds_load_b32 v0, v174 offset:6912
	ds_load_b32 v1, v186 offset:8772
	s_waitcnt lgkmcnt(1)
	v_lshrrev_b32_e32 v2, 16, v0
	v_cvt_f32_f16_e32 v0, v0
	s_delay_alu instid0(VALU_DEP_2) | instskip(NEXT) | instid1(VALU_DEP_2)
	v_cvt_f32_f16_e32 v2, v2
	v_add_f32_e32 v0, 0, v0
	s_delay_alu instid0(VALU_DEP_2) | instskip(SKIP_1) | instid1(VALU_DEP_2)
	v_add_f32_e32 v2, 0, v2
	s_waitcnt lgkmcnt(0)
	v_div_scale_f32 v3, null, v1, v1, v0
	s_delay_alu instid0(VALU_DEP_2) | instskip(NEXT) | instid1(VALU_DEP_2)
	v_div_scale_f32 v4, null, v1, v1, v2
	v_rcp_f32_e32 v5, v3
	s_delay_alu instid0(VALU_DEP_1) | instskip(SKIP_3) | instid1(VALU_DEP_2)
	v_rcp_f32_e32 v6, v4
	s_waitcnt_depctr 0xfff
	v_fma_f32 v7, -v3, v5, 1.0
	v_fma_f32 v8, -v4, v6, 1.0
	v_fmac_f32_e32 v5, v7, v5
	v_div_scale_f32 v9, vcc_lo, v0, v1, v0
	v_div_scale_f32 v7, s1, v2, v1, v2
	s_delay_alu instid0(VALU_DEP_4) | instskip(NEXT) | instid1(VALU_DEP_3)
	v_fmac_f32_e32 v6, v8, v6
	v_mul_f32_e32 v8, v9, v5
	s_delay_alu instid0(VALU_DEP_2) | instskip(NEXT) | instid1(VALU_DEP_2)
	v_mul_f32_e32 v10, v7, v6
	v_fma_f32 v11, -v3, v8, v9
	s_delay_alu instid0(VALU_DEP_2) | instskip(NEXT) | instid1(VALU_DEP_2)
	v_fma_f32 v12, -v4, v10, v7
	v_fmac_f32_e32 v8, v11, v5
	s_delay_alu instid0(VALU_DEP_2) | instskip(NEXT) | instid1(VALU_DEP_2)
	v_fmac_f32_e32 v10, v12, v6
	v_fma_f32 v3, -v3, v8, v9
	s_delay_alu instid0(VALU_DEP_2) | instskip(NEXT) | instid1(VALU_DEP_2)
	v_fma_f32 v4, -v4, v10, v7
	v_div_fmas_f32 v3, v3, v5, v8
	s_mov_b32 vcc_lo, s1
	s_or_b32 s1, s75, exec_lo
	s_delay_alu instid0(VALU_DEP_2) | instskip(NEXT) | instid1(VALU_DEP_2)
	v_div_fmas_f32 v4, v4, v6, v10
	v_div_fixup_f32 v0, v3, v1, v0
	s_delay_alu instid0(VALU_DEP_2)
	v_div_fixup_f32 v1, v4, v1, v2
.LBB0_337:                              ;   in Loop: Header=BB0_14 Depth=1
	s_or_b32 exec_lo, exec_lo, s66
	s_delay_alu instid0(SALU_CYCLE_1) | instskip(SKIP_1) | instid1(SALU_CYCLE_1)
	s_and_not1_b32 s66, s75, exec_lo
	s_and_b32 s1, s1, exec_lo
	s_or_b32 s1, s66, s1
.LBB0_338:                              ;   in Loop: Header=BB0_14 Depth=1
	s_or_b32 exec_lo, exec_lo, s64
	s_delay_alu instid0(SALU_CYCLE_1) | instskip(SKIP_1) | instid1(SALU_CYCLE_1)
	s_and_not1_b32 s64, s75, exec_lo
	s_and_b32 s1, s1, exec_lo
	s_or_b32 s1, s64, s1
.LBB0_339:                              ;   in Loop: Header=BB0_14 Depth=1
	s_or_b32 exec_lo, exec_lo, s61
	s_delay_alu instid0(SALU_CYCLE_1) | instskip(SKIP_1) | instid1(SALU_CYCLE_1)
	s_and_not1_b32 s61, s75, exec_lo
	s_and_b32 s1, s1, exec_lo
	s_or_b32 s1, s61, s1
.LBB0_340:                              ;   in Loop: Header=BB0_14 Depth=1
	s_or_b32 exec_lo, exec_lo, s60
	s_delay_alu instid0(SALU_CYCLE_1) | instskip(SKIP_1) | instid1(SALU_CYCLE_1)
	s_and_not1_b32 s60, s75, exec_lo
	s_and_b32 s1, s1, exec_lo
	s_or_b32 s1, s60, s1
.LBB0_341:                              ;   in Loop: Header=BB0_14 Depth=1
	s_or_b32 exec_lo, exec_lo, s59
	s_delay_alu instid0(SALU_CYCLE_1) | instskip(SKIP_1) | instid1(SALU_CYCLE_1)
	s_and_not1_b32 s59, s75, exec_lo
	s_and_b32 s1, s1, exec_lo
	s_or_b32 s1, s59, s1
.LBB0_342:                              ;   in Loop: Header=BB0_14 Depth=1
	s_or_b32 exec_lo, exec_lo, s55
	s_delay_alu instid0(SALU_CYCLE_1) | instskip(SKIP_1) | instid1(SALU_CYCLE_1)
	s_and_not1_b32 s55, s75, exec_lo
	s_and_b32 s1, s1, exec_lo
	s_or_b32 s1, s55, s1
.LBB0_343:                              ;   in Loop: Header=BB0_14 Depth=1
	s_or_b32 exec_lo, exec_lo, s54
	s_delay_alu instid0(SALU_CYCLE_1) | instskip(SKIP_1) | instid1(SALU_CYCLE_1)
	s_and_not1_b32 s54, s75, exec_lo
	s_and_b32 s1, s1, exec_lo
	s_or_b32 s1, s54, s1
.LBB0_344:                              ;   in Loop: Header=BB0_14 Depth=1
	s_or_b32 exec_lo, exec_lo, s46
	s_delay_alu instid0(SALU_CYCLE_1) | instskip(SKIP_1) | instid1(SALU_CYCLE_1)
	s_and_not1_b32 s46, s75, exec_lo
	s_and_b32 s1, s1, exec_lo
	s_or_b32 s1, s46, s1
.LBB0_345:                              ;   in Loop: Header=BB0_14 Depth=1
	s_or_b32 exec_lo, exec_lo, s15
	s_delay_alu instid0(SALU_CYCLE_1) | instskip(SKIP_1) | instid1(SALU_CYCLE_1)
	s_and_not1_b32 s15, s75, exec_lo
	s_and_b32 s1, s1, exec_lo
	s_or_b32 s1, s15, s1
.LBB0_346:                              ;   in Loop: Header=BB0_14 Depth=1
	s_or_b32 exec_lo, exec_lo, s14
	s_delay_alu instid0(SALU_CYCLE_1) | instskip(SKIP_1) | instid1(SALU_CYCLE_1)
	s_and_not1_b32 s14, s75, exec_lo
	s_and_b32 s1, s1, exec_lo
	s_or_b32 s1, s14, s1
.LBB0_347:                              ;   in Loop: Header=BB0_14 Depth=1
	s_or_b32 exec_lo, exec_lo, s7
	s_delay_alu instid0(SALU_CYCLE_1) | instskip(SKIP_1) | instid1(SALU_CYCLE_1)
	s_and_not1_b32 s7, s75, exec_lo
	s_and_b32 s1, s1, exec_lo
	s_or_b32 s1, s7, s1
.LBB0_348:                              ;   in Loop: Header=BB0_14 Depth=1
	s_or_b32 exec_lo, exec_lo, s6
	s_delay_alu instid0(SALU_CYCLE_1) | instskip(SKIP_1) | instid1(SALU_CYCLE_1)
	s_and_not1_b32 s6, s75, exec_lo
	s_and_b32 s1, s1, exec_lo
	s_or_b32 s1, s6, s1
.LBB0_349:                              ;   in Loop: Header=BB0_14 Depth=1
	s_or_b32 exec_lo, exec_lo, s5
	s_delay_alu instid0(SALU_CYCLE_1) | instskip(SKIP_1) | instid1(SALU_CYCLE_1)
	s_and_not1_b32 s5, s75, exec_lo
	s_and_b32 s1, s1, exec_lo
	s_or_b32 s1, s5, s1
.LBB0_350:                              ;   in Loop: Header=BB0_14 Depth=1
	s_or_b32 exec_lo, exec_lo, s4
	s_delay_alu instid0(SALU_CYCLE_1) | instskip(SKIP_1) | instid1(SALU_CYCLE_1)
	s_and_not1_b32 s4, s75, exec_lo
	s_and_b32 s1, s1, exec_lo
	s_or_b32 s1, s4, s1
.LBB0_351:                              ;   in Loop: Header=BB0_14 Depth=1
	s_or_b32 exec_lo, exec_lo, s3
	s_delay_alu instid0(SALU_CYCLE_1) | instskip(SKIP_1) | instid1(SALU_CYCLE_1)
	s_and_not1_b32 s3, s75, exec_lo
	s_and_b32 s1, s1, exec_lo
	s_or_b32 s75, s3, s1
.LBB0_352:                              ;   in Loop: Header=BB0_14 Depth=1
	s_or_b32 exec_lo, exec_lo, s2
.LBB0_353:                              ;   in Loop: Header=BB0_14 Depth=1
	s_and_saveexec_b32 s1, s75
	s_cbranch_execz .LBB0_13
; %bb.354:                              ;   in Loop: Header=BB0_14 Depth=1
	v_mad_u64_u32 v[2:3], null, v215, s9, v[65:66]
	s_delay_alu instid0(VALU_DEP_1) | instskip(NEXT) | instid1(VALU_DEP_1)
	v_lshl_add_u32 v2, v2, 5, v64
	v_ashrrev_i32_e32 v3, 31, v2
	s_delay_alu instid0(VALU_DEP_1) | instskip(NEXT) | instid1(VALU_DEP_1)
	v_lshlrev_b64 v[2:3], 3, v[2:3]
	v_add_co_u32 v2, vcc_lo, s49, v2
	s_delay_alu instid0(VALU_DEP_2)
	v_add_co_ci_u32_e32 v3, vcc_lo, s67, v3, vcc_lo
	global_store_b64 v[2:3], v[0:1], off
	s_branch .LBB0_13
.LBB0_355:
	v_readlane_b32 s54, v255, 22
	v_readlane_b32 s55, v255, 23
	s_and_not1_b32 vcc_lo, exec_lo, s1
	s_cbranch_vccnz .LBB0_11
.LBB0_356:
	v_readlane_b32 s6, v255, 3
	s_abs_i32 s3, s58
	v_readlane_b32 s9, v255, 2
	v_readlane_b32 s11, v255, 1
	s_delay_alu instid0(VALU_DEP_3) | instskip(NEXT) | instid1(SALU_CYCLE_1)
	s_abs_i32 s0, s6
	v_cvt_f32_u32_e32 v0, s0
	s_sub_i32 s2, 0, s0
	s_delay_alu instid0(VALU_DEP_1) | instskip(SKIP_2) | instid1(VALU_DEP_1)
	v_rcp_iflag_f32_e32 v0, v0
	s_waitcnt_depctr 0xfff
	v_mul_f32_e32 v0, 0x4f7ffffe, v0
	v_cvt_u32_f32_e32 v0, v0
	s_delay_alu instid0(VALU_DEP_1) | instskip(NEXT) | instid1(VALU_DEP_1)
	v_readfirstlane_b32 s1, v0
	s_mul_i32 s2, s2, s1
	s_delay_alu instid0(SALU_CYCLE_1) | instskip(NEXT) | instid1(SALU_CYCLE_1)
	s_mul_hi_u32 s2, s1, s2
	s_add_i32 s1, s1, s2
	s_xor_b32 s2, s58, s6
	s_mul_hi_u32 s1, s3, s1
	s_ashr_i32 s2, s2, 31
	s_mul_i32 s4, s1, s0
	s_delay_alu instid0(SALU_CYCLE_1)
	s_sub_i32 s3, s3, s4
	s_add_i32 s4, s1, 1
	s_sub_i32 s5, s3, s0
	s_cmp_ge_u32 s3, s0
	s_cselect_b32 s1, s4, s1
	s_cselect_b32 s3, s5, s3
	s_add_i32 s4, s1, 1
	s_cmp_ge_u32 s3, s0
	s_cselect_b32 s0, s4, s1
	s_abs_i32 s1, s9
	s_xor_b32 s0, s0, s2
	v_cvt_f32_u32_e32 v0, s1
	s_sub_i32 s2, s0, s2
	s_sub_i32 s0, 0, s1
	s_mul_i32 s4, s2, s6
	s_delay_alu instid0(VALU_DEP_1) | instskip(SKIP_1) | instid1(SALU_CYCLE_1)
	v_rcp_iflag_f32_e32 v0, v0
	s_sub_i32 s4, s58, s4
	s_abs_i32 s5, s4
	s_waitcnt_depctr 0xfff
	v_mul_f32_e32 v0, 0x4f7ffffe, v0
	s_delay_alu instid0(VALU_DEP_1) | instskip(NEXT) | instid1(VALU_DEP_1)
	v_cvt_u32_f32_e32 v0, v0
	v_readfirstlane_b32 s3, v0
	s_delay_alu instid0(VALU_DEP_1) | instskip(NEXT) | instid1(SALU_CYCLE_1)
	s_mul_i32 s0, s0, s3
	s_mul_hi_u32 s0, s3, s0
	s_delay_alu instid0(SALU_CYCLE_1) | instskip(NEXT) | instid1(SALU_CYCLE_1)
	s_add_i32 s3, s3, s0
	s_mul_hi_u32 s0, s5, s3
	s_xor_b32 s3, s4, s9
	s_mul_i32 s6, s0, s1
	s_ashr_i32 s3, s3, 31
	s_sub_i32 s5, s5, s6
	s_add_i32 s6, s0, 1
	s_sub_i32 s7, s5, s1
	s_cmp_ge_u32 s5, s1
	s_cselect_b32 s0, s6, s0
	s_cselect_b32 s5, s7, s5
	s_add_i32 s6, s0, 1
	s_cmp_ge_u32 s5, s1
	s_cselect_b32 s0, s6, s0
	s_abs_i32 s1, s11
	s_xor_b32 s0, s0, s3
	v_cvt_f32_u32_e32 v0, s1
	s_sub_i32 s3, s0, s3
	s_sub_i32 s0, 0, s1
	s_mul_i32 s6, s3, s9
	s_delay_alu instid0(VALU_DEP_1) | instskip(SKIP_1) | instid1(SALU_CYCLE_1)
	v_rcp_iflag_f32_e32 v0, v0
	s_sub_i32 s4, s4, s6
	s_abs_i32 s6, s4
	s_waitcnt_depctr 0xfff
	v_mul_f32_e32 v0, 0x4f7ffffe, v0
	s_delay_alu instid0(VALU_DEP_1) | instskip(NEXT) | instid1(VALU_DEP_1)
	v_cvt_u32_f32_e32 v0, v0
	v_readfirstlane_b32 s5, v0
	s_delay_alu instid0(VALU_DEP_1) | instskip(NEXT) | instid1(SALU_CYCLE_1)
	s_mul_i32 s0, s0, s5
	s_mul_hi_u32 s0, s5, s0
	s_delay_alu instid0(SALU_CYCLE_1) | instskip(NEXT) | instid1(SALU_CYCLE_1)
	s_add_i32 s5, s5, s0
	s_mul_hi_u32 s0, s6, s5
	s_xor_b32 s5, s4, s11
	s_mul_i32 s7, s0, s1
	s_ashr_i32 s5, s5, 31
	s_sub_i32 s6, s6, s7
	s_add_i32 s7, s0, 1
	s_sub_i32 s9, s6, s1
	s_cmp_ge_u32 s6, s1
	s_cselect_b32 s0, s7, s0
	s_cselect_b32 s6, s9, s6
	s_add_i32 s7, s0, 1
	s_cmp_ge_u32 s6, s1
	s_cselect_b32 s0, s7, s0
	s_delay_alu instid0(SALU_CYCLE_1) | instskip(NEXT) | instid1(SALU_CYCLE_1)
	s_xor_b32 s0, s0, s5
	s_sub_i32 s0, s0, s5
	s_delay_alu instid0(SALU_CYCLE_1) | instskip(NEXT) | instid1(SALU_CYCLE_1)
	s_mul_i32 s1, s0, s11
	s_sub_i32 s1, s4, s1
	s_delay_alu instid0(SALU_CYCLE_1) | instskip(SKIP_4) | instid1(SALU_CYCLE_1)
	s_abs_i32 s4, s1
	s_ashr_i32 s1, s1, 31
	s_mul_hi_u32 s5, s4, s83
	s_xor_b32 s1, s1, s82
	s_mul_i32 s6, s5, s63
	s_sub_i32 s4, s4, s6
	s_add_i32 s6, s5, 1
	s_sub_i32 s7, s4, s63
	s_cmp_ge_u32 s4, s63
	s_cselect_b32 s5, s6, s5
	s_cselect_b32 s4, s7, s4
	s_add_i32 s6, s5, 1
	s_cmp_ge_u32 s4, s63
	s_cselect_b32 s5, s6, s5
	s_abs_i32 s4, s54
	s_xor_b32 s5, s5, s1
	v_cvt_f32_u32_e32 v0, s4
	s_sub_i32 s1, s5, s1
	s_cmp_eq_u64 s[26:27], 0
	s_delay_alu instid0(VALU_DEP_1) | instskip(SKIP_2) | instid1(VALU_DEP_1)
	v_rcp_iflag_f32_e32 v0, v0
	s_waitcnt_depctr 0xfff
	v_mul_f32_e32 v0, 0x4f7ffffe, v0
	v_cvt_u32_f32_e32 v0, v0
	s_delay_alu instid0(VALU_DEP_1)
	v_readfirstlane_b32 s7, v0
	v_mov_b32_e32 v0, s101
	s_cbranch_scc1 .LBB0_358
; %bb.357:
	v_readlane_b32 s5, v255, 0
	v_mov_b32_e32 v0, 0
	s_delay_alu instid0(VALU_DEP_2) | instskip(NEXT) | instid1(SALU_CYCLE_1)
	s_mul_i32 s5, s2, s5
	s_add_i32 s14, s1, s5
	s_delay_alu instid0(SALU_CYCLE_1) | instskip(NEXT) | instid1(SALU_CYCLE_1)
	s_ashr_i32 s15, s14, 31
	s_lshl_b64 s[14:15], s[14:15], 2
	s_delay_alu instid0(SALU_CYCLE_1) | instskip(SKIP_4) | instid1(VALU_DEP_1)
	s_add_u32 s14, s26, s14
	s_addc_u32 s15, s27, s15
	global_load_b32 v0, v0, s[14:15]
	s_waitcnt vmcnt(0)
	v_ashrrev_i32_e32 v1, 31, v0
	v_lshrrev_b32_e32 v1, 26, v1
	s_delay_alu instid0(VALU_DEP_1) | instskip(NEXT) | instid1(VALU_DEP_1)
	v_add_nc_u32_e32 v0, v0, v1
	v_ashrrev_i32_e32 v0, 6, v0
	s_delay_alu instid0(VALU_DEP_1)
	v_min_i32_e32 v0, s101, v0
.LBB0_358:
	s_mul_i32 s5, s3, s76
	s_lshl_b32 s0, s0, 2
	s_mul_i32 s6, s2, s57
	s_add_i32 s5, s0, s5
	s_ashr_i32 s9, s6, 31
	s_mul_i32 s5, s5, s56
	s_add_u32 s6, s16, s6
	s_addc_u32 s9, s17, s9
	s_ashr_i32 s11, s5, 31
	s_add_u32 s5, s6, s5
	s_addc_u32 s6, s9, s11
	s_lshl_b32 s1, s1, 4
	v_or_b32_e32 v2, s0, v65
	v_add_nc_u32_e32 v1, s1, v144
	v_mad_u32_u24 v124, v245, 36, v64
	s_delay_alu instid0(VALU_DEP_3) | instskip(NEXT) | instid1(VALU_DEP_3)
	v_cmp_gt_i32_e32 vcc_lo, s76, v2
	v_cmp_le_i32_e64 s0, s8, v1
	s_xor_b32 s9, vcc_lo, -1
	s_delay_alu instid0(VALU_DEP_1) | instid1(SALU_CYCLE_1)
	s_or_b32 s0, s0, s9
	s_delay_alu instid0(SALU_CYCLE_1) | instskip(NEXT) | instid1(SALU_CYCLE_1)
	s_and_saveexec_b32 s11, s0
	s_xor_b32 s0, exec_lo, s11
	s_cbranch_execz .LBB0_360
; %bb.359:
	v_lshl_add_u32 v1, v124, 2, 0
	v_mov_b32_e32 v2, 0
	ds_store_b32 v1, v2
                                        ; implicit-def: $vgpr1
.LBB0_360:
	s_or_saveexec_b32 s0, s0
	v_readlane_b32 s15, v255, 10
	v_add_nc_u32_e32 v3, 60, v245
	v_add_nc_u32_e32 v4, 56, v245
	;; [unrolled: 1-line block ×12, first 2 shown]
	s_xor_b32 exec_lo, exec_lo, s0
	s_cbranch_execz .LBB0_362
; %bb.361:
	v_mul_lo_u32 v1, v1, s33
	v_mul_lo_u32 v2, v65, s15
	s_delay_alu instid0(VALU_DEP_1) | instskip(NEXT) | instid1(VALU_DEP_1)
	v_add3_u32 v1, v2, v64, v1
	v_ashrrev_i32_e32 v2, 31, v1
	s_delay_alu instid0(VALU_DEP_1) | instskip(NEXT) | instid1(VALU_DEP_1)
	v_lshlrev_b64 v[1:2], 3, v[1:2]
	v_add_co_u32 v1, vcc_lo, s5, v1
	s_delay_alu instid0(VALU_DEP_2) | instskip(SKIP_4) | instid1(VALU_DEP_1)
	v_add_co_ci_u32_e32 v2, vcc_lo, s6, v2, vcc_lo
	global_load_b64 v[1:2], v[1:2], off
	s_waitcnt vmcnt(0)
	v_cvt_f16_f32_e32 v1, v1
	v_cvt_f16_f32_e32 v2, v2
	v_pack_b32_f16 v1, v1, v2
	v_lshl_add_u32 v2, v124, 2, 0
	s_delay_alu instid0(VALU_DEP_2)
	v_pk_mul_f16 v1, v143, v1
	ds_store_b32 v2, v1
.LBB0_362:
	s_or_b32 exec_lo, exec_lo, s0
	v_lshrrev_b32_e32 v1, 2, v243
	s_delay_alu instid0(VALU_DEP_1) | instskip(NEXT) | instid1(VALU_DEP_1)
	v_add_nc_u32_e32 v1, s1, v1
	v_cmp_le_i32_e32 vcc_lo, s8, v1
	s_or_b32 s0, vcc_lo, s9
	s_delay_alu instid0(SALU_CYCLE_1) | instskip(NEXT) | instid1(SALU_CYCLE_1)
	s_and_saveexec_b32 s11, s0
	s_xor_b32 s0, exec_lo, s11
	s_cbranch_execz .LBB0_364
; %bb.363:
	v_mad_u32_u24 v1, v243, 36, v64
	v_mov_b32_e32 v2, 0
	s_delay_alu instid0(VALU_DEP_2)
	v_lshl_add_u32 v1, v1, 2, 0
	ds_store_b32 v1, v2
                                        ; implicit-def: $vgpr1
.LBB0_364:
	s_and_not1_saveexec_b32 s0, s0
	s_cbranch_execz .LBB0_366
; %bb.365:
	v_mul_lo_u32 v1, v1, s33
	v_mul_lo_u32 v2, v65, s15
	s_delay_alu instid0(VALU_DEP_1) | instskip(NEXT) | instid1(VALU_DEP_1)
	v_add3_u32 v1, v2, v64, v1
	v_ashrrev_i32_e32 v2, 31, v1
	s_delay_alu instid0(VALU_DEP_1) | instskip(NEXT) | instid1(VALU_DEP_1)
	v_lshlrev_b64 v[1:2], 3, v[1:2]
	v_add_co_u32 v1, vcc_lo, s5, v1
	s_delay_alu instid0(VALU_DEP_2) | instskip(SKIP_4) | instid1(VALU_DEP_1)
	v_add_co_ci_u32_e32 v2, vcc_lo, s6, v2, vcc_lo
	global_load_b64 v[1:2], v[1:2], off
	s_waitcnt vmcnt(0)
	v_cvt_f16_f32_e32 v1, v1
	v_cvt_f16_f32_e32 v2, v2
	v_pack_b32_f16 v1, v1, v2
	v_mad_u32_u24 v2, v243, 36, v64
	s_delay_alu instid0(VALU_DEP_2) | instskip(NEXT) | instid1(VALU_DEP_2)
	v_pk_mul_f16 v1, v143, v1
	v_lshl_add_u32 v2, v2, 2, 0
	ds_store_b32 v2, v1
.LBB0_366:
	s_or_b32 exec_lo, exec_lo, s0
	v_lshrrev_b32_e32 v1, 2, v242
	s_delay_alu instid0(VALU_DEP_1) | instskip(NEXT) | instid1(VALU_DEP_1)
	v_add_nc_u32_e32 v1, s1, v1
	v_cmp_le_i32_e32 vcc_lo, s8, v1
	s_or_b32 s0, vcc_lo, s9
	s_delay_alu instid0(SALU_CYCLE_1) | instskip(NEXT) | instid1(SALU_CYCLE_1)
	s_and_saveexec_b32 s11, s0
	s_xor_b32 s0, exec_lo, s11
	s_cbranch_execz .LBB0_368
; %bb.367:
	v_mad_u32_u24 v1, v242, 36, v64
	v_mov_b32_e32 v2, 0
	s_delay_alu instid0(VALU_DEP_2)
	v_lshl_add_u32 v1, v1, 2, 0
	ds_store_b32 v1, v2
                                        ; implicit-def: $vgpr1
.LBB0_368:
	s_and_not1_saveexec_b32 s0, s0
	s_cbranch_execz .LBB0_370
; %bb.369:
	v_mul_lo_u32 v1, v1, s33
	v_mul_lo_u32 v2, v65, s15
	s_delay_alu instid0(VALU_DEP_1) | instskip(NEXT) | instid1(VALU_DEP_1)
	v_add3_u32 v1, v2, v64, v1
	v_ashrrev_i32_e32 v2, 31, v1
	s_delay_alu instid0(VALU_DEP_1) | instskip(NEXT) | instid1(VALU_DEP_1)
	v_lshlrev_b64 v[1:2], 3, v[1:2]
	v_add_co_u32 v1, vcc_lo, s5, v1
	s_delay_alu instid0(VALU_DEP_2) | instskip(SKIP_4) | instid1(VALU_DEP_1)
	v_add_co_ci_u32_e32 v2, vcc_lo, s6, v2, vcc_lo
	global_load_b64 v[1:2], v[1:2], off
	s_waitcnt vmcnt(0)
	v_cvt_f16_f32_e32 v1, v1
	v_cvt_f16_f32_e32 v2, v2
	v_pack_b32_f16 v1, v1, v2
	v_mad_u32_u24 v2, v242, 36, v64
	s_delay_alu instid0(VALU_DEP_2) | instskip(NEXT) | instid1(VALU_DEP_2)
	v_pk_mul_f16 v1, v143, v1
	v_lshl_add_u32 v2, v2, 2, 0
	ds_store_b32 v2, v1
.LBB0_370:
	;; [unrolled: 42-line block ×12, first 2 shown]
	s_or_b32 exec_lo, exec_lo, s0
	v_lshrrev_b32_e32 v1, 2, v6
	s_sub_i32 s0, 0, s4
	s_delay_alu instid0(VALU_DEP_1) | instskip(NEXT) | instid1(VALU_DEP_1)
	v_add_nc_u32_e32 v1, s1, v1
	v_cmp_le_i32_e32 vcc_lo, s8, v1
	s_or_b32 s11, vcc_lo, s9
	s_delay_alu instid0(SALU_CYCLE_1) | instskip(NEXT) | instid1(SALU_CYCLE_1)
	s_and_saveexec_b32 s13, s11
	s_xor_b32 s11, exec_lo, s13
	s_cbranch_execz .LBB0_412
; %bb.411:
	v_mad_u32_u24 v1, v6, 36, v64
	v_mov_b32_e32 v2, 0
	s_delay_alu instid0(VALU_DEP_2)
	v_lshl_add_u32 v1, v1, 2, 0
	ds_store_b32 v1, v2
                                        ; implicit-def: $vgpr1
.LBB0_412:
	s_or_saveexec_b32 s11, s11
	s_mul_i32 s0, s0, s7
	s_xor_b32 exec_lo, exec_lo, s11
	s_cbranch_execz .LBB0_414
; %bb.413:
	v_mul_lo_u32 v1, v1, s33
	v_mul_lo_u32 v2, v65, s15
	s_delay_alu instid0(VALU_DEP_1) | instskip(NEXT) | instid1(VALU_DEP_1)
	v_add3_u32 v1, v2, v64, v1
	v_ashrrev_i32_e32 v2, 31, v1
	s_delay_alu instid0(VALU_DEP_1) | instskip(NEXT) | instid1(VALU_DEP_1)
	v_lshlrev_b64 v[1:2], 3, v[1:2]
	v_add_co_u32 v1, vcc_lo, s5, v1
	s_delay_alu instid0(VALU_DEP_2) | instskip(SKIP_4) | instid1(VALU_DEP_1)
	v_add_co_ci_u32_e32 v2, vcc_lo, s6, v2, vcc_lo
	global_load_b64 v[1:2], v[1:2], off
	s_waitcnt vmcnt(0)
	v_cvt_f16_f32_e32 v1, v1
	v_cvt_f16_f32_e32 v2, v2
	v_pack_b32_f16 v1, v1, v2
	v_mad_u32_u24 v2, v6, 36, v64
	s_delay_alu instid0(VALU_DEP_2) | instskip(NEXT) | instid1(VALU_DEP_2)
	v_pk_mul_f16 v1, v143, v1
	v_lshl_add_u32 v2, v2, 2, 0
	ds_store_b32 v2, v1
.LBB0_414:
	s_or_b32 exec_lo, exec_lo, s11
	v_lshrrev_b32_e32 v1, 2, v4
	s_mul_hi_u32 s11, s7, s0
	s_delay_alu instid0(VALU_DEP_1) | instskip(NEXT) | instid1(VALU_DEP_1)
	v_add_nc_u32_e32 v1, s1, v1
	v_cmp_le_i32_e32 vcc_lo, s8, v1
	s_or_b32 s0, vcc_lo, s9
	s_delay_alu instid0(SALU_CYCLE_1) | instskip(NEXT) | instid1(SALU_CYCLE_1)
	s_and_saveexec_b32 s13, s0
	s_xor_b32 s0, exec_lo, s13
	s_cbranch_execz .LBB0_416
; %bb.415:
	v_mad_u32_u24 v1, v4, 36, v64
	v_mov_b32_e32 v2, 0
	s_delay_alu instid0(VALU_DEP_2)
	v_lshl_add_u32 v1, v1, 2, 0
	ds_store_b32 v1, v2
                                        ; implicit-def: $vgpr1
.LBB0_416:
	s_or_saveexec_b32 s0, s0
	s_abs_i32 s14, s2
	s_add_i32 s7, s7, s11
	s_xor_b32 exec_lo, exec_lo, s0
	s_cbranch_execz .LBB0_418
; %bb.417:
	v_mul_lo_u32 v1, v1, s33
	v_mul_lo_u32 v2, v65, s15
	s_delay_alu instid0(VALU_DEP_1) | instskip(NEXT) | instid1(VALU_DEP_1)
	v_add3_u32 v1, v2, v64, v1
	v_ashrrev_i32_e32 v2, 31, v1
	s_delay_alu instid0(VALU_DEP_1) | instskip(NEXT) | instid1(VALU_DEP_1)
	v_lshlrev_b64 v[1:2], 3, v[1:2]
	v_add_co_u32 v1, vcc_lo, s5, v1
	s_delay_alu instid0(VALU_DEP_2) | instskip(SKIP_4) | instid1(VALU_DEP_1)
	v_add_co_ci_u32_e32 v2, vcc_lo, s6, v2, vcc_lo
	global_load_b64 v[1:2], v[1:2], off
	s_waitcnt vmcnt(0)
	v_cvt_f16_f32_e32 v1, v1
	v_cvt_f16_f32_e32 v2, v2
	v_pack_b32_f16 v1, v1, v2
	v_mad_u32_u24 v2, v4, 36, v64
	s_delay_alu instid0(VALU_DEP_2) | instskip(NEXT) | instid1(VALU_DEP_2)
	v_pk_mul_f16 v1, v143, v1
	v_lshl_add_u32 v2, v2, 2, 0
	ds_store_b32 v2, v1
.LBB0_418:
	s_or_b32 exec_lo, exec_lo, s0
	v_lshrrev_b32_e32 v1, 2, v3
	s_mul_hi_u32 s7, s14, s7
	s_delay_alu instid0(VALU_DEP_1) | instskip(NEXT) | instid1(VALU_DEP_1)
	v_add_nc_u32_e32 v1, s1, v1
	v_cmp_le_i32_e32 vcc_lo, s8, v1
	s_or_b32 s0, vcc_lo, s9
	s_delay_alu instid0(SALU_CYCLE_1) | instskip(NEXT) | instid1(SALU_CYCLE_1)
	s_and_saveexec_b32 s9, s0
	s_xor_b32 s0, exec_lo, s9
	s_cbranch_execz .LBB0_420
; %bb.419:
	v_mad_u32_u24 v1, v3, 36, v64
	v_mov_b32_e32 v2, 0
                                        ; implicit-def: $vgpr65
                                        ; implicit-def: $vgpr143
	s_delay_alu instid0(VALU_DEP_2)
	v_lshl_add_u32 v1, v1, 2, 0
	ds_store_b32 v1, v2
                                        ; implicit-def: $vgpr1
.LBB0_420:
	s_or_saveexec_b32 s9, s0
	s_ashr_i32 s0, s2, 31
	s_xor_b32 exec_lo, exec_lo, s9
	s_cbranch_execz .LBB0_422
; %bb.421:
	v_mul_lo_u32 v1, v1, s33
	v_mul_lo_u32 v2, v65, s15
	s_delay_alu instid0(VALU_DEP_1) | instskip(NEXT) | instid1(VALU_DEP_1)
	v_add3_u32 v1, v2, v64, v1
	v_ashrrev_i32_e32 v2, 31, v1
	s_delay_alu instid0(VALU_DEP_1) | instskip(NEXT) | instid1(VALU_DEP_1)
	v_lshlrev_b64 v[1:2], 3, v[1:2]
	v_add_co_u32 v1, vcc_lo, s5, v1
	s_delay_alu instid0(VALU_DEP_2) | instskip(SKIP_4) | instid1(VALU_DEP_1)
	v_add_co_ci_u32_e32 v2, vcc_lo, s6, v2, vcc_lo
	global_load_b64 v[1:2], v[1:2], off
	s_waitcnt vmcnt(0)
	v_cvt_f16_f32_e32 v1, v1
	v_cvt_f16_f32_e32 v2, v2
	v_pack_b32_f16 v1, v1, v2
	v_mad_u32_u24 v2, v3, 36, v64
	s_delay_alu instid0(VALU_DEP_2) | instskip(NEXT) | instid1(VALU_DEP_2)
	v_pk_mul_f16 v1, v143, v1
	v_lshl_add_u32 v2, v2, 2, 0
	ds_store_b32 v2, v1
.LBB0_422:
	s_or_b32 exec_lo, exec_lo, s9
	v_readlane_b32 s16, v255, 8
	s_mul_i32 s5, s2, s45
	s_mul_hi_u32 s6, s2, s44
	v_readlane_b32 s17, v255, 9
	v_and_b32_e32 v143, 15, v64
	s_add_i32 s5, s6, s5
	s_mul_i32 s6, s0, s44
	s_mul_i32 s9, s2, s44
	s_add_i32 s5, s5, s6
	s_add_u32 s6, s18, s9
	s_mul_i32 s9, s3, s17
	v_mul_u32_u24_e32 v1, 0x900, v245
	v_mul_u32_u24_e32 v152, 0x90, v143
	s_addc_u32 s5, s19, s5
	s_ashr_i32 s13, s9, 31
	s_mul_i32 s7, s7, s4
	s_add_u32 s11, s6, s9
	s_addc_u32 s13, s5, s13
	s_sub_i32 s5, s14, s7
	v_add3_u32 v1, 0, v1, v152
	s_sub_i32 s6, s5, s4
	s_cmp_ge_u32 s5, s4
	s_waitcnt lgkmcnt(0)
	s_waitcnt_vscnt null, 0x0
	s_cselect_b32 s5, s6, s5
	s_barrier
	buffer_gl0_inv
	ds_load_b128 v[40:43], v1
	ds_load_b128 v[44:47], v1 offset:16
	ds_load_b128 v[16:19], v1 offset:32
	;; [unrolled: 1-line block ×7, first 2 shown]
	s_sub_i32 s6, s5, s4
	s_cmp_ge_u32 s5, s4
	v_add_nc_u32_e32 v165, -1, v0
	s_cselect_b32 s4, s6, s5
	s_mul_i32 s3, s3, s47
	s_xor_b32 s4, s4, s0
	v_lshlrev_b32_e32 v0, 1, v64
	s_sub_i32 s4, s4, s0
	s_mul_i32 s0, s0, s50
	s_mul_i32 s5, s4, s53
	s_mul_hi_u32 s6, s4, s52
	s_ashr_i32 s7, s4, 31
	s_add_i32 s5, s6, s5
	s_mul_i32 s7, s7, s52
	s_mul_i32 s4, s4, s52
	s_add_i32 s5, s5, s7
	s_add_u32 s14, s22, s4
	s_addc_u32 s15, s23, s5
	s_mul_i32 s4, s2, s51
	s_mul_hi_u32 s5, s2, s50
	s_mul_i32 s2, s2, s50
	s_add_i32 s4, s5, s4
	v_cmp_lt_i32_e32 vcc_lo, s102, v165
	s_add_i32 s4, s4, s0
	s_add_u32 s0, s20, s2
	s_addc_u32 s2, s21, s4
	s_ashr_i32 s4, s3, 31
	s_add_u32 s6, s0, s3
	s_addc_u32 s7, s2, s4
	s_mov_b32 s0, 0
	s_movk_i32 s2, 0x90
	s_and_b32 vcc_lo, exec_lo, vcc_lo
	s_mov_b32 s3, -1
	s_waitcnt lgkmcnt(0)
	s_barrier
	buffer_gl0_inv
	s_cbranch_vccnz .LBB0_424
; %bb.423:
	v_dual_mov_b32 v154, 32 :: v_dual_add_nc_u32 v1, s1, v245
	v_add_nc_u32_e32 v7, s1, v212
	v_dual_mov_b32 v75, 0 :: v_dual_add_nc_u32 v2, s1, v243
	s_delay_alu instid0(VALU_DEP_3) | instskip(SKIP_1) | instid1(VALU_DEP_4)
	v_mul_hi_u32 v4, s34, v1
	v_add_nc_u32_e32 v3, s1, v242
	v_mul_hi_u32 v8, s34, v7
	s_delay_alu instid0(VALU_DEP_4)
	v_mul_hi_u32 v5, s34, v2
	v_lshrrev_b32_e32 v9, 3, v64
	s_movk_i32 s3, 0x240
	v_mul_hi_u32 v6, s34, v3
	s_movk_i32 s4, 0x480
	v_add_nc_u32_e32 v4, v1, v4
	v_lshl_add_u32 v9, v245, 2, v9
	v_add_nc_u32_e32 v8, v7, v8
	v_add_nc_u32_e32 v5, v2, v5
	v_mad_u32_u24 v157, 0x90, v245, s3
	v_lshrrev_b32_e32 v4, s35, v4
	v_add_nc_u32_e32 v6, v3, v6
	v_lshrrev_b32_e32 v8, s35, v8
	v_lshrrev_b32_e32 v5, s35, v5
	v_mul_lo_u32 v76, s12, v9
	v_mul_lo_u32 v4, v4, s8
	;; [unrolled: 1-line block ×3, first 2 shown]
	v_lshrrev_b32_e32 v6, s35, v6
	v_mul_lo_u32 v5, v5, s8
	v_mad_u32_u24 v158, 0x90, v245, s4
	s_lshl_b32 s3, s12, 4
	s_lshl_b32 s4, s10, 4
	v_mul_lo_u32 v6, v6, s8
	v_sub_nc_u32_e32 v1, v1, v4
	v_mul_lo_u32 v4, v8, s8
	v_add_nc_u32_e32 v78, s3, v76
	v_lshlrev_b32_e32 v144, 4, v245
	v_add_nc_u32_e32 v66, s4, v72
	v_mad_i64_i32 v[90:91], null, v1, s48, 0
	v_sub_nc_u32_e32 v2, v2, v5
	v_add_nc_u32_e32 v80, s3, v78
	v_sub_nc_u32_e32 v1, v7, v4
	v_add_nc_u32_e32 v68, s4, v66
	v_sub_nc_u32_e32 v3, v3, v6
	v_mad_i64_i32 v[86:87], null, v2, s48, 0
	s_delay_alu instid0(VALU_DEP_4)
	v_mad_i64_i32 v[88:89], null, v1, s48, 0
	v_and_or_b32 v1, v64, 12, v144
	v_lshlrev_b32_e32 v2, 2, v64
	v_add_nc_u32_e32 v82, s3, v80
	v_mbcnt_lo_u32_b32 v151, -1, 0
	v_lshrrev_b32_e32 v145, 4, v64
	v_lshrrev_b32_e32 v1, 2, v1
	v_add_nc_u32_e32 v70, s4, v68
	v_mad_u32_u24 v161, v9, s2, 0x900
	s_movk_i32 s2, 0x1200
	v_mad_i64_i32 v[84:85], null, v3, s48, 0
	s_movk_i32 s5, 0x6c0
	v_mad_u32_u24 v162, 0x90, v9, s2
	s_movk_i32 s2, 0x1b00
	v_mul_u32_u24_e32 v156, 0x90, v245
	v_mad_u32_u24 v160, 0x90, v245, s5
	v_mul_u32_u24_e32 v159, 0x90, v9
	v_and_b32_e32 v74, 28, v2
	v_ashrrev_i32_e32 v77, 31, v76
	v_ashrrev_i32_e32 v79, 31, v78
	;; [unrolled: 1-line block ×3, first 2 shown]
	v_mad_u32_u24 v163, 0x90, v9, s2
	v_ashrrev_i32_e32 v83, 31, v82
	v_mul_u32_u24_e32 v155, 0x90, v1
	v_xor_b32_e32 v153, 16, v151
	v_xor_b32_e32 v65, 1, v145
	v_ashrrev_i32_e32 v73, 31, v72
	v_ashrrev_i32_e32 v67, 31, v66
	;; [unrolled: 1-line block ×4, first 2 shown]
	v_or_b32_e32 v149, 0x90, v143
	v_or_b32_e32 v148, 0x120, v143
	;; [unrolled: 1-line block ×3, first 2 shown]
	s_ashr_i32 s25, s12, 31
	s_ashr_i32 s5, s10, 31
	s_mov_b32 s2, 0xfeffffff
	s_mov_b32 s3, 0
	s_branch .LBB0_425
.LBB0_424:
                                        ; implicit-def: $vgpr65_vgpr66
                                        ; implicit-def: $sgpr0
                                        ; implicit-def: $sgpr2
                                        ; implicit-def: $vgpr156
                                        ; implicit-def: $vgpr90_vgpr91
                                        ; implicit-def: $vgpr157
                                        ; implicit-def: $vgpr86_vgpr87
                                        ; implicit-def: $vgpr158
                                        ; implicit-def: $vgpr84_vgpr85
                                        ; implicit-def: $vgpr160
                                        ; implicit-def: $vgpr88_vgpr89
                                        ; implicit-def: $vgpr159
                                        ; implicit-def: $vgpr74
                                        ; implicit-def: $vgpr76_vgpr77
                                        ; implicit-def: $vgpr161
                                        ; implicit-def: $vgpr78_vgpr79
                                        ; implicit-def: $vgpr162
                                        ; implicit-def: $vgpr80_vgpr81
                                        ; implicit-def: $vgpr163
                                        ; implicit-def: $vgpr82_vgpr83
                                        ; implicit-def: $vgpr145
                                        ; implicit-def: $vgpr144
                                        ; implicit-def: $vgpr155
                                        ; implicit-def: $vgpr151
                                        ; implicit-def: $vgpr153
                                        ; implicit-def: $vgpr154
                                        ; implicit-def: $vgpr72_vgpr73
                                        ; implicit-def: $vgpr68_vgpr69
                                        ; implicit-def: $vgpr70_vgpr71
                                        ; implicit-def: $vgpr149
                                        ; implicit-def: $vgpr148
                                        ; implicit-def: $vgpr147
                                        ; implicit-def: $sgpr24_sgpr25
                                        ; implicit-def: $sgpr4_sgpr5
                                        ; implicit-def: $vgpr66_vgpr67
.LBB0_425:
	v_readlane_b32 s24, v255, 6
	v_dual_mov_b32 v7, s0 :: v_dual_mov_b32 v146, s0
	v_dual_mov_b32 v150, s2 :: v_dual_mov_b32 v5, s0
	v_dual_mov_b32 v3, s0 :: v_dual_lshlrev_b32 v164, 1, v0
	v_dual_mov_b32 v6, s0 :: v_dual_mov_b32 v1, s0
	v_dual_mov_b32 v4, s0 :: v_dual_mov_b32 v15, s0
	;; [unrolled: 1-line block ×5, first 2 shown]
	v_mov_b32_e32 v12, s0
	v_mov_b32_e32 v10, s0
	;; [unrolled: 1-line block ×3, first 2 shown]
	s_and_not1_b32 vcc_lo, exec_lo, s3
	s_cbranch_vccnz .LBB0_428
; %bb.426:
	v_dual_mov_b32 v154, 32 :: v_dual_add_nc_u32 v1, s1, v243
	v_mbcnt_lo_u32_b32 v151, -1, 0
	v_dual_mov_b32 v75, 0 :: v_dual_add_nc_u32 v0, s1, v245
	s_delay_alu instid0(VALU_DEP_3) | instskip(SKIP_1) | instid1(VALU_DEP_4)
	v_mul_hi_u32 v3, s34, v1
	v_dual_mov_b32 v150, 0xfeffffff :: v_dual_add_nc_u32 v5, s1, v212
	v_xor_b32_e32 v153, 16, v151
	s_delay_alu instid0(VALU_DEP_4) | instskip(SKIP_1) | instid1(VALU_DEP_4)
	v_mul_hi_u32 v2, s34, v0
	v_lshrrev_b32_e32 v9, 3, v64
	v_mul_hi_u32 v8, s34, v5
	v_add_co_u32 v166, s0, s14, v164
	v_dual_mov_b32 v146, v75 :: v_dual_add_nc_u32 v3, v1, v3
	v_cmp_gt_i32_e32 vcc_lo, 32, v153
	v_add_nc_u32_e32 v4, s1, v242
	v_dual_mov_b32 v11, v75 :: v_dual_add_nc_u32 v2, v0, v2
	s_delay_alu instid0(VALU_DEP_4) | instskip(SKIP_1) | instid1(VALU_DEP_4)
	v_lshrrev_b32_e32 v3, s35, v3
	v_dual_mov_b32 v13, v75 :: v_dual_add_nc_u32 v8, v5, v8
	v_mul_hi_u32 v7, s34, v4
	s_delay_alu instid0(VALU_DEP_4) | instskip(NEXT) | instid1(VALU_DEP_4)
	v_lshrrev_b32_e32 v2, s35, v2
	v_mul_lo_u32 v3, v3, s8
	s_delay_alu instid0(VALU_DEP_4) | instskip(SKIP_1) | instid1(VALU_DEP_4)
	v_lshrrev_b32_e32 v8, s35, v8
	v_add_co_ci_u32_e64 v167, null, s15, 0, s0
	v_mul_lo_u32 v2, v2, s8
	s_movk_i32 s0, 0x240
	v_add_nc_u32_e32 v7, v4, v7
	v_mad_u32_u24 v157, 0x90, v245, s0
	v_sub_nc_u32_e32 v1, v1, v3
	v_mul_lo_u32 v3, v8, s8
	v_mov_b32_e32 v8, v75
	v_lshrrev_b32_e32 v7, s35, v7
	v_sub_nc_u32_e32 v0, v0, v2
	v_mad_i64_i32 v[86:87], null, v1, s48, 0
	s_movk_i32 s0, 0x480
	s_delay_alu instid0(VALU_DEP_3)
	v_mul_lo_u32 v2, v7, s8
	v_mad_u32_u24 v158, 0x90, v245, s0
	s_movk_i32 s0, 0x6c0
	v_mad_i64_i32 v[90:91], null, v0, s48, 0
	v_dual_mov_b32 v15, v75 :: v_dual_lshlrev_b32 v0, 2, v64
	v_mad_u32_u24 v160, 0x90, v245, s0
	v_sub_nc_u32_e32 v1, v4, v2
	v_lshl_add_u32 v2, v245, 2, v9
	s_lshl_b32 s0, s12, 4
	v_and_b32_e32 v74, 28, v0
	v_sub_nc_u32_e32 v0, v5, v3
	v_dual_mov_b32 v5, v75 :: v_dual_lshlrev_b32 v144, 4, v245
	v_mul_lo_u32 v76, s12, v2
	v_mul_lo_u32 v72, s10, v2
	v_mov_b32_e32 v3, v75
	v_mad_i64_i32 v[88:89], null, v0, s48, 0
	v_and_or_b32 v0, v64, 12, v144
	v_mov_b32_e32 v7, v75
	v_lshrrev_b32_e32 v145, 4, v64
	v_add_nc_u32_e32 v78, s0, v76
	v_mad_i64_i32 v[84:85], null, v1, s48, 0
	v_lshrrev_b32_e32 v0, 2, v0
	v_mul_u32_u24_e32 v159, 0x90, v2
	s_delay_alu instid0(VALU_DEP_4) | instskip(SKIP_1) | instid1(VALU_DEP_4)
	v_add_nc_u32_e32 v80, s0, v78
	v_dual_mov_b32 v10, v75 :: v_dual_lshlrev_b32 v1, 2, v74
	v_mul_u32_u24_e32 v155, 0x90, v0
	v_lshlrev_b32_e32 v0, 1, v145
	s_delay_alu instid0(VALU_DEP_4)
	v_add_nc_u32_e32 v82, s0, v80
	s_lshl_b32 s0, s10, 4
	s_movk_i32 s1, 0x900
	v_add_nc_u32_e32 v66, s0, v72
	v_dual_mov_b32 v9, v75 :: v_dual_add_nc_u32 v6, 0, v164
	v_mul_u32_u24_e32 v156, 0x90, v245
	v_add3_u32 v168, 0, v159, v1
	s_delay_alu instid0(VALU_DEP_4) | instskip(SKIP_3) | instid1(VALU_DEP_4)
	v_dual_cndmask_b32 v1, v151, v153 :: v_dual_add_nc_u32 v68, s0, v66
	v_add3_u32 v172, 0, v155, v0
	v_lshlrev_b32_e32 v0, 2, v143
	v_mad_u32_u24 v161, 0x90, v2, s1
	v_add_nc_u32_e32 v70, s0, v68
	s_movk_i32 s1, 0x1200
	v_ashrrev_i32_e32 v77, 31, v76
	v_mad_u32_u24 v162, 0x90, v2, s1
	s_movk_i32 s1, 0x1b00
	v_dual_mov_b32 v12, v75 :: v_dual_add_nc_u32 v169, 0x900, v168
	v_ashrrev_i32_e32 v79, 31, v78
	v_add_nc_u32_e32 v170, 0x1200, v168
	v_ashrrev_i32_e32 v81, 31, v80
	v_mad_u32_u24 v163, 0x90, v2, s1
	v_dual_mov_b32 v14, v75 :: v_dual_add_nc_u32 v171, 0x1b00, v168
	v_ashrrev_i32_e32 v83, 31, v82
	v_lshlrev_b32_e32 v173, 2, v1
	v_xor_b32_e32 v65, 1, v145
	v_ashrrev_i32_e32 v73, 31, v72
	v_ashrrev_i32_e32 v67, 31, v66
	;; [unrolled: 1-line block ×4, first 2 shown]
	v_or_b32_e32 v149, 0x90, v143
	v_or_b32_e32 v148, 0x120, v143
	;; [unrolled: 1-line block ×3, first 2 shown]
	v_add_nc_u32_e32 v174, 0, v0
	v_add3_u32 v175, 0, 0x900, v0
	v_add3_u32 v176, 0, 0x1200, v0
	;; [unrolled: 1-line block ×7, first 2 shown]
	v_mov_b32_e32 v0, v75
	v_dual_mov_b32 v1, v75 :: v_dual_add_nc_u32 v182, v6, v156
	v_dual_mov_b32 v2, v75 :: v_dual_lshlrev_b32 v183, 2, v74
	v_mov_b32_e32 v4, v75
	v_mov_b32_e32 v6, v75
	s_mov_b32 s16, 0
	s_ashr_i32 s25, s12, 31
	s_ashr_i32 s5, s10, 31
	s_lshl_b32 s8, s102, 6
	s_mov_b32 s17, s16
	s_mov_b32 s18, s16
	;; [unrolled: 1-line block ×7, first 2 shown]
.LBB0_427:                              ; =>This Inner Loop Header: Depth=1
	s_ashr_i32 s9, s8, 31
	v_lshlrev_b64 v[48:49], 1, v[90:91]
	s_lshl_b64 s[0:1], s[8:9], 1
	v_lshlrev_b64 v[50:51], 1, v[86:87]
	v_add_co_u32 v56, vcc_lo, v166, s0
	v_add_co_ci_u32_e32 v57, vcc_lo, s1, v167, vcc_lo
	v_lshlrev_b64 v[52:53], 1, v[84:85]
	s_delay_alu instid0(VALU_DEP_3) | instskip(NEXT) | instid1(VALU_DEP_3)
	v_add_co_u32 v48, vcc_lo, v56, v48
	v_add_co_ci_u32_e32 v49, vcc_lo, v57, v49, vcc_lo
	v_add_co_u32 v50, vcc_lo, v56, v50
	v_lshlrev_b64 v[54:55], 1, v[88:89]
	v_add_co_ci_u32_e32 v51, vcc_lo, v57, v51, vcc_lo
	v_add_co_u32 v52, vcc_lo, v56, v52
	v_add_co_ci_u32_e32 v53, vcc_lo, v57, v53, vcc_lo
	s_delay_alu instid0(VALU_DEP_4)
	v_add_co_u32 v54, vcc_lo, v56, v54
	v_add_co_ci_u32_e32 v55, vcc_lo, v57, v55, vcc_lo
	s_clause 0x3
	global_load_b32 v48, v[48:49], off
	global_load_b32 v49, v[50:51], off
	;; [unrolled: 1-line block ×4, first 2 shown]
	v_dual_mov_b32 v115, s23 :: v_dual_add_nc_u32 v52, 0x2400, v182
	s_mul_hi_i32 s1, s8, s12
	s_mul_i32 s0, s8, s12
	v_dual_mov_b32 v114, s22 :: v_dual_add_nc_u32 v133, 0, v152
	s_lshl_b64 s[0:1], s[0:1], 2
	v_dual_mov_b32 v112, s20 :: v_dual_mov_b32 v111, s19
	s_add_u32 s0, s11, s0
	s_addc_u32 s1, s13, s1
	v_dual_mov_b32 v110, s18 :: v_dual_mov_b32 v109, s17
	v_mov_b32_e32 v108, s16
	v_cmp_eq_u32_e64 s2, 0, v145
	v_mov_b32_e32 v113, s21
	v_add_nc_u32_e32 v203, 0x800, v174
	s_waitcnt vmcnt(2)
	ds_store_2addr_b32 v52, v48, v49 offset1:144
	v_add_nc_u32_e32 v48, 0x2800, v182
	s_waitcnt vmcnt(0)
	ds_store_2addr_b32 v48, v50, v51 offset0:32 offset1:176
	v_lshlrev_b64 v[48:49], 2, v[76:77]
	s_delay_alu instid0(VALU_DEP_1) | instskip(NEXT) | instid1(VALU_DEP_2)
	v_add_co_u32 v50, vcc_lo, s0, v48
	v_add_co_ci_u32_e32 v51, vcc_lo, s1, v49, vcc_lo
	v_lshlrev_b64 v[48:49], 2, v[78:79]
	s_delay_alu instid0(VALU_DEP_1) | instskip(NEXT) | instid1(VALU_DEP_2)
	v_add_co_u32 v52, vcc_lo, s0, v48
	v_add_co_ci_u32_e32 v53, vcc_lo, s1, v49, vcc_lo
	v_add_co_u32 v48, vcc_lo, v50, v183
	v_add_co_ci_u32_e32 v49, vcc_lo, 0, v51, vcc_lo
	s_delay_alu instid0(VALU_DEP_4) | instskip(NEXT) | instid1(VALU_DEP_4)
	v_add_co_u32 v52, vcc_lo, v52, v183
	v_add_co_ci_u32_e32 v53, vcc_lo, 0, v53, vcc_lo
	s_clause 0x1
	global_load_b128 v[48:51], v[48:49], off
	global_load_b128 v[52:55], v[52:53], off
	s_waitcnt vmcnt(1)
	ds_store_b128 v168, v[48:51]
	s_waitcnt vmcnt(0)
	ds_store_b128 v169, v[52:55]
	v_lshlrev_b64 v[48:49], 2, v[80:81]
	s_delay_alu instid0(VALU_DEP_1) | instskip(NEXT) | instid1(VALU_DEP_2)
	v_add_co_u32 v50, vcc_lo, s0, v48
	v_add_co_ci_u32_e32 v51, vcc_lo, s1, v49, vcc_lo
	v_lshlrev_b64 v[48:49], 2, v[82:83]
	s_delay_alu instid0(VALU_DEP_1) | instskip(NEXT) | instid1(VALU_DEP_2)
	v_add_co_u32 v52, vcc_lo, s0, v48
	v_add_co_ci_u32_e32 v53, vcc_lo, s1, v49, vcc_lo
	v_add_co_u32 v48, vcc_lo, v50, v183
	v_add_co_ci_u32_e32 v49, vcc_lo, 0, v51, vcc_lo
	s_delay_alu instid0(VALU_DEP_4) | instskip(NEXT) | instid1(VALU_DEP_4)
	v_add_co_u32 v52, vcc_lo, v52, v183
	v_add_co_ci_u32_e32 v53, vcc_lo, 0, v53, vcc_lo
	s_clause 0x1
	global_load_b128 v[48:51], v[48:49], off
	global_load_b128 v[52:55], v[52:53], off
	s_waitcnt vmcnt(1)
	ds_store_b128 v170, v[48:51]
	s_waitcnt vmcnt(0)
	ds_store_b128 v171, v[52:55]
	s_waitcnt lgkmcnt(0)
	s_barrier
	buffer_gl0_inv
	ds_load_b128 v[48:51], v133
	ds_load_b128 v[52:55], v133 offset:16
	ds_load_b128 v[56:59], v133 offset:2304
	;; [unrolled: 1-line block ×7, first 2 shown]
	s_mul_hi_i32 s1, s8, s10
	s_mul_i32 s0, s8, s10
	s_delay_alu instid0(SALU_CYCLE_1) | instskip(NEXT) | instid1(SALU_CYCLE_1)
	s_lshl_b64 s[0:1], s[0:1], 2
	s_add_u32 s0, s6, s0
	s_addc_u32 s1, s7, s1
	s_add_i32 s102, s102, 1
	s_add_i32 s8, s8, 64
	s_waitcnt lgkmcnt(6)
	v_wmma_f32_16x16x16_f16 v[116:123], v[48:55], v[40:47], v[108:115]
	ds_load_b128 v[48:51], v133 offset:32
	ds_load_b128 v[52:55], v133 offset:48
	s_waitcnt lgkmcnt(6)
	v_wmma_f32_16x16x16_f16 v[125:132], v[56:63], v[40:47], v[108:115]
	s_waitcnt lgkmcnt(4)
	v_wmma_f32_16x16x16_f16 v[56:63], v[92:99], v[40:47], v[108:115]
	;; [unrolled: 2-line block ×4, first 2 shown]
	ds_load_b128 v[48:51], v133 offset:2336
	ds_load_b128 v[52:55], v133 offset:2352
	s_waitcnt lgkmcnt(0)
	v_wmma_f32_16x16x16_f16 v[125:132], v[48:55], v[16:23], v[125:132]
	ds_load_b128 v[48:51], v133 offset:4640
	ds_load_b128 v[52:55], v133 offset:4656
	s_waitcnt lgkmcnt(0)
	v_wmma_f32_16x16x16_f16 v[56:63], v[48:55], v[16:23], v[56:63]
	;; [unrolled: 4-line block ×10, first 2 shown]
	ds_load_b128 v[48:51], v133 offset:7008
	ds_load_b128 v[52:55], v133 offset:7024
	s_waitcnt lgkmcnt(0)
	s_barrier
	buffer_gl0_inv
	v_wmma_f32_16x16x16_f16 v[92:99], v[48:55], v[32:39], v[92:99]
	ds_load_u16 v48, v172 offset:9216
	ds_load_u16 v49, v172 offset:9220
	;; [unrolled: 1-line block ×16, first 2 shown]
	s_waitcnt lgkmcnt(15)
	v_cvt_f32_f16_e32 v48, v48
	s_waitcnt lgkmcnt(7)
	v_cvt_f32_f16_e32 v100, v100
	;; [unrolled: 2-line block ×6, first 2 shown]
	v_cvt_f32_f16_e32 v54, v54
	s_waitcnt lgkmcnt(2)
	v_cvt_f32_f16_e32 v105, v105
	s_waitcnt lgkmcnt(1)
	;; [unrolled: 2-line block ×3, first 2 shown]
	v_cvt_f32_f16_e32 v107, v107
	v_dual_add_f32 v192, v125, v100 :: v_dual_add_f32 v193, v126, v101
	v_dual_add_f32 v54, v122, v54 :: v_dual_add_f32 v189, v129, v104
	;; [unrolled: 1-line block ×4, first 2 shown]
	v_add_f32_e32 v186, v132, v107
	ds_load_u16 v100, v172 offset:9280
	ds_load_u16 v101, v172 offset:9284
	;; [unrolled: 1-line block ×8, first 2 shown]
	v_cvt_f32_f16_e32 v51, v51
	v_add_f32_e32 v48, v116, v48
	v_cvt_f32_f16_e32 v50, v50
	v_cvt_f32_f16_e32 v53, v53
	;; [unrolled: 1-line block ×3, first 2 shown]
	v_add_f32_e32 v51, v119, v51
	v_cvt_f32_f16_e32 v52, v52
	s_delay_alu instid0(VALU_DEP_4) | instskip(SKIP_1) | instid1(VALU_DEP_3)
	v_dual_add_f32 v50, v118, v50 :: v_dual_add_f32 v53, v121, v53
	v_cvt_f32_f16_e32 v55, v55
	v_dual_add_f32 v49, v117, v49 :: v_dual_add_f32 v52, v120, v52
	s_waitcnt lgkmcnt(7)
	v_cvt_f32_f16_e32 v100, v100
	s_waitcnt lgkmcnt(6)
	v_cvt_f32_f16_e32 v101, v101
	v_add_f32_e32 v55, v123, v55
	s_waitcnt lgkmcnt(5)
	v_cvt_f32_f16_e32 v102, v102
	s_waitcnt lgkmcnt(4)
	v_cvt_f32_f16_e32 v103, v103
	;; [unrolled: 2-line block ×6, first 2 shown]
	v_dual_add_f32 v184, v56, v100 :: v_dual_add_f32 v135, v59, v103
	v_dual_add_f32 v185, v57, v101 :: v_dual_add_f32 v138, v58, v102
	;; [unrolled: 1-line block ×3, first 2 shown]
	v_add_f32_e32 v136, v62, v106
	v_add_f32_e32 v134, v63, v107
	ds_load_u16 v56, v172 offset:9312
	ds_load_u16 v57, v172 offset:9316
	;; [unrolled: 1-line block ×8, first 2 shown]
	s_waitcnt lgkmcnt(7)
	v_cvt_f32_f16_e32 v56, v56
	s_waitcnt lgkmcnt(6)
	v_cvt_f32_f16_e32 v57, v57
	;; [unrolled: 2-line block ×5, first 2 shown]
	v_add_f32_e32 v131, v92, v56
	v_add_f32_e32 v133, v93, v57
	v_lshlrev_b64 v[56:57], 2, v[72:73]
	v_dual_add_f32 v130, v94, v58 :: v_dual_add_f32 v129, v95, v59
	v_lshlrev_b64 v[58:59], 2, v[66:67]
	s_waitcnt lgkmcnt(2)
	v_cvt_f32_f16_e32 v61, v61
	v_add_f32_e32 v128, v96, v60
	v_add_co_u32 v56, vcc_lo, s0, v56
	v_add_co_ci_u32_e32 v57, vcc_lo, s1, v57, vcc_lo
	v_add_co_u32 v58, vcc_lo, s0, v58
	v_add_co_ci_u32_e32 v59, vcc_lo, s1, v59, vcc_lo
	s_delay_alu instid0(VALU_DEP_4) | instskip(NEXT) | instid1(VALU_DEP_4)
	v_add_co_u32 v56, vcc_lo, v56, v183
	v_add_co_ci_u32_e32 v57, vcc_lo, 0, v57, vcc_lo
	s_delay_alu instid0(VALU_DEP_4)
	v_add_co_u32 v60, vcc_lo, v58, v183
	s_waitcnt lgkmcnt(1)
	v_cvt_f32_f16_e32 v62, v62
	s_waitcnt lgkmcnt(0)
	v_cvt_f32_f16_e32 v63, v63
	v_add_f32_e32 v126, v97, v61
	v_add_co_ci_u32_e32 v61, vcc_lo, 0, v59, vcc_lo
	s_delay_alu instid0(VALU_DEP_3)
	v_dual_add_f32 v125, v98, v62 :: v_dual_add_f32 v142, v99, v63
	s_clause 0x1
	global_load_b128 v[56:59], v[56:57], off
	global_load_b128 v[60:63], v[60:61], off
	s_waitcnt vmcnt(1)
	ds_store_b128 v168, v[56:59]
	s_waitcnt vmcnt(0)
	ds_store_b128 v169, v[60:63]
	v_lshlrev_b64 v[56:57], 2, v[68:69]
	s_delay_alu instid0(VALU_DEP_1) | instskip(NEXT) | instid1(VALU_DEP_2)
	v_add_co_u32 v58, vcc_lo, s0, v56
	v_add_co_ci_u32_e32 v59, vcc_lo, s1, v57, vcc_lo
	v_lshlrev_b64 v[56:57], 2, v[70:71]
	s_delay_alu instid0(VALU_DEP_1) | instskip(NEXT) | instid1(VALU_DEP_2)
	v_add_co_u32 v60, vcc_lo, s0, v56
	v_add_co_ci_u32_e32 v61, vcc_lo, s1, v57, vcc_lo
	v_add_co_u32 v56, vcc_lo, v58, v183
	v_add_co_ci_u32_e32 v57, vcc_lo, 0, v59, vcc_lo
	s_delay_alu instid0(VALU_DEP_4) | instskip(NEXT) | instid1(VALU_DEP_4)
	v_add_co_u32 v60, vcc_lo, v60, v183
	v_add_co_ci_u32_e32 v61, vcc_lo, 0, v61, vcc_lo
	s_clause 0x1
	global_load_b128 v[56:59], v[56:57], off
	global_load_b128 v[60:63], v[60:61], off
	s_waitcnt vmcnt(1)
	ds_store_b128 v170, v[56:59]
	s_waitcnt vmcnt(0)
	ds_store_b128 v171, v[60:63]
	v_dual_mov_b32 v56, v150 :: v_dual_add_f32 v57, 0x40051340, v48
	v_dual_add_f32 v58, 0x40051340, v49 :: v_dual_add_f32 v59, 0x40051340, v51
	v_cmp_eq_u32_e64 s1, 1, v145
	v_add_nc_u32_e32 v62, 0x400, v174
	s_waitcnt lgkmcnt(0)
	s_delay_alu instid0(VALU_DEP_3)
	v_max3_f32 v57, v56, v57, v58
	v_add_f32_e32 v58, 0x40051340, v50
	s_barrier
	buffer_gl0_inv
	ds_load_2addr_b32 v[94:95], v174 offset1:16
	ds_load_2addr_b32 v[96:97], v174 offset0:36 offset1:52
	ds_load_2addr_b32 v[98:99], v174 offset0:72 offset1:88
	ds_load_2addr_b32 v[100:101], v174 offset0:108 offset1:124
	ds_load_2addr_b32 v[102:103], v174 offset0:196 offset1:216
	ds_load_2addr_b32 v[104:105], v174 offset0:232 offset1:252
	v_max3_f32 v57, v57, v58, v59
	v_dual_add_f32 v58, 0x40051340, v52 :: v_dual_add_f32 v59, 0x40051340, v53
	ds_load_2addr_b32 v[108:109], v62 offset0:12 offset1:32
	ds_load_2addr_b32 v[106:107], v62 offset0:68 offset1:84
	;; [unrolled: 1-line block ×7, first 2 shown]
	v_max3_f32 v57, v57, v58, v59
	v_dual_add_f32 v58, 0x40051340, v54 :: v_dual_add_f32 v59, 0x40051340, v55
	ds_load_2addr_b32 v[120:121], v62 offset0:176 offset1:212
	v_max3_f32 v57, v57, v58, v59
	v_dual_add_f32 v58, 0x40051340, v192 :: v_dual_add_f32 v59, 0x40051340, v193
	s_delay_alu instid0(VALU_DEP_1) | instskip(SKIP_3) | instid1(VALU_DEP_2)
	v_max3_f32 v57, v57, v58, v59
	v_dual_add_f32 v58, 0x40051340, v191 :: v_dual_add_f32 v59, 0x40051340, v190
	s_waitcnt lgkmcnt(2)
	v_perm_b32 v63, v117, v115, 0x5040100
	v_max3_f32 v57, v57, v58, v59
	v_dual_add_f32 v58, 0x40051340, v189 :: v_dual_add_f32 v59, 0x40051340, v188
	s_waitcnt lgkmcnt(0)
	v_perm_b32 v62, v121, v120, 0x5040100
	s_delay_alu instid0(VALU_DEP_2) | instskip(SKIP_1) | instid1(VALU_DEP_1)
	v_max3_f32 v57, v57, v58, v59
	v_dual_add_f32 v58, 0x40051340, v187 :: v_dual_add_f32 v59, 0x40051340, v186
	v_max3_f32 v57, v57, v58, v59
	v_dual_add_f32 v58, 0x40051340, v184 :: v_dual_add_f32 v59, 0x40051340, v185
	s_delay_alu instid0(VALU_DEP_1) | instskip(SKIP_1) | instid1(VALU_DEP_1)
	v_max3_f32 v57, v57, v58, v59
	v_dual_add_f32 v58, 0x40051340, v138 :: v_dual_add_f32 v59, 0x40051340, v135
	v_max3_f32 v57, v57, v58, v59
	v_dual_add_f32 v58, 0x40051340, v132 :: v_dual_add_f32 v59, 0x40051340, v127
	s_delay_alu instid0(VALU_DEP_1) | instskip(SKIP_1) | instid1(VALU_DEP_1)
	;; [unrolled: 5-line block ×4, first 2 shown]
	v_max3_f32 v57, v57, v58, v59
	v_dual_add_f32 v58, 0x40051340, v125 :: v_dual_add_f32 v59, 0x40051340, v142
	v_max3_f32 v57, v57, v58, v59
	ds_bpermute_b32 v58, v173, v57
	s_waitcnt lgkmcnt(0)
	v_max_f32_e32 v58, v58, v58
	s_delay_alu instid0(VALU_DEP_1) | instskip(NEXT) | instid1(VALU_DEP_1)
	v_max_f32_e32 v150, v57, v58
	v_sub_f32_e32 v49, v49, v150
	s_delay_alu instid0(VALU_DEP_1) | instskip(SKIP_1) | instid1(VALU_DEP_2)
	v_mul_f32_e32 v57, 0x3fb8aa3b, v49
	v_cmp_ngt_f32_e32 vcc_lo, 0xc2ce8ed0, v49
	v_fma_f32 v58, 0x3fb8aa3b, v49, -v57
	v_rndne_f32_e32 v59, v57
	s_delay_alu instid0(VALU_DEP_1) | instskip(SKIP_1) | instid1(VALU_DEP_2)
	v_dual_fmac_f32 v58, 0x32a5705f, v49 :: v_dual_sub_f32 v57, v57, v59
	v_cvt_i32_f32_e32 v59, v59
	v_add_f32_e32 v57, v57, v58
	s_delay_alu instid0(VALU_DEP_1) | instskip(SKIP_2) | instid1(VALU_DEP_1)
	v_exp_f32_e32 v57, v57
	s_waitcnt_depctr 0xfff
	v_ldexp_f32 v57, v57, v59
	v_cndmask_b32_e32 v57, 0, v57, vcc_lo
	v_cmp_nlt_f32_e32 vcc_lo, 0x42b17218, v49
	s_delay_alu instid0(VALU_DEP_2)
	v_cndmask_b32_e32 v195, 0x7f800000, v57, vcc_lo
	v_cmp_eq_u32_e32 vcc_lo, 1, v65
	v_sub_f32_e32 v56, v56, v150
	v_sub_f32_e32 v50, v50, v150
	;; [unrolled: 1-line block ×3, first 2 shown]
	ds_bpermute_b32 v57, v173, v195
	v_sub_f32_e32 v48, v48, v150
	v_sub_f32_e32 v53, v53, v150
	v_cmp_ngt_f32_e64 s3, 0xc2ce8ed0, v50
	v_sub_f32_e32 v55, v55, v150
	v_sub_f32_e32 v52, v52, v150
	v_mul_f32_e32 v58, 0x3fb8aa3b, v48
	v_cmp_ngt_f32_e64 s0, 0xc2ce8ed0, v48
	v_sub_f32_e32 v54, v54, v150
	s_delay_alu instid0(VALU_DEP_3) | instskip(SKIP_1) | instid1(VALU_DEP_2)
	v_fma_f32 v60, 0x3fb8aa3b, v48, -v58
	v_rndne_f32_e32 v61, v58
	v_fmac_f32_e32 v60, 0x32a5705f, v48
	s_delay_alu instid0(VALU_DEP_2) | instskip(SKIP_1) | instid1(VALU_DEP_2)
	v_sub_f32_e32 v58, v58, v61
	v_cvt_i32_f32_e32 v59, v61
	v_add_f32_e32 v58, v58, v60
	s_delay_alu instid0(VALU_DEP_1) | instskip(SKIP_2) | instid1(VALU_DEP_1)
	v_exp_f32_e32 v58, v58
	s_waitcnt_depctr 0xfff
	v_ldexp_f32 v58, v58, v59
	v_cndmask_b32_e64 v49, 0, v58, s0
	v_cmp_nlt_f32_e64 s0, 0x42b17218, v48
	s_delay_alu instid0(VALU_DEP_1)
	v_cndmask_b32_e64 v194, 0x7f800000, v49, s0
	v_cmp_eq_u32_e64 s0, 0, v65
	ds_bpermute_b32 v48, v173, v194
	s_waitcnt lgkmcnt(0)
	v_cndmask_b32_e32 v49, v194, v48, vcc_lo
	v_cndmask_b32_e64 v48, v194, v48, s0
	s_delay_alu instid0(VALU_DEP_2) | instskip(NEXT) | instid1(VALU_DEP_2)
	v_cndmask_b32_e64 v59, v49, v195, s1
	v_cndmask_b32_e64 v58, v48, v195, s2
	v_cvt_f16_f32_e32 v48, v48
	v_cvt_f16_f32_e32 v49, v49
	s_delay_alu instid0(VALU_DEP_3) | instskip(SKIP_1) | instid1(VALU_DEP_3)
	v_cndmask_b32_e64 v58, v58, v57, s0
	v_cndmask_b32_e32 v57, v59, v57, vcc_lo
	v_pack_b32_f16 v48, v48, v49
	s_delay_alu instid0(VALU_DEP_3) | instskip(NEXT) | instid1(VALU_DEP_3)
	v_cvt_f16_f32_e32 v59, v58
	v_cvt_f16_f32_e32 v60, v57
	s_delay_alu instid0(VALU_DEP_1) | instskip(SKIP_1) | instid1(VALU_DEP_1)
	v_pack_b32_f16 v49, v59, v60
	v_mul_f32_e32 v59, 0x3fb8aa3b, v50
	v_fma_f32 v60, 0x3fb8aa3b, v50, -v59
	v_rndne_f32_e32 v61, v59
	s_delay_alu instid0(VALU_DEP_1) | instskip(NEXT) | instid1(VALU_DEP_1)
	v_dual_fmac_f32 v60, 0x32a5705f, v50 :: v_dual_sub_f32 v59, v59, v61
	v_add_f32_e32 v59, v59, v60
	v_cvt_i32_f32_e32 v60, v61
	s_delay_alu instid0(VALU_DEP_2) | instskip(SKIP_2) | instid1(VALU_DEP_1)
	v_exp_f32_e32 v59, v59
	s_waitcnt_depctr 0xfff
	v_ldexp_f32 v59, v59, v60
	v_cndmask_b32_e64 v59, 0, v59, s3
	v_cmp_nlt_f32_e64 s3, 0x42b17218, v50
	s_delay_alu instid0(VALU_DEP_1) | instskip(SKIP_1) | instid1(VALU_DEP_2)
	v_cndmask_b32_e64 v196, 0x7f800000, v59, s3
	v_cmp_ngt_f32_e64 s3, 0xc2ce8ed0, v51
	v_cndmask_b32_e64 v50, v58, v196, s2
	ds_bpermute_b32 v58, v173, v196
	v_cndmask_b32_e64 v57, v57, v196, s1
	s_waitcnt lgkmcnt(0)
	v_cndmask_b32_e64 v59, v50, v58, s0
	s_delay_alu instid0(VALU_DEP_2) | instskip(NEXT) | instid1(VALU_DEP_2)
	v_cndmask_b32_e32 v57, v57, v58, vcc_lo
	v_cvt_f16_f32_e32 v50, v59
	s_delay_alu instid0(VALU_DEP_2) | instskip(NEXT) | instid1(VALU_DEP_1)
	v_cvt_f16_f32_e32 v58, v57
	v_pack_b32_f16 v50, v50, v58
	v_mul_f32_e32 v58, 0x3fb8aa3b, v51
	s_delay_alu instid0(VALU_DEP_1) | instskip(SKIP_1) | instid1(VALU_DEP_2)
	v_fma_f32 v60, 0x3fb8aa3b, v51, -v58
	v_rndne_f32_e32 v61, v58
	v_fmac_f32_e32 v60, 0x32a5705f, v51
	s_delay_alu instid0(VALU_DEP_2) | instskip(NEXT) | instid1(VALU_DEP_1)
	v_sub_f32_e32 v58, v58, v61
	v_add_f32_e32 v58, v58, v60
	v_cvt_i32_f32_e32 v60, v61
	s_delay_alu instid0(VALU_DEP_2) | instskip(SKIP_2) | instid1(VALU_DEP_1)
	v_exp_f32_e32 v58, v58
	s_waitcnt_depctr 0xfff
	v_ldexp_f32 v58, v58, v60
	v_cndmask_b32_e64 v58, 0, v58, s3
	v_cmp_nlt_f32_e64 s3, 0x42b17218, v51
	s_delay_alu instid0(VALU_DEP_1)
	v_cndmask_b32_e64 v197, 0x7f800000, v58, s3
	v_cmp_ngt_f32_e64 s3, 0xc2ce8ed0, v52
	ds_bpermute_b32 v58, v173, v197
	v_cndmask_b32_e64 v51, v59, v197, s2
	v_cndmask_b32_e64 v57, v57, v197, s1
	s_waitcnt lgkmcnt(0)
	s_delay_alu instid0(VALU_DEP_2) | instskip(NEXT) | instid1(VALU_DEP_2)
	v_cndmask_b32_e64 v59, v51, v58, s0
	v_cndmask_b32_e32 v57, v57, v58, vcc_lo
	s_delay_alu instid0(VALU_DEP_2) | instskip(NEXT) | instid1(VALU_DEP_2)
	v_cvt_f16_f32_e32 v51, v59
	v_cvt_f16_f32_e32 v58, v57
	s_delay_alu instid0(VALU_DEP_1) | instskip(SKIP_1) | instid1(VALU_DEP_1)
	v_pack_b32_f16 v51, v51, v58
	v_mul_f32_e32 v58, 0x3fb8aa3b, v52
	v_fma_f32 v60, 0x3fb8aa3b, v52, -v58
	v_rndne_f32_e32 v61, v58
	s_delay_alu instid0(VALU_DEP_2) | instskip(NEXT) | instid1(VALU_DEP_2)
	v_fmac_f32_e32 v60, 0x32a5705f, v52
	v_sub_f32_e32 v58, v58, v61
	s_delay_alu instid0(VALU_DEP_1) | instskip(SKIP_1) | instid1(VALU_DEP_2)
	v_add_f32_e32 v58, v58, v60
	v_cvt_i32_f32_e32 v60, v61
	v_exp_f32_e32 v58, v58
	s_waitcnt_depctr 0xfff
	v_ldexp_f32 v58, v58, v60
	s_delay_alu instid0(VALU_DEP_1) | instskip(SKIP_1) | instid1(VALU_DEP_1)
	v_cndmask_b32_e64 v58, 0, v58, s3
	v_cmp_nlt_f32_e64 s3, 0x42b17218, v52
	v_cndmask_b32_e64 v198, 0x7f800000, v58, s3
	v_cmp_ngt_f32_e64 s3, 0xc2ce8ed0, v53
	ds_bpermute_b32 v58, v173, v198
	v_cndmask_b32_e64 v52, v59, v198, s2
	v_cndmask_b32_e64 v57, v57, v198, s1
	s_waitcnt lgkmcnt(0)
	s_delay_alu instid0(VALU_DEP_2) | instskip(NEXT) | instid1(VALU_DEP_2)
	v_cndmask_b32_e64 v59, v52, v58, s0
	v_cndmask_b32_e32 v57, v57, v58, vcc_lo
	s_delay_alu instid0(VALU_DEP_2) | instskip(NEXT) | instid1(VALU_DEP_2)
	v_cvt_f16_f32_e32 v52, v59
	v_cvt_f16_f32_e32 v58, v57
	s_delay_alu instid0(VALU_DEP_1) | instskip(SKIP_1) | instid1(VALU_DEP_1)
	v_pack_b32_f16 v52, v52, v58
	v_mul_f32_e32 v58, 0x3fb8aa3b, v53
	v_fma_f32 v60, 0x3fb8aa3b, v53, -v58
	v_rndne_f32_e32 v61, v58
	s_delay_alu instid0(VALU_DEP_2) | instskip(NEXT) | instid1(VALU_DEP_2)
	v_fmac_f32_e32 v60, 0x32a5705f, v53
	v_sub_f32_e32 v58, v58, v61
	s_delay_alu instid0(VALU_DEP_1) | instskip(SKIP_1) | instid1(VALU_DEP_2)
	v_add_f32_e32 v58, v58, v60
	v_cvt_i32_f32_e32 v60, v61
	v_exp_f32_e32 v58, v58
	s_waitcnt_depctr 0xfff
	v_ldexp_f32 v58, v58, v60
	s_delay_alu instid0(VALU_DEP_1) | instskip(SKIP_1) | instid1(VALU_DEP_1)
	v_cndmask_b32_e64 v58, 0, v58, s3
	v_cmp_nlt_f32_e64 s3, 0x42b17218, v53
	;; [unrolled: 29-line block ×3, first 2 shown]
	v_cndmask_b32_e64 v200, 0x7f800000, v58, s3
	v_cmp_ngt_f32_e64 s3, 0xc2ce8ed0, v55
	ds_bpermute_b32 v58, v173, v200
	v_cndmask_b32_e64 v54, v59, v200, s2
	v_cndmask_b32_e64 v57, v57, v200, s1
	s_waitcnt lgkmcnt(0)
	s_delay_alu instid0(VALU_DEP_2) | instskip(NEXT) | instid1(VALU_DEP_2)
	v_cndmask_b32_e64 v59, v54, v58, s0
	v_cndmask_b32_e32 v57, v57, v58, vcc_lo
	s_delay_alu instid0(VALU_DEP_2) | instskip(NEXT) | instid1(VALU_DEP_2)
	v_cvt_f16_f32_e32 v54, v59
	v_cvt_f16_f32_e32 v58, v57
	s_delay_alu instid0(VALU_DEP_1) | instskip(SKIP_1) | instid1(VALU_DEP_1)
	v_pack_b32_f16 v54, v54, v58
	v_mul_f32_e32 v58, 0x3fb8aa3b, v55
	v_fma_f32 v60, 0x3fb8aa3b, v55, -v58
	v_rndne_f32_e32 v61, v58
	s_delay_alu instid0(VALU_DEP_2) | instskip(NEXT) | instid1(VALU_DEP_2)
	v_fmac_f32_e32 v60, 0x32a5705f, v55
	v_sub_f32_e32 v58, v58, v61
	s_delay_alu instid0(VALU_DEP_1) | instskip(SKIP_2) | instid1(VALU_DEP_3)
	v_add_f32_e32 v58, v58, v60
	v_cvt_i32_f32_e32 v60, v61
	v_perm_b32 v61, v112, v110, 0x5040100
	v_exp_f32_e32 v58, v58
	s_waitcnt_depctr 0xfff
	v_ldexp_f32 v58, v58, v60
	v_perm_b32 v60, v106, v109, 0x5040100
	s_delay_alu instid0(VALU_DEP_2) | instskip(SKIP_1) | instid1(VALU_DEP_1)
	v_cndmask_b32_e64 v58, 0, v58, s3
	v_cmp_nlt_f32_e64 s3, 0x42b17218, v55
	v_cndmask_b32_e64 v201, 0x7f800000, v58, s3
	v_cmp_ngt_f32_e64 s3, 0xc2ce8ed0, v56
	ds_bpermute_b32 v58, v173, v201
	v_cndmask_b32_e64 v55, v59, v201, s2
	v_cndmask_b32_e64 v57, v57, v201, s1
	s_waitcnt lgkmcnt(0)
	s_delay_alu instid0(VALU_DEP_2) | instskip(NEXT) | instid1(VALU_DEP_2)
	v_cndmask_b32_e64 v55, v55, v58, s0
	v_cndmask_b32_e32 v57, v57, v58, vcc_lo
	s_delay_alu instid0(VALU_DEP_2) | instskip(NEXT) | instid1(VALU_DEP_2)
	v_cvt_f16_f32_e32 v55, v55
	v_cvt_f16_f32_e32 v57, v57
	s_delay_alu instid0(VALU_DEP_1) | instskip(SKIP_1) | instid1(VALU_DEP_1)
	v_pack_b32_f16 v55, v55, v57
	v_mul_f32_e32 v57, 0x3fb8aa3b, v56
	v_fma_f32 v58, 0x3fb8aa3b, v56, -v57
	v_rndne_f32_e32 v59, v57
	s_delay_alu instid0(VALU_DEP_1) | instskip(NEXT) | instid1(VALU_DEP_1)
	v_dual_fmac_f32 v58, 0x32a5705f, v56 :: v_dual_sub_f32 v57, v57, v59
	v_add_f32_e32 v57, v57, v58
	v_cvt_i32_f32_e32 v58, v59
	v_perm_b32 v59, v105, v103, 0x5040100
	s_delay_alu instid0(VALU_DEP_3) | instskip(SKIP_3) | instid1(VALU_DEP_2)
	v_exp_f32_e32 v57, v57
	s_waitcnt_depctr 0xfff
	v_ldexp_f32 v57, v57, v58
	v_perm_b32 v58, v119, v118, 0x5040100
	v_cndmask_b32_e64 v57, 0, v57, s3
	v_cmp_nlt_f32_e64 s3, 0x42b17218, v56
	s_delay_alu instid0(VALU_DEP_1) | instskip(SKIP_2) | instid1(VALU_DEP_2)
	v_cndmask_b32_e64 v57, 0x7f800000, v57, s3
	v_cmp_le_f32_e64 s3, 0xc1a00000, v56
	v_perm_b32 v56, v96, v94, 0x5040100
	v_cndmask_b32_e64 v202, 0, v57, s3
	v_perm_b32 v57, v100, v98, 0x5040100
	s_delay_alu instid0(VALU_DEP_2) | instskip(NEXT) | instid1(VALU_DEP_1)
	v_cvt_f16_f32_e64 v92, v202
	v_pk_mul_f16 v8, v92, v8 op_sel_hi:[0,1]
	v_pk_mul_f16 v9, v92, v9 op_sel_hi:[0,1]
	;; [unrolled: 1-line block ×12, first 2 shown]
	v_wmma_f16_16x16x16_f16 v[8:15], v[56:63], v[48:55], v[8:15]
	v_add_nc_u32_e32 v58, 0x200, v178
	v_pk_mul_f16 v4, v92, v4 op_sel_hi:[0,1]
	v_pk_mul_f16 v5, v92, v5 op_sel_hi:[0,1]
	;; [unrolled: 1-line block ×4, first 2 shown]
	ds_load_2addr_b32 v[122:123], v58 offset0:16 offset1:160
	ds_load_2addr_b32 v[92:93], v203 offset0:44 offset1:64
	ds_load_b32 v204, v178 offset:1728
	ds_load_b32 v205, v179 offset:1728
	ds_load_b32 v206, v180 offset:1728
	ds_load_b32 v207, v181 offset:1728
	ds_load_b32 v208, v177 offset:1728
	v_perm_b32 v56, v97, v95, 0x5040100
	v_perm_b32 v57, v101, v99, 0x5040100
	v_perm_b32 v59, v108, v104, 0x5040100
	v_perm_b32 v61, v113, v111, 0x5040100
	s_waitcnt lgkmcnt(4)
	v_perm_b32 v62, v114, v204, 0x5040100
	v_perm_b32 v58, v102, v122, 0x5040100
	;; [unrolled: 1-line block ×4, first 2 shown]
	s_delay_alu instid0(VALU_DEP_1)
	v_wmma_f16_16x16x16_f16 v[0:7], v[56:63], v[48:55], v[0:7]
	v_perm_b32 v58, v119, v118, 0x7060302
	v_perm_b32 v62, v121, v120, 0x7060302
	;; [unrolled: 1-line block ×8, first 2 shown]
	s_delay_alu instid0(VALU_DEP_1)
	v_wmma_f16_16x16x16_f16 v[8:15], v[56:63], v[48:55], v[8:15] op_sel:[0,0,1]
	v_perm_b32 v56, v97, v95, 0x7060302
	v_perm_b32 v57, v101, v99, 0x7060302
	;; [unrolled: 1-line block ×8, first 2 shown]
	ds_load_2addr_b32 v[102:103], v203 offset0:80 offset1:100
	ds_load_2addr_b32 v[104:105], v203 offset0:116 offset1:136
	ds_load_2addr_b32 v[106:107], v203 offset0:152 offset1:172
	v_wmma_f16_16x16x16_f16 v[0:7], v[56:63], v[48:55], v[0:7] op_sel:[0,0,1]
	v_sub_f32_e32 v48, v193, v150
	s_delay_alu instid0(VALU_DEP_1) | instskip(SKIP_1) | instid1(VALU_DEP_2)
	v_mul_f32_e32 v49, 0x3fb8aa3b, v48
	v_cmp_ngt_f32_e64 s3, 0xc2ce8ed0, v48
	v_fma_f32 v50, 0x3fb8aa3b, v48, -v49
	v_rndne_f32_e32 v51, v49
	s_delay_alu instid0(VALU_DEP_1) | instskip(SKIP_1) | instid1(VALU_DEP_2)
	v_dual_fmac_f32 v50, 0x32a5705f, v48 :: v_dual_sub_f32 v49, v49, v51
	v_cvt_i32_f32_e32 v51, v51
	v_add_f32_e32 v49, v49, v50
	v_sub_f32_e32 v50, v192, v150
	s_delay_alu instid0(VALU_DEP_2) | instskip(NEXT) | instid1(VALU_DEP_1)
	v_exp_f32_e32 v49, v49
	v_mul_f32_e32 v52, 0x3fb8aa3b, v50
	v_cmp_ngt_f32_e64 s4, 0xc2ce8ed0, v50
	s_delay_alu instid0(VALU_DEP_2)
	v_fma_f32 v53, 0x3fb8aa3b, v50, -v52
	v_rndne_f32_e32 v54, v52
	s_waitcnt_depctr 0xfff
	v_ldexp_f32 v49, v49, v51
	v_fmac_f32_e32 v53, 0x32a5705f, v50
	v_sub_f32_e32 v52, v52, v54
	v_cvt_i32_f32_e32 v51, v54
	s_delay_alu instid0(VALU_DEP_4) | instskip(SKIP_1) | instid1(VALU_DEP_4)
	v_cndmask_b32_e64 v49, 0, v49, s3
	v_cmp_nlt_f32_e64 s3, 0x42b17218, v48
	v_add_f32_e32 v52, v52, v53
	s_delay_alu instid0(VALU_DEP_2) | instskip(NEXT) | instid1(VALU_DEP_2)
	v_cndmask_b32_e64 v49, 0x7f800000, v49, s3
	v_exp_f32_e32 v52, v52
	s_waitcnt_depctr 0xfff
	v_ldexp_f32 v51, v52, v51
	ds_bpermute_b32 v52, v173, v49
	v_cndmask_b32_e64 v48, 0, v51, s4
	v_cmp_nlt_f32_e64 s4, 0x42b17218, v50
	s_delay_alu instid0(VALU_DEP_1) | instskip(SKIP_4) | instid1(VALU_DEP_2)
	v_cndmask_b32_e64 v48, 0x7f800000, v48, s4
	ds_bpermute_b32 v50, v173, v48
	s_waitcnt lgkmcnt(0)
	v_cndmask_b32_e32 v51, v48, v50, vcc_lo
	v_cndmask_b32_e64 v50, v48, v50, s0
	v_cndmask_b32_e64 v54, v51, v49, s1
	s_delay_alu instid0(VALU_DEP_2) | instskip(SKIP_2) | instid1(VALU_DEP_3)
	v_cndmask_b32_e64 v53, v50, v49, s2
	v_cvt_f16_f32_e32 v50, v50
	v_cvt_f16_f32_e32 v51, v51
	v_cndmask_b32_e64 v53, v53, v52, s0
	v_cndmask_b32_e32 v52, v54, v52, vcc_lo
	s_delay_alu instid0(VALU_DEP_3) | instskip(SKIP_1) | instid1(VALU_DEP_4)
	v_pack_b32_f16 v56, v50, v51
	v_sub_f32_e32 v50, v191, v150
	v_cvt_f16_f32_e32 v54, v53
	s_delay_alu instid0(VALU_DEP_4) | instskip(NEXT) | instid1(VALU_DEP_3)
	v_cvt_f16_f32_e32 v55, v52
	v_mul_f32_e32 v51, 0x3fb8aa3b, v50
	v_cmp_ngt_f32_e64 s3, 0xc2ce8ed0, v50
	s_delay_alu instid0(VALU_DEP_3) | instskip(NEXT) | instid1(VALU_DEP_3)
	v_pack_b32_f16 v57, v54, v55
	v_fma_f32 v54, 0x3fb8aa3b, v50, -v51
	v_rndne_f32_e32 v55, v51
	s_delay_alu instid0(VALU_DEP_1) | instskip(NEXT) | instid1(VALU_DEP_1)
	v_dual_fmac_f32 v54, 0x32a5705f, v50 :: v_dual_sub_f32 v51, v51, v55
	v_add_f32_e32 v51, v51, v54
	v_cvt_i32_f32_e32 v54, v55
	s_delay_alu instid0(VALU_DEP_2) | instskip(SKIP_2) | instid1(VALU_DEP_1)
	v_exp_f32_e32 v51, v51
	s_waitcnt_depctr 0xfff
	v_ldexp_f32 v51, v51, v54
	v_cndmask_b32_e64 v51, 0, v51, s3
	v_cmp_nlt_f32_e64 s3, 0x42b17218, v50
	s_delay_alu instid0(VALU_DEP_1) | instskip(NEXT) | instid1(VALU_DEP_1)
	v_cndmask_b32_e64 v50, 0x7f800000, v51, s3
	v_cndmask_b32_e64 v51, v53, v50, s2
	ds_bpermute_b32 v53, v173, v50
	v_cndmask_b32_e64 v52, v52, v50, s1
	s_waitcnt lgkmcnt(0)
	v_cndmask_b32_e64 v54, v51, v53, s0
	s_delay_alu instid0(VALU_DEP_2) | instskip(NEXT) | instid1(VALU_DEP_2)
	v_cndmask_b32_e32 v52, v52, v53, vcc_lo
	v_cvt_f16_f32_e32 v51, v54
	s_delay_alu instid0(VALU_DEP_2) | instskip(NEXT) | instid1(VALU_DEP_1)
	v_cvt_f16_f32_e32 v53, v52
	v_pack_b32_f16 v58, v51, v53
	v_sub_f32_e32 v51, v190, v150
	s_delay_alu instid0(VALU_DEP_1) | instskip(SKIP_1) | instid1(VALU_DEP_2)
	v_mul_f32_e32 v53, 0x3fb8aa3b, v51
	v_cmp_ngt_f32_e64 s3, 0xc2ce8ed0, v51
	v_fma_f32 v55, 0x3fb8aa3b, v51, -v53
	v_rndne_f32_e32 v59, v53
	s_delay_alu instid0(VALU_DEP_2) | instskip(NEXT) | instid1(VALU_DEP_2)
	v_fmac_f32_e32 v55, 0x32a5705f, v51
	v_sub_f32_e32 v53, v53, v59
	s_delay_alu instid0(VALU_DEP_1) | instskip(SKIP_1) | instid1(VALU_DEP_2)
	v_add_f32_e32 v53, v53, v55
	v_cvt_i32_f32_e32 v55, v59
	v_exp_f32_e32 v53, v53
	s_waitcnt_depctr 0xfff
	v_ldexp_f32 v53, v53, v55
	s_delay_alu instid0(VALU_DEP_1) | instskip(SKIP_1) | instid1(VALU_DEP_1)
	v_cndmask_b32_e64 v53, 0, v53, s3
	v_cmp_nlt_f32_e64 s3, 0x42b17218, v51
	v_cndmask_b32_e64 v51, 0x7f800000, v53, s3
	s_delay_alu instid0(VALU_DEP_1) | instskip(SKIP_4) | instid1(VALU_DEP_2)
	v_cndmask_b32_e64 v53, v54, v51, s2
	ds_bpermute_b32 v54, v173, v51
	v_cndmask_b32_e64 v52, v52, v51, s1
	s_waitcnt lgkmcnt(0)
	v_cndmask_b32_e64 v53, v53, v54, s0
	v_cndmask_b32_e32 v54, v52, v54, vcc_lo
	s_delay_alu instid0(VALU_DEP_2) | instskip(NEXT) | instid1(VALU_DEP_2)
	v_cvt_f16_f32_e32 v52, v53
	v_cvt_f16_f32_e32 v55, v54
	s_delay_alu instid0(VALU_DEP_1) | instskip(SKIP_1) | instid1(VALU_DEP_1)
	v_pack_b32_f16 v59, v52, v55
	v_sub_f32_e32 v52, v189, v150
	v_mul_f32_e32 v55, 0x3fb8aa3b, v52
	v_cmp_ngt_f32_e64 s3, 0xc2ce8ed0, v52
	s_delay_alu instid0(VALU_DEP_2) | instskip(SKIP_1) | instid1(VALU_DEP_1)
	v_fma_f32 v60, 0x3fb8aa3b, v52, -v55
	v_rndne_f32_e32 v61, v55
	v_dual_fmac_f32 v60, 0x32a5705f, v52 :: v_dual_sub_f32 v55, v55, v61
	s_delay_alu instid0(VALU_DEP_1) | instskip(SKIP_1) | instid1(VALU_DEP_2)
	v_add_f32_e32 v55, v55, v60
	v_cvt_i32_f32_e32 v60, v61
	v_exp_f32_e32 v55, v55
	s_waitcnt_depctr 0xfff
	v_ldexp_f32 v55, v55, v60
	s_delay_alu instid0(VALU_DEP_1) | instskip(SKIP_1) | instid1(VALU_DEP_1)
	v_cndmask_b32_e64 v55, 0, v55, s3
	v_cmp_nlt_f32_e64 s3, 0x42b17218, v52
	v_cndmask_b32_e64 v52, 0x7f800000, v55, s3
	ds_bpermute_b32 v55, v173, v52
	v_cndmask_b32_e64 v53, v53, v52, s2
	v_cndmask_b32_e64 v54, v54, v52, s1
	s_waitcnt lgkmcnt(0)
	s_delay_alu instid0(VALU_DEP_2) | instskip(NEXT) | instid1(VALU_DEP_2)
	v_cndmask_b32_e64 v61, v53, v55, s0
	v_cndmask_b32_e32 v54, v54, v55, vcc_lo
	s_delay_alu instid0(VALU_DEP_2) | instskip(NEXT) | instid1(VALU_DEP_2)
	v_cvt_f16_f32_e32 v53, v61
	v_cvt_f16_f32_e32 v55, v54
	s_delay_alu instid0(VALU_DEP_1) | instskip(SKIP_1) | instid1(VALU_DEP_1)
	v_pack_b32_f16 v60, v53, v55
	v_sub_f32_e32 v53, v188, v150
	v_mul_f32_e32 v55, 0x3fb8aa3b, v53
	v_cmp_ngt_f32_e64 s3, 0xc2ce8ed0, v53
	s_delay_alu instid0(VALU_DEP_2) | instskip(SKIP_1) | instid1(VALU_DEP_1)
	v_fma_f32 v62, 0x3fb8aa3b, v53, -v55
	v_rndne_f32_e32 v63, v55
	v_dual_fmac_f32 v62, 0x32a5705f, v53 :: v_dual_sub_f32 v55, v55, v63
	s_delay_alu instid0(VALU_DEP_1) | instskip(SKIP_1) | instid1(VALU_DEP_2)
	v_add_f32_e32 v55, v55, v62
	v_cvt_i32_f32_e32 v62, v63
	v_exp_f32_e32 v55, v55
	s_waitcnt_depctr 0xfff
	v_ldexp_f32 v55, v55, v62
	s_delay_alu instid0(VALU_DEP_1) | instskip(SKIP_1) | instid1(VALU_DEP_1)
	v_cndmask_b32_e64 v55, 0, v55, s3
	v_cmp_nlt_f32_e64 s3, 0x42b17218, v53
	v_cndmask_b32_e64 v53, 0x7f800000, v55, s3
	s_delay_alu instid0(VALU_DEP_1) | instskip(SKIP_4) | instid1(VALU_DEP_2)
	v_cndmask_b32_e64 v55, v61, v53, s2
	ds_bpermute_b32 v61, v173, v53
	v_cndmask_b32_e64 v54, v54, v53, s1
	s_waitcnt lgkmcnt(0)
	v_cndmask_b32_e64 v55, v55, v61, s0
	v_cndmask_b32_e32 v62, v54, v61, vcc_lo
	s_delay_alu instid0(VALU_DEP_2) | instskip(NEXT) | instid1(VALU_DEP_2)
	v_cvt_f16_f32_e32 v54, v55
	v_cvt_f16_f32_e32 v61, v62
	s_delay_alu instid0(VALU_DEP_1) | instskip(SKIP_1) | instid1(VALU_DEP_1)
	v_pack_b32_f16 v61, v54, v61
	v_sub_f32_e32 v54, v187, v150
	v_mul_f32_e32 v63, 0x3fb8aa3b, v54
	v_cmp_ngt_f32_e64 s3, 0xc2ce8ed0, v54
	s_delay_alu instid0(VALU_DEP_2) | instskip(SKIP_1) | instid1(VALU_DEP_2)
	v_fma_f32 v92, 0x3fb8aa3b, v54, -v63
	v_rndne_f32_e32 v94, v63
	v_fmac_f32_e32 v92, 0x32a5705f, v54
	s_delay_alu instid0(VALU_DEP_2) | instskip(NEXT) | instid1(VALU_DEP_1)
	v_sub_f32_e32 v63, v63, v94
	v_add_f32_e32 v63, v63, v92
	v_cvt_i32_f32_e32 v92, v94
	s_delay_alu instid0(VALU_DEP_2) | instskip(SKIP_2) | instid1(VALU_DEP_1)
	v_exp_f32_e32 v63, v63
	s_waitcnt_depctr 0xfff
	v_ldexp_f32 v63, v63, v92
	v_cndmask_b32_e64 v63, 0, v63, s3
	v_cmp_nlt_f32_e64 s3, 0x42b17218, v54
	s_delay_alu instid0(VALU_DEP_1) | instskip(SKIP_4) | instid1(VALU_DEP_2)
	v_cndmask_b32_e64 v54, 0x7f800000, v63, s3
	ds_bpermute_b32 v63, v173, v54
	v_cndmask_b32_e64 v55, v55, v54, s2
	v_cndmask_b32_e64 v62, v62, v54, s1
	s_waitcnt lgkmcnt(0)
	v_cndmask_b32_e64 v92, v55, v63, s0
	s_delay_alu instid0(VALU_DEP_2) | instskip(NEXT) | instid1(VALU_DEP_2)
	v_cndmask_b32_e32 v63, v62, v63, vcc_lo
	v_cvt_f16_f32_e32 v55, v92
	s_delay_alu instid0(VALU_DEP_2) | instskip(NEXT) | instid1(VALU_DEP_1)
	v_cvt_f16_f32_e32 v62, v63
	v_pack_b32_f16 v62, v55, v62
	v_sub_f32_e32 v55, v186, v150
	s_delay_alu instid0(VALU_DEP_1) | instskip(SKIP_1) | instid1(VALU_DEP_2)
	v_mul_f32_e32 v94, 0x3fb8aa3b, v55
	v_cmp_ngt_f32_e64 s3, 0xc2ce8ed0, v55
	v_fma_f32 v95, 0x3fb8aa3b, v55, -v94
	v_rndne_f32_e32 v96, v94
	s_delay_alu instid0(VALU_DEP_1) | instskip(NEXT) | instid1(VALU_DEP_1)
	v_dual_fmac_f32 v95, 0x32a5705f, v55 :: v_dual_sub_f32 v94, v94, v96
	v_add_f32_e32 v94, v94, v95
	v_cvt_i32_f32_e32 v95, v96
	s_delay_alu instid0(VALU_DEP_2) | instskip(SKIP_3) | instid1(VALU_DEP_2)
	v_exp_f32_e32 v94, v94
	s_waitcnt_depctr 0xfff
	v_ldexp_f32 v94, v94, v95
	v_perm_b32 v95, v107, v105, 0x5040100
	v_cndmask_b32_e64 v94, 0, v94, s3
	v_cmp_nlt_f32_e64 s3, 0x42b17218, v55
	s_delay_alu instid0(VALU_DEP_1) | instskip(SKIP_4) | instid1(VALU_DEP_2)
	v_cndmask_b32_e64 v55, 0x7f800000, v94, s3
	ds_bpermute_b32 v94, v173, v55
	v_cndmask_b32_e64 v92, v92, v55, s2
	v_cndmask_b32_e64 v63, v63, v55, s1
	s_waitcnt lgkmcnt(0)
	v_cndmask_b32_e64 v92, v92, v94, s0
	s_delay_alu instid0(VALU_DEP_2) | instskip(SKIP_1) | instid1(VALU_DEP_3)
	v_cndmask_b32_e32 v63, v63, v94, vcc_lo
	v_perm_b32 v94, v103, v93, 0x5040100
	v_cvt_f16_f32_e32 v92, v92
	s_delay_alu instid0(VALU_DEP_3) | instskip(NEXT) | instid1(VALU_DEP_1)
	v_cvt_f16_f32_e32 v63, v63
	v_pack_b32_f16 v63, v92, v63
	v_add_nc_u32_e32 v92, 0x200, v175
	ds_load_2addr_b32 v[108:109], v92 offset0:16 offset1:160
	ds_load_2addr_b32 v[110:111], v203 offset0:188 offset1:244
	v_add_nc_u32_e32 v92, 0xc00, v174
	v_add_nc_u32_e32 v203, 0x1000, v174
	ds_load_2addr_b32 v[112:113], v92 offset0:76 offset1:132
	ds_load_2addr_b32 v[114:115], v92 offset0:4 offset1:24
	;; [unrolled: 1-line block ×5, first 2 shown]
	v_add_nc_u32_e32 v92, 0xe00, v174
	ds_load_2addr_b32 v[122:123], v92 offset0:92 offset1:148
	ds_load_b32 v137, v175 offset:1728
	ds_load_b32 v192, v176 offset:1728
	;; [unrolled: 1-line block ×3, first 2 shown]
	ds_load_2addr_b32 v[139:140], v203 offset0:72 offset1:92
	ds_load_2addr_b32 v[186:187], v203 offset0:36 offset1:56
	v_add_nc_u32_e32 v92, 0x200, v179
	ds_load_2addr_b32 v[190:191], v203 offset0:108 offset1:128
	s_waitcnt lgkmcnt(12)
	v_perm_b32 v96, v111, v108, 0x5040100
	ds_load_2addr_b32 v[188:189], v92 offset0:16 offset1:160
	v_perm_b32 v92, v103, v93, 0x7060302
	v_perm_b32 v93, v107, v105, 0x7060302
	s_waitcnt lgkmcnt(12)
	v_perm_b32 v98, v113, v109, 0x5040100
	s_waitcnt lgkmcnt(10)
	;; [unrolled: 2-line block ×5, first 2 shown]
	v_perm_b32 v101, v140, v187, 0x5040100
	s_delay_alu instid0(VALU_DEP_1)
	v_wmma_f16_16x16x16_f16 v[8:15], v[94:101], v[56:63], v[8:15]
	v_perm_b32 v94, v104, v102, 0x5040100
	v_perm_b32 v95, v110, v106, 0x5040100
	;; [unrolled: 1-line block ×3, first 2 shown]
	s_waitcnt lgkmcnt(0)
	v_perm_b32 v96, v114, v188, 0x5040100
	v_perm_b32 v98, v118, v189, 0x5040100
	;; [unrolled: 1-line block ×5, first 2 shown]
	s_delay_alu instid0(VALU_DEP_1)
	v_wmma_f16_16x16x16_f16 v[0:7], v[94:101], v[56:63], v[0:7]
	v_perm_b32 v94, v111, v108, 0x7060302
	v_perm_b32 v96, v113, v109, 0x7060302
	;; [unrolled: 1-line block ×6, first 2 shown]
	s_delay_alu instid0(VALU_DEP_1)
	v_wmma_f16_16x16x16_f16 v[8:15], v[92:99], v[56:63], v[8:15] op_sel:[0,0,1]
	v_perm_b32 v92, v104, v102, 0x7060302
	v_perm_b32 v93, v110, v106, 0x7060302
	;; [unrolled: 1-line block ×8, first 2 shown]
	s_delay_alu instid0(VALU_DEP_1) | instskip(SKIP_1) | instid1(VALU_DEP_1)
	v_wmma_f16_16x16x16_f16 v[0:7], v[92:99], v[56:63], v[0:7] op_sel:[0,0,1]
	v_sub_f32_e32 v56, v185, v150
	v_mul_f32_e32 v57, 0x3fb8aa3b, v56
	v_cmp_ngt_f32_e64 s3, 0xc2ce8ed0, v56
	s_delay_alu instid0(VALU_DEP_2) | instskip(SKIP_1) | instid1(VALU_DEP_1)
	v_fma_f32 v58, 0x3fb8aa3b, v56, -v57
	v_rndne_f32_e32 v59, v57
	v_dual_fmac_f32 v58, 0x32a5705f, v56 :: v_dual_sub_f32 v57, v57, v59
	v_cvt_i32_f32_e32 v59, v59
	s_delay_alu instid0(VALU_DEP_2) | instskip(SKIP_1) | instid1(VALU_DEP_2)
	v_add_f32_e32 v57, v57, v58
	v_sub_f32_e32 v58, v184, v150
	v_exp_f32_e32 v57, v57
	s_delay_alu instid0(VALU_DEP_1) | instskip(SKIP_1) | instid1(VALU_DEP_2)
	v_mul_f32_e32 v60, 0x3fb8aa3b, v58
	v_cmp_ngt_f32_e64 s4, 0xc2ce8ed0, v58
	v_fma_f32 v61, 0x3fb8aa3b, v58, -v60
	v_rndne_f32_e32 v62, v60
	s_waitcnt_depctr 0xfff
	v_ldexp_f32 v57, v57, v59
	v_fmac_f32_e32 v61, 0x32a5705f, v58
	v_sub_f32_e32 v60, v60, v62
	v_cvt_i32_f32_e32 v59, v62
	s_delay_alu instid0(VALU_DEP_4) | instskip(SKIP_1) | instid1(VALU_DEP_4)
	v_cndmask_b32_e64 v57, 0, v57, s3
	v_cmp_nlt_f32_e64 s3, 0x42b17218, v56
	v_add_f32_e32 v60, v60, v61
	s_delay_alu instid0(VALU_DEP_2) | instskip(NEXT) | instid1(VALU_DEP_2)
	v_cndmask_b32_e64 v184, 0x7f800000, v57, s3
	v_exp_f32_e32 v60, v60
	s_waitcnt_depctr 0xfff
	v_ldexp_f32 v59, v60, v59
	s_delay_alu instid0(VALU_DEP_1)
	v_cndmask_b32_e64 v56, 0, v59, s4
	v_cmp_nlt_f32_e64 s4, 0x42b17218, v58
	ds_bpermute_b32 v58, v173, v184
	v_cndmask_b32_e64 v140, 0x7f800000, v56, s4
	ds_bpermute_b32 v56, v173, v140
	s_waitcnt lgkmcnt(0)
	v_cndmask_b32_e32 v57, v140, v56, vcc_lo
	v_cndmask_b32_e64 v56, v140, v56, s0
	s_delay_alu instid0(VALU_DEP_2) | instskip(NEXT) | instid1(VALU_DEP_2)
	v_cndmask_b32_e64 v60, v57, v184, s1
	v_cndmask_b32_e64 v59, v56, v184, s2
	v_cvt_f16_f32_e32 v56, v56
	v_cvt_f16_f32_e32 v57, v57
	s_delay_alu instid0(VALU_DEP_3) | instskip(SKIP_1) | instid1(VALU_DEP_3)
	v_cndmask_b32_e64 v59, v59, v58, s0
	v_cndmask_b32_e32 v58, v60, v58, vcc_lo
	v_pack_b32_f16 v56, v56, v57
	s_delay_alu instid0(VALU_DEP_3) | instskip(NEXT) | instid1(VALU_DEP_3)
	v_cvt_f16_f32_e32 v60, v59
	v_cvt_f16_f32_e32 v61, v58
	s_delay_alu instid0(VALU_DEP_1) | instskip(SKIP_1) | instid1(VALU_DEP_1)
	v_pack_b32_f16 v57, v60, v61
	v_sub_f32_e32 v60, v138, v150
	v_mul_f32_e32 v61, 0x3fb8aa3b, v60
	v_cmp_ngt_f32_e64 s3, 0xc2ce8ed0, v60
	s_delay_alu instid0(VALU_DEP_2) | instskip(SKIP_1) | instid1(VALU_DEP_1)
	v_fma_f32 v62, 0x3fb8aa3b, v60, -v61
	v_rndne_f32_e32 v63, v61
	v_dual_fmac_f32 v62, 0x32a5705f, v60 :: v_dual_sub_f32 v61, v61, v63
	s_delay_alu instid0(VALU_DEP_1) | instskip(SKIP_1) | instid1(VALU_DEP_2)
	v_add_f32_e32 v61, v61, v62
	v_cvt_i32_f32_e32 v62, v63
	v_exp_f32_e32 v61, v61
	s_waitcnt_depctr 0xfff
	v_ldexp_f32 v61, v61, v62
	s_delay_alu instid0(VALU_DEP_1) | instskip(SKIP_1) | instid1(VALU_DEP_1)
	v_cndmask_b32_e64 v61, 0, v61, s3
	v_cmp_nlt_f32_e64 s3, 0x42b17218, v60
	v_cndmask_b32_e64 v185, 0x7f800000, v61, s3
	ds_bpermute_b32 v60, v173, v185
	v_cndmask_b32_e64 v59, v59, v185, s2
	v_cndmask_b32_e64 v58, v58, v185, s1
	s_waitcnt lgkmcnt(0)
	s_delay_alu instid0(VALU_DEP_2) | instskip(NEXT) | instid1(VALU_DEP_2)
	v_cndmask_b32_e64 v59, v59, v60, s0
	v_cndmask_b32_e32 v60, v58, v60, vcc_lo
	s_delay_alu instid0(VALU_DEP_2) | instskip(NEXT) | instid1(VALU_DEP_2)
	v_cvt_f16_f32_e32 v58, v59
	v_cvt_f16_f32_e32 v61, v60
	s_delay_alu instid0(VALU_DEP_1) | instskip(SKIP_1) | instid1(VALU_DEP_1)
	v_pack_b32_f16 v58, v58, v61
	v_sub_f32_e32 v61, v135, v150
	v_mul_f32_e32 v62, 0x3fb8aa3b, v61
	v_cmp_ngt_f32_e64 s3, 0xc2ce8ed0, v61
	s_delay_alu instid0(VALU_DEP_2) | instskip(SKIP_1) | instid1(VALU_DEP_1)
	v_fma_f32 v63, 0x3fb8aa3b, v61, -v62
	v_rndne_f32_e32 v92, v62
	v_dual_fmac_f32 v63, 0x32a5705f, v61 :: v_dual_sub_f32 v62, v62, v92
	s_delay_alu instid0(VALU_DEP_1) | instskip(SKIP_1) | instid1(VALU_DEP_2)
	v_add_f32_e32 v62, v62, v63
	v_cvt_i32_f32_e32 v63, v92
	v_exp_f32_e32 v62, v62
	s_waitcnt_depctr 0xfff
	v_ldexp_f32 v62, v62, v63
	s_delay_alu instid0(VALU_DEP_1) | instskip(SKIP_1) | instid1(VALU_DEP_1)
	v_cndmask_b32_e64 v62, 0, v62, s3
	v_cmp_nlt_f32_e64 s3, 0x42b17218, v61
	v_cndmask_b32_e64 v186, 0x7f800000, v62, s3
	ds_bpermute_b32 v61, v173, v186
	v_cndmask_b32_e64 v59, v59, v186, s2
	v_cndmask_b32_e64 v60, v60, v186, s1
	s_waitcnt lgkmcnt(0)
	s_delay_alu instid0(VALU_DEP_2) | instskip(NEXT) | instid1(VALU_DEP_2)
	v_cndmask_b32_e64 v62, v59, v61, s0
	v_cndmask_b32_e32 v60, v60, v61, vcc_lo
	s_delay_alu instid0(VALU_DEP_2) | instskip(NEXT) | instid1(VALU_DEP_2)
	v_cvt_f16_f32_e32 v59, v62
	v_cvt_f16_f32_e32 v61, v60
	s_delay_alu instid0(VALU_DEP_1) | instskip(SKIP_1) | instid1(VALU_DEP_1)
	v_pack_b32_f16 v59, v59, v61
	v_sub_f32_e32 v61, v132, v150
	v_mul_f32_e32 v63, 0x3fb8aa3b, v61
	v_cmp_ngt_f32_e64 s3, 0xc2ce8ed0, v61
	s_delay_alu instid0(VALU_DEP_2) | instskip(SKIP_1) | instid1(VALU_DEP_2)
	v_fma_f32 v92, 0x3fb8aa3b, v61, -v63
	v_rndne_f32_e32 v93, v63
	v_fmac_f32_e32 v92, 0x32a5705f, v61
	s_delay_alu instid0(VALU_DEP_2) | instskip(NEXT) | instid1(VALU_DEP_1)
	v_sub_f32_e32 v63, v63, v93
	v_add_f32_e32 v63, v63, v92
	v_cvt_i32_f32_e32 v92, v93
	s_delay_alu instid0(VALU_DEP_2) | instskip(SKIP_2) | instid1(VALU_DEP_1)
	v_exp_f32_e32 v63, v63
	s_waitcnt_depctr 0xfff
	v_ldexp_f32 v63, v63, v92
	v_cndmask_b32_e64 v63, 0, v63, s3
	v_cmp_nlt_f32_e64 s3, 0x42b17218, v61
	s_delay_alu instid0(VALU_DEP_1) | instskip(NEXT) | instid1(VALU_DEP_1)
	v_cndmask_b32_e64 v132, 0x7f800000, v63, s3
	v_cndmask_b32_e64 v61, v62, v132, s2
	ds_bpermute_b32 v62, v173, v132
	v_cndmask_b32_e64 v60, v60, v132, s1
	s_waitcnt lgkmcnt(0)
	v_cndmask_b32_e64 v61, v61, v62, s0
	s_delay_alu instid0(VALU_DEP_2) | instskip(NEXT) | instid1(VALU_DEP_2)
	v_cndmask_b32_e32 v62, v60, v62, vcc_lo
	v_cvt_f16_f32_e32 v60, v61
	s_delay_alu instid0(VALU_DEP_2) | instskip(NEXT) | instid1(VALU_DEP_1)
	v_cvt_f16_f32_e32 v63, v62
	v_pack_b32_f16 v60, v60, v63
	v_sub_f32_e32 v63, v127, v150
	v_add_nc_u32_e32 v127, 0x1800, v174
	s_delay_alu instid0(VALU_DEP_2) | instskip(SKIP_1) | instid1(VALU_DEP_2)
	v_mul_f32_e32 v92, 0x3fb8aa3b, v63
	v_cmp_ngt_f32_e64 s3, 0xc2ce8ed0, v63
	v_fma_f32 v93, 0x3fb8aa3b, v63, -v92
	v_rndne_f32_e32 v94, v92
	s_delay_alu instid0(VALU_DEP_1) | instskip(NEXT) | instid1(VALU_DEP_1)
	v_dual_fmac_f32 v93, 0x32a5705f, v63 :: v_dual_sub_f32 v92, v92, v94
	v_add_f32_e32 v92, v92, v93
	v_cvt_i32_f32_e32 v93, v94
	s_delay_alu instid0(VALU_DEP_2) | instskip(SKIP_2) | instid1(VALU_DEP_1)
	v_exp_f32_e32 v92, v92
	s_waitcnt_depctr 0xfff
	v_ldexp_f32 v92, v92, v93
	v_cndmask_b32_e64 v92, 0, v92, s3
	v_cmp_nlt_f32_e64 s3, 0x42b17218, v63
	s_delay_alu instid0(VALU_DEP_1) | instskip(SKIP_4) | instid1(VALU_DEP_2)
	v_cndmask_b32_e64 v187, 0x7f800000, v92, s3
	ds_bpermute_b32 v63, v173, v187
	v_cndmask_b32_e64 v61, v61, v187, s2
	v_cndmask_b32_e64 v62, v62, v187, s1
	s_waitcnt lgkmcnt(0)
	v_cndmask_b32_e64 v92, v61, v63, s0
	s_delay_alu instid0(VALU_DEP_2) | instskip(NEXT) | instid1(VALU_DEP_2)
	v_cndmask_b32_e32 v62, v62, v63, vcc_lo
	v_cvt_f16_f32_e32 v61, v92
	s_delay_alu instid0(VALU_DEP_2) | instskip(NEXT) | instid1(VALU_DEP_1)
	v_cvt_f16_f32_e32 v63, v62
	v_pack_b32_f16 v61, v61, v63
	v_sub_f32_e32 v63, v136, v150
	s_delay_alu instid0(VALU_DEP_1) | instskip(SKIP_1) | instid1(VALU_DEP_2)
	v_mul_f32_e32 v93, 0x3fb8aa3b, v63
	v_cmp_ngt_f32_e64 s3, 0xc2ce8ed0, v63
	v_fma_f32 v94, 0x3fb8aa3b, v63, -v93
	v_rndne_f32_e32 v95, v93
	s_delay_alu instid0(VALU_DEP_2) | instskip(NEXT) | instid1(VALU_DEP_2)
	v_fmac_f32_e32 v94, 0x32a5705f, v63
	v_sub_f32_e32 v93, v93, v95
	s_delay_alu instid0(VALU_DEP_1) | instskip(SKIP_1) | instid1(VALU_DEP_2)
	v_add_f32_e32 v93, v93, v94
	v_cvt_i32_f32_e32 v94, v95
	v_exp_f32_e32 v93, v93
	s_waitcnt_depctr 0xfff
	v_ldexp_f32 v93, v93, v94
	s_delay_alu instid0(VALU_DEP_1) | instskip(SKIP_1) | instid1(VALU_DEP_1)
	v_cndmask_b32_e64 v93, 0, v93, s3
	v_cmp_nlt_f32_e64 s3, 0x42b17218, v63
	v_cndmask_b32_e64 v188, 0x7f800000, v93, s3
	s_delay_alu instid0(VALU_DEP_1) | instskip(SKIP_4) | instid1(VALU_DEP_2)
	v_cndmask_b32_e64 v63, v92, v188, s2
	ds_bpermute_b32 v92, v173, v188
	v_cndmask_b32_e64 v62, v62, v188, s1
	s_waitcnt lgkmcnt(0)
	v_cndmask_b32_e64 v63, v63, v92, s0
	v_cndmask_b32_e32 v92, v62, v92, vcc_lo
	s_delay_alu instid0(VALU_DEP_2) | instskip(NEXT) | instid1(VALU_DEP_2)
	v_cvt_f16_f32_e32 v62, v63
	v_cvt_f16_f32_e32 v93, v92
	s_delay_alu instid0(VALU_DEP_1) | instskip(SKIP_1) | instid1(VALU_DEP_1)
	v_pack_b32_f16 v62, v62, v93
	v_sub_f32_e32 v93, v134, v150
	v_mul_f32_e32 v94, 0x3fb8aa3b, v93
	v_cmp_ngt_f32_e64 s3, 0xc2ce8ed0, v93
	s_delay_alu instid0(VALU_DEP_2) | instskip(SKIP_1) | instid1(VALU_DEP_1)
	v_fma_f32 v95, 0x3fb8aa3b, v93, -v94
	v_rndne_f32_e32 v96, v94
	v_dual_fmac_f32 v95, 0x32a5705f, v93 :: v_dual_sub_f32 v94, v94, v96
	s_delay_alu instid0(VALU_DEP_1) | instskip(SKIP_1) | instid1(VALU_DEP_2)
	v_add_f32_e32 v94, v94, v95
	v_cvt_i32_f32_e32 v95, v96
	v_exp_f32_e32 v94, v94
	s_waitcnt_depctr 0xfff
	v_ldexp_f32 v94, v94, v95
	s_delay_alu instid0(VALU_DEP_1) | instskip(SKIP_1) | instid1(VALU_DEP_1)
	v_cndmask_b32_e64 v94, 0, v94, s3
	v_cmp_nlt_f32_e64 s3, 0x42b17218, v93
	v_cndmask_b32_e64 v189, 0x7f800000, v94, s3
	ds_bpermute_b32 v93, v173, v189
	v_cndmask_b32_e64 v63, v63, v189, s2
	v_cndmask_b32_e64 v92, v92, v189, s1
	s_waitcnt lgkmcnt(0)
	s_delay_alu instid0(VALU_DEP_2) | instskip(NEXT) | instid1(VALU_DEP_2)
	v_cndmask_b32_e64 v63, v63, v93, s0
	v_dual_cndmask_b32 v92, v92, v93 :: v_dual_add_nc_u32 v93, 0x1400, v174
	s_delay_alu instid0(VALU_DEP_2) | instskip(NEXT) | instid1(VALU_DEP_2)
	v_cvt_f16_f32_e32 v63, v63
	v_cvt_f16_f32_e32 v92, v92
	s_delay_alu instid0(VALU_DEP_1)
	v_pack_b32_f16 v63, v63, v92
	v_add_nc_u32_e32 v92, 0x1600, v174
	ds_load_2addr_b32 v[100:101], v92 offset0:120 offset1:140
	ds_load_2addr_b32 v[102:103], v93 offset0:212 offset1:232
	;; [unrolled: 1-line block ×3, first 2 shown]
	v_add_nc_u32_e32 v92, 0x200, v176
	ds_load_2addr_b32 v[106:107], v93 offset0:68 offset1:88
	ds_load_2addr_b32 v[108:109], v93 offset0:104 offset1:124
	;; [unrolled: 1-line block ×4, first 2 shown]
	v_add_nc_u32_e32 v92, 0x1200, v174
	ds_load_2addr_b32 v[114:115], v92 offset0:124 offset1:180
	ds_load_2addr_b32 v[116:117], v203 offset0:216 offset1:236
	;; [unrolled: 1-line block ×7, first 2 shown]
	s_waitcnt lgkmcnt(12)
	v_perm_b32 v97, v101, v103, 0x5040100
	s_waitcnt lgkmcnt(11)
	v_perm_b32 v98, v105, v192, 0x5040100
	;; [unrolled: 2-line block ×8, first 2 shown]
	s_delay_alu instid0(VALU_DEP_1)
	v_wmma_f16_16x16x16_f16 v[8:15], v[92:99], v[56:63], v[8:15]
	v_add_nc_u32_e32 v92, 0x200, v180
	v_perm_b32 v97, v104, v100, 0x5040100
	v_perm_b32 v95, v110, v108, 0x5040100
	;; [unrolled: 1-line block ×4, first 2 shown]
	ds_load_2addr_b32 v[136:137], v92 offset0:16 offset1:160
	v_perm_b32 v92, v118, v120, 0x5040100
	s_waitcnt lgkmcnt(1)
	v_perm_b32 v99, v138, v134, 0x5040100
	s_waitcnt lgkmcnt(0)
	v_perm_b32 v96, v102, v137, 0x5040100
	v_perm_b32 v94, v106, v136, 0x5040100
	s_delay_alu instid0(VALU_DEP_1)
	v_wmma_f16_16x16x16_f16 v[0:7], v[92:99], v[56:63], v[0:7]
	v_perm_b32 v96, v111, v113, 0x7060302
	v_perm_b32 v94, v115, v112, 0x7060302
	v_perm_b32 v92, v121, v191, 0x7060302
	v_perm_b32 v98, v105, v192, 0x7060302
	v_perm_b32 v97, v101, v103, 0x7060302
	v_perm_b32 v95, v109, v107, 0x7060302
	v_perm_b32 v93, v117, v119, 0x7060302
	v_perm_b32 v99, v135, v123, 0x7060302
	s_delay_alu instid0(VALU_DEP_1)
	v_wmma_f16_16x16x16_f16 v[8:15], v[92:99], v[56:63], v[8:15] op_sel:[0,0,1]
	v_perm_b32 v97, v104, v100, 0x7060302
	v_perm_b32 v96, v102, v137, 0x7060302
	;; [unrolled: 1-line block ×8, first 2 shown]
	s_delay_alu instid0(VALU_DEP_1) | instskip(SKIP_2) | instid1(VALU_DEP_2)
	v_wmma_f16_16x16x16_f16 v[0:7], v[92:99], v[56:63], v[0:7] op_sel:[0,0,1]
	v_sub_f32_e32 v56, v133, v150
	v_add_nc_u32_e32 v99, 0x2000, v174
	v_mul_f32_e32 v57, 0x3fb8aa3b, v56
	v_cmp_ngt_f32_e64 s3, 0xc2ce8ed0, v56
	s_delay_alu instid0(VALU_DEP_2) | instskip(SKIP_1) | instid1(VALU_DEP_1)
	v_fma_f32 v58, 0x3fb8aa3b, v56, -v57
	v_rndne_f32_e32 v59, v57
	v_dual_fmac_f32 v58, 0x32a5705f, v56 :: v_dual_sub_f32 v57, v57, v59
	v_cvt_i32_f32_e32 v59, v59
	s_delay_alu instid0(VALU_DEP_2) | instskip(SKIP_1) | instid1(VALU_DEP_2)
	v_add_f32_e32 v57, v57, v58
	v_sub_f32_e32 v58, v131, v150
	v_exp_f32_e32 v57, v57
	s_delay_alu instid0(VALU_DEP_1) | instskip(SKIP_1) | instid1(VALU_DEP_2)
	v_mul_f32_e32 v60, 0x3fb8aa3b, v58
	v_cmp_ngt_f32_e64 s4, 0xc2ce8ed0, v58
	v_fma_f32 v61, 0x3fb8aa3b, v58, -v60
	v_rndne_f32_e32 v62, v60
	s_waitcnt_depctr 0xfff
	v_ldexp_f32 v57, v57, v59
	v_fmac_f32_e32 v61, 0x32a5705f, v58
	v_sub_f32_e32 v60, v60, v62
	v_cvt_i32_f32_e32 v59, v62
	s_delay_alu instid0(VALU_DEP_4) | instskip(SKIP_1) | instid1(VALU_DEP_4)
	v_cndmask_b32_e64 v57, 0, v57, s3
	v_cmp_nlt_f32_e64 s3, 0x42b17218, v56
	v_add_f32_e32 v60, v60, v61
	s_delay_alu instid0(VALU_DEP_2) | instskip(NEXT) | instid1(VALU_DEP_2)
	v_cndmask_b32_e64 v133, 0x7f800000, v57, s3
	v_exp_f32_e32 v60, v60
	s_waitcnt_depctr 0xfff
	v_ldexp_f32 v59, v60, v59
	s_delay_alu instid0(VALU_DEP_1)
	v_cndmask_b32_e64 v56, 0, v59, s4
	v_cmp_nlt_f32_e64 s4, 0x42b17218, v58
	ds_bpermute_b32 v58, v173, v133
	v_cndmask_b32_e64 v131, 0x7f800000, v56, s4
	ds_bpermute_b32 v56, v173, v131
	s_waitcnt lgkmcnt(0)
	v_cndmask_b32_e32 v57, v131, v56, vcc_lo
	v_cndmask_b32_e64 v56, v131, v56, s0
	s_delay_alu instid0(VALU_DEP_2) | instskip(NEXT) | instid1(VALU_DEP_2)
	v_cndmask_b32_e64 v60, v57, v133, s1
	v_cndmask_b32_e64 v59, v56, v133, s2
	v_cvt_f16_f32_e32 v56, v56
	v_cvt_f16_f32_e32 v57, v57
	s_delay_alu instid0(VALU_DEP_3) | instskip(SKIP_1) | instid1(VALU_DEP_3)
	v_cndmask_b32_e64 v59, v59, v58, s0
	v_cndmask_b32_e32 v58, v60, v58, vcc_lo
	v_pack_b32_f16 v56, v56, v57
	s_delay_alu instid0(VALU_DEP_3) | instskip(NEXT) | instid1(VALU_DEP_3)
	v_cvt_f16_f32_e32 v60, v59
	v_cvt_f16_f32_e32 v61, v58
	s_delay_alu instid0(VALU_DEP_1) | instskip(SKIP_1) | instid1(VALU_DEP_1)
	v_pack_b32_f16 v57, v60, v61
	v_sub_f32_e32 v60, v130, v150
	v_mul_f32_e32 v61, 0x3fb8aa3b, v60
	v_cmp_ngt_f32_e64 s3, 0xc2ce8ed0, v60
	s_delay_alu instid0(VALU_DEP_2) | instskip(SKIP_1) | instid1(VALU_DEP_1)
	v_fma_f32 v62, 0x3fb8aa3b, v60, -v61
	v_rndne_f32_e32 v63, v61
	v_dual_fmac_f32 v62, 0x32a5705f, v60 :: v_dual_sub_f32 v61, v61, v63
	s_delay_alu instid0(VALU_DEP_1) | instskip(SKIP_1) | instid1(VALU_DEP_2)
	v_add_f32_e32 v61, v61, v62
	v_cvt_i32_f32_e32 v62, v63
	v_exp_f32_e32 v61, v61
	s_waitcnt_depctr 0xfff
	v_ldexp_f32 v61, v61, v62
	s_delay_alu instid0(VALU_DEP_1) | instskip(SKIP_1) | instid1(VALU_DEP_1)
	v_cndmask_b32_e64 v61, 0, v61, s3
	v_cmp_nlt_f32_e64 s3, 0x42b17218, v60
	v_cndmask_b32_e64 v130, 0x7f800000, v61, s3
	ds_bpermute_b32 v60, v173, v130
	v_cndmask_b32_e64 v59, v59, v130, s2
	v_cndmask_b32_e64 v58, v58, v130, s1
	s_waitcnt lgkmcnt(0)
	s_delay_alu instid0(VALU_DEP_2) | instskip(NEXT) | instid1(VALU_DEP_2)
	v_cndmask_b32_e64 v59, v59, v60, s0
	v_cndmask_b32_e32 v60, v58, v60, vcc_lo
	s_delay_alu instid0(VALU_DEP_2) | instskip(NEXT) | instid1(VALU_DEP_2)
	v_cvt_f16_f32_e32 v58, v59
	v_cvt_f16_f32_e32 v61, v60
	s_delay_alu instid0(VALU_DEP_1) | instskip(SKIP_1) | instid1(VALU_DEP_1)
	v_pack_b32_f16 v58, v58, v61
	v_sub_f32_e32 v61, v129, v150
	v_mul_f32_e32 v62, 0x3fb8aa3b, v61
	v_cmp_ngt_f32_e64 s3, 0xc2ce8ed0, v61
	s_delay_alu instid0(VALU_DEP_2) | instskip(SKIP_1) | instid1(VALU_DEP_1)
	v_fma_f32 v63, 0x3fb8aa3b, v61, -v62
	v_rndne_f32_e32 v92, v62
	v_dual_fmac_f32 v63, 0x32a5705f, v61 :: v_dual_sub_f32 v62, v62, v92
	s_delay_alu instid0(VALU_DEP_1) | instskip(SKIP_1) | instid1(VALU_DEP_2)
	v_add_f32_e32 v62, v62, v63
	v_cvt_i32_f32_e32 v63, v92
	v_exp_f32_e32 v62, v62
	s_waitcnt_depctr 0xfff
	v_ldexp_f32 v62, v62, v63
	s_delay_alu instid0(VALU_DEP_1) | instskip(SKIP_1) | instid1(VALU_DEP_1)
	v_cndmask_b32_e64 v62, 0, v62, s3
	v_cmp_nlt_f32_e64 s3, 0x42b17218, v61
	v_cndmask_b32_e64 v129, 0x7f800000, v62, s3
	ds_bpermute_b32 v61, v173, v129
	v_cndmask_b32_e64 v59, v59, v129, s2
	v_cndmask_b32_e64 v60, v60, v129, s1
	s_waitcnt lgkmcnt(0)
	s_delay_alu instid0(VALU_DEP_2) | instskip(NEXT) | instid1(VALU_DEP_2)
	v_cndmask_b32_e64 v62, v59, v61, s0
	v_cndmask_b32_e32 v60, v60, v61, vcc_lo
	s_delay_alu instid0(VALU_DEP_2) | instskip(NEXT) | instid1(VALU_DEP_2)
	v_cvt_f16_f32_e32 v59, v62
	v_cvt_f16_f32_e32 v61, v60
	s_delay_alu instid0(VALU_DEP_1) | instskip(SKIP_1) | instid1(VALU_DEP_1)
	v_pack_b32_f16 v59, v59, v61
	v_sub_f32_e32 v61, v128, v150
	v_mul_f32_e32 v63, 0x3fb8aa3b, v61
	v_cmp_ngt_f32_e64 s3, 0xc2ce8ed0, v61
	s_delay_alu instid0(VALU_DEP_2) | instskip(SKIP_1) | instid1(VALU_DEP_2)
	v_fma_f32 v92, 0x3fb8aa3b, v61, -v63
	v_rndne_f32_e32 v93, v63
	v_fmac_f32_e32 v92, 0x32a5705f, v61
	s_delay_alu instid0(VALU_DEP_2) | instskip(NEXT) | instid1(VALU_DEP_1)
	v_sub_f32_e32 v63, v63, v93
	v_add_f32_e32 v63, v63, v92
	v_cvt_i32_f32_e32 v92, v93
	s_delay_alu instid0(VALU_DEP_2) | instskip(SKIP_2) | instid1(VALU_DEP_1)
	v_exp_f32_e32 v63, v63
	s_waitcnt_depctr 0xfff
	v_ldexp_f32 v63, v63, v92
	v_cndmask_b32_e64 v63, 0, v63, s3
	v_cmp_nlt_f32_e64 s3, 0x42b17218, v61
	s_delay_alu instid0(VALU_DEP_1) | instskip(NEXT) | instid1(VALU_DEP_1)
	v_cndmask_b32_e64 v134, 0x7f800000, v63, s3
	v_cndmask_b32_e64 v61, v62, v134, s2
	ds_bpermute_b32 v62, v173, v134
	v_cndmask_b32_e64 v60, v60, v134, s1
	s_waitcnt lgkmcnt(0)
	v_cndmask_b32_e64 v61, v61, v62, s0
	s_delay_alu instid0(VALU_DEP_2) | instskip(NEXT) | instid1(VALU_DEP_2)
	v_cndmask_b32_e32 v62, v60, v62, vcc_lo
	v_cvt_f16_f32_e32 v60, v61
	s_delay_alu instid0(VALU_DEP_2) | instskip(NEXT) | instid1(VALU_DEP_1)
	v_cvt_f16_f32_e32 v63, v62
	v_pack_b32_f16 v60, v60, v63
	v_sub_f32_e32 v63, v126, v150
	s_delay_alu instid0(VALU_DEP_1) | instskip(SKIP_1) | instid1(VALU_DEP_2)
	v_mul_f32_e32 v92, 0x3fb8aa3b, v63
	v_cmp_ngt_f32_e64 s3, 0xc2ce8ed0, v63
	v_fma_f32 v93, 0x3fb8aa3b, v63, -v92
	v_rndne_f32_e32 v94, v92
	s_delay_alu instid0(VALU_DEP_1) | instskip(NEXT) | instid1(VALU_DEP_1)
	v_dual_fmac_f32 v93, 0x32a5705f, v63 :: v_dual_sub_f32 v92, v92, v94
	v_add_f32_e32 v92, v92, v93
	v_cvt_i32_f32_e32 v93, v94
	s_delay_alu instid0(VALU_DEP_2) | instskip(SKIP_2) | instid1(VALU_DEP_1)
	v_exp_f32_e32 v92, v92
	s_waitcnt_depctr 0xfff
	v_ldexp_f32 v92, v92, v93
	v_cndmask_b32_e64 v92, 0, v92, s3
	v_cmp_nlt_f32_e64 s3, 0x42b17218, v63
	s_delay_alu instid0(VALU_DEP_1) | instskip(SKIP_4) | instid1(VALU_DEP_2)
	v_cndmask_b32_e64 v135, 0x7f800000, v92, s3
	ds_bpermute_b32 v63, v173, v135
	v_cndmask_b32_e64 v61, v61, v135, s2
	v_cndmask_b32_e64 v62, v62, v135, s1
	s_waitcnt lgkmcnt(0)
	v_cndmask_b32_e64 v92, v61, v63, s0
	s_delay_alu instid0(VALU_DEP_2) | instskip(NEXT) | instid1(VALU_DEP_2)
	v_cndmask_b32_e32 v62, v62, v63, vcc_lo
	v_cvt_f16_f32_e32 v61, v92
	s_delay_alu instid0(VALU_DEP_2) | instskip(NEXT) | instid1(VALU_DEP_1)
	v_cvt_f16_f32_e32 v63, v62
	v_pack_b32_f16 v61, v61, v63
	v_sub_f32_e32 v63, v125, v150
	s_delay_alu instid0(VALU_DEP_1) | instskip(SKIP_1) | instid1(VALU_DEP_2)
	v_mul_f32_e32 v93, 0x3fb8aa3b, v63
	v_cmp_ngt_f32_e64 s3, 0xc2ce8ed0, v63
	v_fma_f32 v94, 0x3fb8aa3b, v63, -v93
	v_rndne_f32_e32 v95, v93
	s_delay_alu instid0(VALU_DEP_2) | instskip(NEXT) | instid1(VALU_DEP_2)
	v_fmac_f32_e32 v94, 0x32a5705f, v63
	v_sub_f32_e32 v93, v93, v95
	s_delay_alu instid0(VALU_DEP_1) | instskip(SKIP_1) | instid1(VALU_DEP_2)
	v_add_f32_e32 v93, v93, v94
	v_cvt_i32_f32_e32 v94, v95
	v_exp_f32_e32 v93, v93
	s_waitcnt_depctr 0xfff
	v_ldexp_f32 v93, v93, v94
	s_delay_alu instid0(VALU_DEP_1) | instskip(SKIP_1) | instid1(VALU_DEP_1)
	v_cndmask_b32_e64 v93, 0, v93, s3
	v_cmp_nlt_f32_e64 s3, 0x42b17218, v63
	v_cndmask_b32_e64 v136, 0x7f800000, v93, s3
	s_delay_alu instid0(VALU_DEP_1) | instskip(SKIP_4) | instid1(VALU_DEP_2)
	v_cndmask_b32_e64 v63, v92, v136, s2
	ds_bpermute_b32 v92, v173, v136
	v_cndmask_b32_e64 v62, v62, v136, s1
	s_waitcnt lgkmcnt(0)
	v_cndmask_b32_e64 v63, v63, v92, s0
	v_cndmask_b32_e32 v92, v62, v92, vcc_lo
	s_delay_alu instid0(VALU_DEP_2) | instskip(NEXT) | instid1(VALU_DEP_2)
	v_cvt_f16_f32_e32 v62, v63
	v_cvt_f16_f32_e32 v93, v92
	s_delay_alu instid0(VALU_DEP_1) | instskip(SKIP_1) | instid1(VALU_DEP_1)
	v_pack_b32_f16 v62, v62, v93
	v_sub_f32_e32 v93, v142, v150
	v_mul_f32_e32 v94, 0x3fb8aa3b, v93
	v_cmp_ngt_f32_e64 s3, 0xc2ce8ed0, v93
	s_delay_alu instid0(VALU_DEP_2) | instskip(SKIP_1) | instid1(VALU_DEP_1)
	v_fma_f32 v95, 0x3fb8aa3b, v93, -v94
	v_rndne_f32_e32 v96, v94
	v_dual_fmac_f32 v95, 0x32a5705f, v93 :: v_dual_sub_f32 v94, v94, v96
	s_delay_alu instid0(VALU_DEP_1) | instskip(SKIP_1) | instid1(VALU_DEP_2)
	v_add_f32_e32 v94, v94, v95
	v_cvt_i32_f32_e32 v95, v96
	v_exp_f32_e32 v94, v94
	s_waitcnt_depctr 0xfff
	v_ldexp_f32 v94, v94, v95
	v_add_nc_u32_e32 v95, 0x1c00, v174
	s_delay_alu instid0(VALU_DEP_2) | instskip(SKIP_1) | instid1(VALU_DEP_1)
	v_cndmask_b32_e64 v94, 0, v94, s3
	v_cmp_nlt_f32_e64 s3, 0x42b17218, v93
	v_cndmask_b32_e64 v137, 0x7f800000, v94, s3
	ds_bpermute_b32 v93, v173, v137
	v_cndmask_b32_e64 v63, v63, v137, s2
	v_cndmask_b32_e64 v92, v92, v137, s1
	s_waitcnt lgkmcnt(0)
	s_delay_alu instid0(VALU_DEP_2) | instskip(NEXT) | instid1(VALU_DEP_2)
	v_cndmask_b32_e64 v63, v63, v93, s0
	v_dual_cndmask_b32 v92, v92, v93 :: v_dual_add_nc_u32 v93, 0x1e00, v174
	v_cmp_lt_i32_e32 vcc_lo, s102, v165
	s_delay_alu instid0(VALU_DEP_3) | instskip(NEXT) | instid1(VALU_DEP_3)
	v_cvt_f16_f32_e32 v63, v63
	v_cvt_f16_f32_e32 v92, v92
	s_and_b32 vcc_lo, exec_lo, vcc_lo
	s_delay_alu instid0(VALU_DEP_1)
	v_pack_b32_f16 v63, v63, v92
	v_add_nc_u32_e32 v92, 0x200, v177
	ds_load_2addr_b32 v[100:101], v127 offset0:208 offset1:228
	ds_load_2addr_b32 v[102:103], v92 offset0:16 offset1:160
	;; [unrolled: 1-line block ×4, first 2 shown]
	v_add_nc_u32_e32 v93, 0x1a00, v174
	ds_load_2addr_b32 v[108:109], v93 offset0:116 offset1:136
	ds_load_2addr_b32 v[110:111], v95 offset0:24 offset1:44
	;; [unrolled: 1-line block ×9, first 2 shown]
	s_waitcnt lgkmcnt(12)
	v_perm_b32 v92, v101, v139, 0x5040100
	s_waitcnt lgkmcnt(10)
	v_perm_b32 v94, v105, v102, 0x5040100
	;; [unrolled: 2-line block ×8, first 2 shown]
	s_delay_alu instid0(VALU_DEP_1)
	v_wmma_f16_16x16x16_f16 v[8:15], v[92:99], v[56:63], v[8:15]
	v_add_nc_u32_e32 v94, 0x200, v181
	v_perm_b32 v92, v108, v100, 0x5040100
	v_perm_b32 v93, v104, v110, 0x5040100
	;; [unrolled: 1-line block ×4, first 2 shown]
	ds_load_2addr_b32 v[127:128], v94 offset0:16 offset1:160
	v_perm_b32 v98, v122, v207, 0x5040100
	v_perm_b32 v99, v193, v125, 0x5040100
	s_waitcnt lgkmcnt(0)
	s_barrier
	buffer_gl0_inv
	v_perm_b32 v94, v112, v127, 0x5040100
	v_perm_b32 v96, v116, v128, 0x5040100
	s_delay_alu instid0(VALU_DEP_1)
	v_wmma_f16_16x16x16_f16 v[0:7], v[92:99], v[56:63], v[0:7]
	v_perm_b32 v92, v101, v139, 0x7060302
	v_perm_b32 v94, v105, v102, 0x7060302
	v_perm_b32 v96, v107, v103, 0x7060302
	v_perm_b32 v98, v121, v208, 0x7060302
	v_perm_b32 v93, v111, v109, 0x7060302
	v_perm_b32 v95, v115, v113, 0x7060302
	v_perm_b32 v97, v119, v117, 0x7060302
	v_perm_b32 v99, v126, v123, 0x7060302
	s_delay_alu instid0(VALU_DEP_1)
	v_wmma_f16_16x16x16_f16 v[8:15], v[92:99], v[56:63], v[8:15] op_sel:[0,0,1]
	v_perm_b32 v92, v108, v100, 0x7060302
	v_perm_b32 v93, v104, v110, 0x7060302
	;; [unrolled: 1-line block ×8, first 2 shown]
	s_delay_alu instid0(VALU_DEP_1) | instskip(SKIP_1) | instid1(VALU_DEP_1)
	v_wmma_f16_16x16x16_f16 v[0:7], v[92:99], v[56:63], v[0:7] op_sel:[0,0,1]
	v_add_f32_e32 v56, v194, v195
	v_add_f32_e32 v56, v196, v56
	s_delay_alu instid0(VALU_DEP_1) | instskip(NEXT) | instid1(VALU_DEP_1)
	v_add_f32_e32 v56, v197, v56
	v_add_f32_e32 v56, v198, v56
	s_delay_alu instid0(VALU_DEP_1) | instskip(NEXT) | instid1(VALU_DEP_1)
	v_add_f32_e32 v56, v199, v56
	v_add_f32_e32 v56, v200, v56
	s_delay_alu instid0(VALU_DEP_1) | instskip(NEXT) | instid1(VALU_DEP_1)
	v_add_f32_e32 v56, v201, v56
	v_add_f32_e32 v48, v48, v56
	s_delay_alu instid0(VALU_DEP_1) | instskip(NEXT) | instid1(VALU_DEP_1)
	v_dual_add_f32 v48, v49, v48 :: v_dual_mov_b32 v49, v146
	v_add_f32_e32 v48, v50, v48
	s_delay_alu instid0(VALU_DEP_1) | instskip(NEXT) | instid1(VALU_DEP_1)
	v_add_f32_e32 v48, v51, v48
	v_add_f32_e32 v48, v52, v48
	s_delay_alu instid0(VALU_DEP_1) | instskip(NEXT) | instid1(VALU_DEP_1)
	v_add_f32_e32 v48, v53, v48
	;; [unrolled: 3-line block ×11, first 2 shown]
	v_fmac_f32_e32 v146, v49, v202
	s_cbranch_vccnz .LBB0_427
.LBB0_428:
	s_lshl_b32 s0, s102, 6
	v_lshlrev_b64 v[48:49], 1, v[90:91]
	s_ashr_i32 s1, s0, 31
	v_lshlrev_b64 v[50:51], 1, v[86:87]
	s_lshl_b64 s[2:3], s[0:1], 1
	v_lshlrev_b64 v[52:53], 1, v[84:85]
	s_add_u32 s2, s14, s2
	s_addc_u32 s3, s15, s3
	v_add_co_u32 v56, s2, s2, v164
	s_delay_alu instid0(VALU_DEP_1) | instskip(SKIP_1) | instid1(VALU_DEP_3)
	v_add_co_ci_u32_e64 v57, null, s3, 0, s2
	v_lshlrev_b64 v[54:55], 1, v[88:89]
	v_add_co_u32 v48, vcc_lo, v56, v48
	s_delay_alu instid0(VALU_DEP_3)
	v_add_co_ci_u32_e32 v49, vcc_lo, v57, v49, vcc_lo
	v_add_co_u32 v50, vcc_lo, v56, v50
	v_add_co_ci_u32_e32 v51, vcc_lo, v57, v51, vcc_lo
	v_add_co_u32 v52, vcc_lo, v56, v52
	;; [unrolled: 2-line block ×3, first 2 shown]
	v_add_co_ci_u32_e32 v55, vcc_lo, v57, v55, vcc_lo
	s_clause 0x3
	global_load_b32 v48, v[48:49], off
	global_load_b32 v49, v[50:51], off
	;; [unrolled: 1-line block ×4, first 2 shown]
	s_mov_b32 s16, 0
	s_mul_hi_u32 s2, s12, s0
	s_mov_b32 s17, s16
	s_mov_b32 s18, s16
	s_mov_b32 s19, s16
	s_mov_b32 s20, s16
	s_mov_b32 s21, s16
	s_mov_b32 s22, s16
	s_mov_b32 s23, s16
	s_delay_alu instid0(SALU_CYCLE_1) | instskip(SKIP_3) | instid1(VALU_DEP_2)
	v_dual_mov_b32 v113, s23 :: v_dual_add_nc_u32 v50, 0, v164
	v_mov_b32_e32 v112, s22
	s_mul_i32 s3, s12, s1
	s_mul_i32 s4, s25, s0
	v_add_nc_u32_e32 v53, v50, v156
	s_add_i32 s3, s2, s3
	s_mul_i32 s2, s12, s0
	s_add_i32 s3, s3, s4
	v_mov_b32_e32 v108, s18
	s_lshl_b64 s[2:3], s[2:3], 2
	v_mov_b32_e32 v106, s16
	s_add_u32 s2, s11, s2
	s_addc_u32 s3, s13, s3
	s_mul_i32 s1, s10, s1
	v_mov_b32_e32 v111, s21
	v_mov_b32_e32 v109, s19
	v_dual_mov_b32 v107, s17 :: v_dual_mov_b32 v110, s20
	s_waitcnt vmcnt(3)
	ds_store_b32 v53, v48 offset:9216
	v_add_nc_u32_e32 v48, v50, v157
	s_waitcnt vmcnt(2)
	ds_store_b32 v48, v49 offset:9216
	v_add_nc_u32_e32 v48, v50, v158
	;; [unrolled: 3-line block ×3, first 2 shown]
	s_waitcnt vmcnt(0)
	ds_store_b32 v48, v52 offset:9216
	v_lshlrev_b64 v[48:49], 2, v[76:77]
	v_lshlrev_b32_e32 v76, 2, v74
	s_delay_alu instid0(VALU_DEP_2) | instskip(NEXT) | instid1(VALU_DEP_3)
	v_add_co_u32 v51, vcc_lo, s2, v48
	v_add_co_ci_u32_e32 v52, vcc_lo, s3, v49, vcc_lo
	v_lshlrev_b64 v[48:49], 2, v[78:79]
	s_delay_alu instid0(VALU_DEP_1) | instskip(NEXT) | instid1(VALU_DEP_2)
	v_add_co_u32 v53, vcc_lo, s2, v48
	v_add_co_ci_u32_e32 v54, vcc_lo, s3, v49, vcc_lo
	v_lshlrev_b64 v[48:49], 2, v[74:75]
	s_delay_alu instid0(VALU_DEP_1) | instskip(NEXT) | instid1(VALU_DEP_2)
	v_add_co_u32 v51, vcc_lo, v51, v48
	v_add_co_ci_u32_e32 v52, vcc_lo, v52, v49, vcc_lo
	v_add_co_u32 v58, vcc_lo, v53, v48
	v_add_co_ci_u32_e32 v59, vcc_lo, v54, v49, vcc_lo
	s_clause 0x1
	global_load_b128 v[54:57], v[51:52], off
	global_load_b128 v[58:61], v[58:59], off
	v_lshlrev_b64 v[51:52], 2, v[80:81]
	v_add3_u32 v53, 0, v159, v76
	s_waitcnt vmcnt(1)
	ds_store_b128 v53, v[54:57]
	v_add_co_u32 v55, vcc_lo, s2, v51
	v_add_co_ci_u32_e32 v56, vcc_lo, s3, v52, vcc_lo
	v_lshlrev_b64 v[51:52], 2, v[82:83]
	v_add3_u32 v54, 0, v161, v76
	s_delay_alu instid0(VALU_DEP_2)
	v_add_co_u32 v57, vcc_lo, s2, v51
	s_waitcnt vmcnt(0)
	ds_store_b128 v54, v[58:61]
	v_add_co_ci_u32_e32 v58, vcc_lo, s3, v52, vcc_lo
	v_add_co_u32 v51, vcc_lo, v55, v48
	v_add_co_ci_u32_e32 v52, vcc_lo, v56, v49, vcc_lo
	v_add_co_u32 v60, vcc_lo, v57, v48
	s_delay_alu instid0(VALU_DEP_4)
	v_add_co_ci_u32_e32 v61, vcc_lo, v58, v49, vcc_lo
	s_clause 0x1
	global_load_b128 v[56:59], v[51:52], off
	global_load_b128 v[60:63], v[60:61], off
	v_add3_u32 v55, 0, v162, v76
	v_add_nc_u32_e32 v51, 0, v152
	v_cmp_lt_i32_e32 vcc_lo, v153, v154
	s_mul_hi_u32 s2, s10, s0
	s_mul_i32 s3, s5, s0
	s_add_i32 s1, s2, s1
	s_mul_i32 s0, s10, s0
	s_add_i32 s1, s1, s3
	v_cmp_eq_u32_e64 s2, 1, v145
	s_lshl_b64 s[0:1], s[0:1], 2
	s_delay_alu instid0(SALU_CYCLE_1)
	s_add_u32 s0, s6, s0
	s_addc_u32 s1, s7, s1
	s_waitcnt vmcnt(1)
	ds_store_b128 v55, v[56:59]
	v_add3_u32 v56, 0, v163, v76
	s_waitcnt vmcnt(0)
	ds_store_b128 v56, v[60:63]
	s_waitcnt lgkmcnt(0)
	s_barrier
	buffer_gl0_inv
	ds_load_b128 v[74:77], v51
	ds_load_b128 v[78:81], v51 offset:16
	ds_load_b128 v[82:85], v51 offset:2304
	;; [unrolled: 1-line block ×7, first 2 shown]
	s_waitcnt lgkmcnt(6)
	v_wmma_f32_16x16x16_f16 v[114:121], v[74:81], v[40:47], v[106:113]
	s_waitcnt lgkmcnt(4)
	v_wmma_f32_16x16x16_f16 v[74:81], v[82:89], v[40:47], v[106:113]
	s_waitcnt lgkmcnt(2)
	v_wmma_f32_16x16x16_f16 v[82:89], v[90:97], v[40:47], v[106:113]
	s_waitcnt lgkmcnt(0)
	v_wmma_f32_16x16x16_f16 v[106:113], v[98:105], v[40:47], v[106:113]
	ds_load_b128 v[40:43], v51 offset:32
	ds_load_b128 v[44:47], v51 offset:48
	s_waitcnt lgkmcnt(0)
	v_wmma_f32_16x16x16_f16 v[114:121], v[40:47], v[16:23], v[114:121]
	ds_load_b128 v[40:43], v51 offset:2336
	ds_load_b128 v[44:47], v51 offset:2352
	s_waitcnt lgkmcnt(0)
	v_wmma_f32_16x16x16_f16 v[74:81], v[40:47], v[16:23], v[74:81]
	ds_load_b128 v[40:43], v51 offset:4640
	ds_load_b128 v[44:47], v51 offset:4656
	s_waitcnt lgkmcnt(0)
	v_wmma_f32_16x16x16_f16 v[82:89], v[40:47], v[16:23], v[82:89]
	ds_load_b128 v[40:43], v51 offset:6944
	ds_load_b128 v[44:47], v51 offset:6960
	s_waitcnt lgkmcnt(0)
	v_wmma_f32_16x16x16_f16 v[106:113], v[40:47], v[16:23], v[106:113]
	ds_load_b128 v[16:19], v51 offset:64
	ds_load_b128 v[20:23], v51 offset:80
	s_waitcnt lgkmcnt(0)
	v_wmma_f32_16x16x16_f16 v[114:121], v[16:23], v[24:31], v[114:121]
	ds_load_b128 v[16:19], v51 offset:2368
	ds_load_b128 v[20:23], v51 offset:2384
	s_waitcnt lgkmcnt(0)
	v_wmma_f32_16x16x16_f16 v[74:81], v[16:23], v[24:31], v[74:81]
	ds_load_b128 v[16:19], v51 offset:4672
	ds_load_b128 v[20:23], v51 offset:4688
	s_waitcnt lgkmcnt(0)
	v_wmma_f32_16x16x16_f16 v[82:89], v[16:23], v[24:31], v[82:89]
	ds_load_b128 v[16:19], v51 offset:6976
	ds_load_b128 v[20:23], v51 offset:6992
	s_waitcnt lgkmcnt(0)
	v_wmma_f32_16x16x16_f16 v[106:113], v[16:23], v[24:31], v[106:113]
	ds_load_b128 v[16:19], v51 offset:96
	ds_load_b128 v[20:23], v51 offset:112
	s_waitcnt lgkmcnt(0)
	v_wmma_f32_16x16x16_f16 v[114:121], v[16:23], v[32:39], v[114:121]
	ds_load_b128 v[16:19], v51 offset:2400
	ds_load_b128 v[20:23], v51 offset:2416
	s_waitcnt lgkmcnt(0)
	v_wmma_f32_16x16x16_f16 v[74:81], v[16:23], v[32:39], v[74:81]
	ds_load_b128 v[16:19], v51 offset:4704
	ds_load_b128 v[20:23], v51 offset:4720
	s_waitcnt lgkmcnt(0)
	v_wmma_f32_16x16x16_f16 v[82:89], v[16:23], v[32:39], v[82:89]
	ds_load_b128 v[16:19], v51 offset:7008
	ds_load_b128 v[20:23], v51 offset:7024
	s_waitcnt lgkmcnt(0)
	s_barrier
	buffer_gl0_inv
	v_wmma_f32_16x16x16_f16 v[106:113], v[16:23], v[32:39], v[106:113]
	v_lshlrev_b32_e32 v16, 1, v145
	s_delay_alu instid0(VALU_DEP_1)
	v_add3_u32 v24, 0, v155, v16
	ds_load_u16 v16, v24 offset:9216
	ds_load_u16 v17, v24 offset:9220
	;; [unrolled: 1-line block ×8, first 2 shown]
	s_waitcnt lgkmcnt(7)
	v_cvt_f32_f16_e32 v16, v16
	s_waitcnt lgkmcnt(6)
	v_cvt_f32_f16_e32 v25, v17
	;; [unrolled: 2-line block ×5, first 2 shown]
	v_dual_add_f32 v17, v114, v16 :: v_dual_add_f32 v16, v115, v25
	ds_load_u16 v25, v24 offset:9248
	ds_load_u16 v26, v24 offset:9252
	;; [unrolled: 1-line block ×8, first 2 shown]
	s_waitcnt lgkmcnt(9)
	v_cvt_f32_f16_e32 v22, v22
	v_cvt_f32_f16_e32 v21, v21
	v_add_f32_e32 v19, v117, v19
	s_waitcnt lgkmcnt(8)
	v_cvt_f32_f16_e32 v23, v23
	s_delay_alu instid0(VALU_DEP_3) | instskip(NEXT) | instid1(VALU_DEP_2)
	v_add_f32_e32 v21, v119, v21
	v_add_f32_e32 v23, v121, v23
	s_waitcnt lgkmcnt(7)
	v_cvt_f32_f16_e32 v25, v25
	s_waitcnt lgkmcnt(6)
	v_cvt_f32_f16_e32 v26, v26
	;; [unrolled: 2-line block ×7, first 2 shown]
	v_add_f32_e32 v47, v76, v27
	s_waitcnt lgkmcnt(0)
	v_cvt_f32_f16_e32 v32, v32
	v_dual_add_f32 v18, v116, v18 :: v_dual_add_f32 v51, v74, v25
	v_dual_add_f32 v20, v118, v20 :: v_dual_add_f32 v43, v80, v31
	v_dual_add_f32 v22, v120, v22 :: v_dual_add_f32 v45, v78, v29
	v_add_f32_e32 v52, v75, v26
	v_add_f32_e32 v46, v77, v28
	;; [unrolled: 1-line block ×4, first 2 shown]
	ds_load_u16 v25, v24 offset:9280
	ds_load_u16 v26, v24 offset:9284
	;; [unrolled: 1-line block ×8, first 2 shown]
	s_waitcnt lgkmcnt(7)
	v_cvt_f32_f16_e32 v25, v25
	s_waitcnt lgkmcnt(6)
	v_cvt_f32_f16_e32 v26, v26
	;; [unrolled: 2-line block ×7, first 2 shown]
	v_dual_add_f32 v40, v82, v25 :: v_dual_add_f32 v41, v83, v26
	v_dual_add_f32 v39, v84, v27 :: v_dual_add_f32 v38, v85, v28
	;; [unrolled: 1-line block ×3, first 2 shown]
	s_delay_alu instid0(VALU_DEP_4)
	v_add_f32_e32 v35, v88, v31
	ds_load_u16 v25, v24 offset:9312
	ds_load_u16 v26, v24 offset:9316
	;; [unrolled: 1-line block ×8, first 2 shown]
	s_waitcnt lgkmcnt(8)
	v_cvt_f32_f16_e32 v32, v32
	s_waitcnt lgkmcnt(7)
	v_cvt_f32_f16_e32 v25, v25
	s_waitcnt lgkmcnt(6)
	v_cvt_f32_f16_e32 v26, v26
	s_waitcnt lgkmcnt(5)
	v_cvt_f32_f16_e32 v27, v27
	s_waitcnt lgkmcnt(4)
	v_cvt_f32_f16_e32 v28, v28
	s_waitcnt lgkmcnt(3)
	v_cvt_f32_f16_e32 v29, v29
	s_waitcnt lgkmcnt(2)
	v_cvt_f32_f16_e32 v57, v30
	s_waitcnt lgkmcnt(1)
	v_cvt_f32_f16_e32 v58, v31
	s_waitcnt lgkmcnt(0)
	v_cvt_f32_f16_e32 v24, v24
	v_add_f32_e32 v34, v89, v32
	v_dual_add_f32 v32, v106, v25 :: v_dual_add_f32 v25, 0x40051340, v16
	s_delay_alu instid0(VALU_DEP_3) | instskip(SKIP_4) | instid1(VALU_DEP_4)
	v_dual_add_f32 v33, v107, v26 :: v_dual_add_f32 v26, v113, v24
	v_add_f32_e32 v24, 0x40051340, v17
	v_add_f32_e32 v30, v109, v28
	v_dual_add_f32 v28, v111, v57 :: v_dual_add_f32 v57, 0x40051340, v19
	v_add_f32_e32 v31, v108, v27
	v_max3_f32 v24, v150, v24, v25
	v_add_f32_e32 v25, 0x40051340, v18
	v_add_f32_e32 v29, v110, v29
	v_add_f32_e32 v27, v112, v58
	s_delay_alu instid0(VALU_DEP_3) | instskip(SKIP_2) | instid1(VALU_DEP_1)
	v_max3_f32 v24, v24, v25, v57
	v_add_f32_e32 v25, 0x40051340, v20
	v_add_f32_e32 v57, 0x40051340, v21
	v_max3_f32 v24, v24, v25, v57
	v_add_f32_e32 v25, 0x40051340, v22
	v_add_f32_e32 v57, 0x40051340, v23
	s_delay_alu instid0(VALU_DEP_1) | instskip(SKIP_2) | instid1(VALU_DEP_1)
	v_max3_f32 v24, v24, v25, v57
	v_add_f32_e32 v25, 0x40051340, v51
	v_add_f32_e32 v57, 0x40051340, v52
	v_max3_f32 v24, v24, v25, v57
	v_add_f32_e32 v25, 0x40051340, v47
	v_add_f32_e32 v57, 0x40051340, v46
	s_delay_alu instid0(VALU_DEP_1) | instskip(SKIP_2) | instid1(VALU_DEP_1)
	;; [unrolled: 7-line block ×6, first 2 shown]
	v_max3_f32 v24, v24, v25, v57
	v_add_f32_e32 v25, 0x40051340, v29
	v_add_f32_e32 v57, 0x40051340, v28
	v_max3_f32 v24, v24, v25, v57
	v_add_f32_e32 v25, 0x40051340, v27
	v_add_f32_e32 v57, 0x40051340, v26
	s_delay_alu instid0(VALU_DEP_1) | instskip(SKIP_1) | instid1(VALU_DEP_1)
	v_max3_f32 v24, v24, v25, v57
	v_cndmask_b32_e32 v25, v151, v153, vcc_lo
	v_lshlrev_b32_e32 v25, 2, v25
	ds_bpermute_b32 v57, v25, v24
	s_waitcnt lgkmcnt(0)
	v_max_f32_e32 v57, v57, v57
	s_delay_alu instid0(VALU_DEP_1) | instskip(NEXT) | instid1(VALU_DEP_1)
	v_max_f32_e32 v24, v24, v57
	v_sub_f32_e32 v21, v21, v24
	v_sub_f32_e32 v17, v17, v24
	;; [unrolled: 1-line block ×7, first 2 shown]
	v_mul_f32_e32 v58, 0x3fb8aa3b, v57
	v_cmp_ngt_f32_e32 vcc_lo, 0xc2ce8ed0, v57
	v_sub_f32_e32 v18, v18, v24
	v_sub_f32_e32 v20, v20, v24
	;; [unrolled: 1-line block ×3, first 2 shown]
	v_fma_f32 v59, 0x3fb8aa3b, v57, -v58
	v_rndne_f32_e32 v60, v58
	v_cmp_ngt_f32_e64 s3, 0xc2ce8ed0, v18
	v_sub_f32_e32 v37, v37, v24
	s_delay_alu instid0(VALU_DEP_4) | instskip(NEXT) | instid1(VALU_DEP_4)
	v_dual_sub_f32 v34, v34, v24 :: v_dual_fmac_f32 v59, 0x32a5705f, v57
	v_sub_f32_e32 v58, v58, v60
	v_sub_f32_e32 v29, v29, v24
	;; [unrolled: 1-line block ×5, first 2 shown]
	v_add_f32_e32 v58, v58, v59
	v_cvt_i32_f32_e32 v59, v60
	v_sub_f32_e32 v36, v36, v24
	v_sub_f32_e32 v32, v32, v24
	v_sub_f32_e32 v30, v30, v24
	v_exp_f32_e32 v58, v58
	v_sub_f32_e32 v28, v28, v24
	v_sub_f32_e32 v26, v26, v24
	s_waitcnt_depctr 0xfff
	v_ldexp_f32 v58, v58, v59
	s_delay_alu instid0(VALU_DEP_1) | instskip(SKIP_1) | instid1(VALU_DEP_2)
	v_cndmask_b32_e32 v58, 0, v58, vcc_lo
	v_cmp_nlt_f32_e32 vcc_lo, 0x42b17218, v57
	v_cndmask_b32_e32 v58, 0x7f800000, v58, vcc_lo
	v_cmp_le_f32_e32 vcc_lo, 0xc1a00000, v57
	s_delay_alu instid0(VALU_DEP_2) | instskip(NEXT) | instid1(VALU_DEP_1)
	v_cndmask_b32_e32 v57, 0, v58, vcc_lo
	v_cvt_f16_f32_e32 v58, v57
	s_delay_alu instid0(VALU_DEP_1)
	v_pk_mul_f16 v8, v58, v8 op_sel_hi:[0,1]
	v_pk_mul_f16 v9, v58, v9 op_sel_hi:[0,1]
	;; [unrolled: 1-line block ×16, first 2 shown]
	v_lshlrev_b64 v[58:59], 2, v[72:73]
	s_delay_alu instid0(VALU_DEP_1) | instskip(NEXT) | instid1(VALU_DEP_2)
	v_add_co_u32 v60, vcc_lo, s0, v58
	v_add_co_ci_u32_e32 v61, vcc_lo, s1, v59, vcc_lo
	v_lshlrev_b64 v[58:59], 2, v[66:67]
	s_delay_alu instid0(VALU_DEP_1) | instskip(NEXT) | instid1(VALU_DEP_2)
	v_add_co_u32 v62, vcc_lo, s0, v58
	v_add_co_ci_u32_e32 v63, vcc_lo, s1, v59, vcc_lo
	v_add_co_u32 v58, vcc_lo, v60, v48
	v_add_co_ci_u32_e32 v59, vcc_lo, v61, v49, vcc_lo
	s_delay_alu instid0(VALU_DEP_4) | instskip(NEXT) | instid1(VALU_DEP_4)
	v_add_co_u32 v62, vcc_lo, v62, v48
	v_add_co_ci_u32_e32 v63, vcc_lo, v63, v49, vcc_lo
	s_clause 0x1
	global_load_b128 v[58:61], v[58:59], off
	global_load_b128 v[72:75], v[62:63], off
	s_waitcnt vmcnt(1)
	ds_store_b128 v53, v[58:61]
	s_waitcnt vmcnt(0)
	ds_store_b128 v54, v[72:75]
	v_lshlrev_b64 v[53:54], 2, v[68:69]
	s_delay_alu instid0(VALU_DEP_1) | instskip(NEXT) | instid1(VALU_DEP_2)
	v_add_co_u32 v58, vcc_lo, s0, v53
	v_add_co_ci_u32_e32 v59, vcc_lo, s1, v54, vcc_lo
	v_lshlrev_b64 v[53:54], 2, v[70:71]
	s_delay_alu instid0(VALU_DEP_1) | instskip(NEXT) | instid1(VALU_DEP_2)
	v_add_co_u32 v60, vcc_lo, s0, v53
	v_add_co_ci_u32_e32 v61, vcc_lo, s1, v54, vcc_lo
	v_add_co_u32 v53, vcc_lo, v58, v48
	v_add_co_ci_u32_e32 v54, vcc_lo, v59, v49, vcc_lo
	s_delay_alu instid0(VALU_DEP_4) | instskip(NEXT) | instid1(VALU_DEP_4)
	v_add_co_u32 v48, vcc_lo, v60, v48
	v_add_co_ci_u32_e32 v49, vcc_lo, v61, v49, vcc_lo
	s_clause 0x1
	global_load_b128 v[58:61], v[53:54], off
	global_load_b128 v[66:69], v[48:49], off
	v_mul_f32_e32 v48, 0x3fb8aa3b, v17
	v_cmp_ngt_f32_e32 vcc_lo, 0xc2ce8ed0, v17
	v_cmp_ngt_f32_e64 s1, 0xc2ce8ed0, v16
	v_cmp_eq_u32_e64 s0, 0, v65
	s_waitcnt vmcnt(1)
	ds_store_b128 v55, v[58:61]
	s_waitcnt vmcnt(0)
	ds_store_b128 v56, v[66:69]
	v_fma_f32 v49, 0x3fb8aa3b, v17, -v48
	v_rndne_f32_e32 v53, v48
	s_waitcnt lgkmcnt(0)
	s_barrier
	buffer_gl0_inv
	v_fmac_f32_e32 v49, 0x32a5705f, v17
	v_sub_f32_e32 v48, v48, v53
	s_delay_alu instid0(VALU_DEP_1) | instskip(SKIP_1) | instid1(VALU_DEP_2)
	v_add_f32_e32 v48, v48, v49
	v_cvt_i32_f32_e32 v49, v53
	v_exp_f32_e32 v48, v48
	s_waitcnt_depctr 0xfff
	v_ldexp_f32 v48, v48, v49
	v_mul_f32_e32 v49, 0x3fb8aa3b, v16
	s_delay_alu instid0(VALU_DEP_2) | instskip(NEXT) | instid1(VALU_DEP_2)
	v_cndmask_b32_e32 v48, 0, v48, vcc_lo
	v_fma_f32 v53, 0x3fb8aa3b, v16, -v49
	v_rndne_f32_e32 v54, v49
	v_cmp_nlt_f32_e32 vcc_lo, 0x42b17218, v17
	s_delay_alu instid0(VALU_DEP_3) | instskip(NEXT) | instid1(VALU_DEP_3)
	v_fmac_f32_e32 v53, 0x32a5705f, v16
	v_dual_sub_f32 v49, v49, v54 :: v_dual_cndmask_b32 v48, 0x7f800000, v48
	v_cmp_eq_u32_e32 vcc_lo, 1, v65
	v_sub_f32_e32 v41, v41, v24
	s_delay_alu instid0(VALU_DEP_3)
	v_add_f32_e32 v49, v49, v53
	v_cvt_i32_f32_e32 v53, v54
	ds_bpermute_b32 v17, v25, v48
	v_exp_f32_e32 v49, v49
	s_waitcnt_depctr 0xfff
	v_ldexp_f32 v49, v49, v53
	s_delay_alu instid0(VALU_DEP_1) | instskip(SKIP_4) | instid1(VALU_DEP_3)
	v_cndmask_b32_e64 v49, 0, v49, s1
	v_cmp_nlt_f32_e64 s1, 0x42b17218, v16
	s_waitcnt lgkmcnt(0)
	v_cndmask_b32_e64 v16, v48, v17, s0
	v_cndmask_b32_e32 v17, v48, v17, vcc_lo
	v_cndmask_b32_e64 v49, 0x7f800000, v49, s1
	v_cmp_eq_u32_e64 s1, 0, v145
	ds_bpermute_b32 v53, v25, v49
	v_cndmask_b32_e64 v54, v16, v49, s1
	v_cndmask_b32_e64 v55, v17, v49, s2
	v_cvt_f16_f32_e32 v16, v16
	v_cvt_f16_f32_e32 v17, v17
	s_delay_alu instid0(VALU_DEP_1) | instskip(SKIP_3) | instid1(VALU_DEP_2)
	v_pack_b32_f16 v16, v16, v17
	s_waitcnt lgkmcnt(0)
	v_cndmask_b32_e64 v54, v54, v53, s0
	v_cndmask_b32_e32 v55, v55, v53, vcc_lo
	v_cvt_f16_f32_e32 v53, v54
	s_delay_alu instid0(VALU_DEP_2) | instskip(NEXT) | instid1(VALU_DEP_1)
	v_cvt_f16_f32_e32 v56, v55
	v_pack_b32_f16 v17, v53, v56
	v_mul_f32_e32 v53, 0x3fb8aa3b, v18
	s_delay_alu instid0(VALU_DEP_1) | instskip(SKIP_1) | instid1(VALU_DEP_2)
	v_fma_f32 v56, 0x3fb8aa3b, v18, -v53
	v_rndne_f32_e32 v58, v53
	v_fmac_f32_e32 v56, 0x32a5705f, v18
	s_delay_alu instid0(VALU_DEP_2) | instskip(NEXT) | instid1(VALU_DEP_1)
	v_sub_f32_e32 v53, v53, v58
	v_add_f32_e32 v53, v53, v56
	v_cvt_i32_f32_e32 v56, v58
	s_delay_alu instid0(VALU_DEP_2) | instskip(SKIP_2) | instid1(VALU_DEP_1)
	v_exp_f32_e32 v53, v53
	s_waitcnt_depctr 0xfff
	v_ldexp_f32 v53, v53, v56
	v_cndmask_b32_e64 v53, 0, v53, s3
	v_cmp_nlt_f32_e64 s3, 0x42b17218, v18
	s_delay_alu instid0(VALU_DEP_1) | instskip(SKIP_1) | instid1(VALU_DEP_2)
	v_cndmask_b32_e64 v53, 0x7f800000, v53, s3
	v_cmp_ngt_f32_e64 s3, 0xc2ce8ed0, v19
	v_cndmask_b32_e64 v18, v54, v53, s1
	v_cndmask_b32_e64 v54, v55, v53, s2
	ds_bpermute_b32 v55, v25, v53
	s_waitcnt lgkmcnt(0)
	v_cndmask_b32_e64 v56, v18, v55, s0
	v_cndmask_b32_e32 v55, v54, v55, vcc_lo
	s_delay_alu instid0(VALU_DEP_2) | instskip(NEXT) | instid1(VALU_DEP_2)
	v_cvt_f16_f32_e32 v18, v56
	v_cvt_f16_f32_e32 v54, v55
	s_delay_alu instid0(VALU_DEP_1) | instskip(SKIP_1) | instid1(VALU_DEP_1)
	v_pack_b32_f16 v18, v18, v54
	v_dual_mul_f32 v54, 0x3fb8aa3b, v19 :: v_dual_sub_f32 v31, v31, v24
	v_fma_f32 v58, 0x3fb8aa3b, v19, -v54
	v_rndne_f32_e32 v59, v54
	s_delay_alu instid0(VALU_DEP_2) | instskip(NEXT) | instid1(VALU_DEP_2)
	v_fmac_f32_e32 v58, 0x32a5705f, v19
	v_sub_f32_e32 v54, v54, v59
	s_delay_alu instid0(VALU_DEP_1) | instskip(SKIP_1) | instid1(VALU_DEP_2)
	v_add_f32_e32 v54, v54, v58
	v_cvt_i32_f32_e32 v58, v59
	v_exp_f32_e32 v54, v54
	s_waitcnt_depctr 0xfff
	v_ldexp_f32 v54, v54, v58
	s_delay_alu instid0(VALU_DEP_1) | instskip(SKIP_1) | instid1(VALU_DEP_1)
	v_cndmask_b32_e64 v54, 0, v54, s3
	v_cmp_nlt_f32_e64 s3, 0x42b17218, v19
	v_cndmask_b32_e64 v54, 0x7f800000, v54, s3
	v_cmp_ngt_f32_e64 s3, 0xc2ce8ed0, v20
	s_delay_alu instid0(VALU_DEP_2) | instskip(SKIP_4) | instid1(VALU_DEP_2)
	v_cndmask_b32_e64 v19, v56, v54, s1
	ds_bpermute_b32 v56, v25, v54
	v_cndmask_b32_e64 v55, v55, v54, s2
	s_waitcnt lgkmcnt(0)
	v_cndmask_b32_e64 v58, v19, v56, s0
	v_cndmask_b32_e32 v56, v55, v56, vcc_lo
	s_delay_alu instid0(VALU_DEP_2) | instskip(NEXT) | instid1(VALU_DEP_2)
	v_cvt_f16_f32_e32 v19, v58
	v_cvt_f16_f32_e32 v55, v56
	s_delay_alu instid0(VALU_DEP_1) | instskip(SKIP_1) | instid1(VALU_DEP_1)
	v_pack_b32_f16 v19, v19, v55
	v_mul_f32_e32 v55, 0x3fb8aa3b, v20
	v_fma_f32 v59, 0x3fb8aa3b, v20, -v55
	v_rndne_f32_e32 v60, v55
	s_delay_alu instid0(VALU_DEP_2) | instskip(NEXT) | instid1(VALU_DEP_2)
	v_fmac_f32_e32 v59, 0x32a5705f, v20
	v_sub_f32_e32 v55, v55, v60
	s_delay_alu instid0(VALU_DEP_1) | instskip(SKIP_1) | instid1(VALU_DEP_2)
	v_add_f32_e32 v55, v55, v59
	v_cvt_i32_f32_e32 v59, v60
	v_exp_f32_e32 v55, v55
	s_waitcnt_depctr 0xfff
	v_ldexp_f32 v55, v55, v59
	s_delay_alu instid0(VALU_DEP_1) | instskip(SKIP_1) | instid1(VALU_DEP_1)
	v_cndmask_b32_e64 v55, 0, v55, s3
	v_cmp_nlt_f32_e64 s3, 0x42b17218, v20
	v_cndmask_b32_e64 v55, 0x7f800000, v55, s3
	v_cmp_ngt_f32_e64 s3, 0xc2ce8ed0, v21
	s_delay_alu instid0(VALU_DEP_2) | instskip(SKIP_4) | instid1(VALU_DEP_2)
	v_cndmask_b32_e64 v20, v58, v55, s1
	ds_bpermute_b32 v58, v25, v55
	v_cndmask_b32_e64 v56, v56, v55, s2
	s_waitcnt lgkmcnt(0)
	v_cndmask_b32_e64 v59, v20, v58, s0
	v_cndmask_b32_e32 v58, v56, v58, vcc_lo
	s_delay_alu instid0(VALU_DEP_2) | instskip(NEXT) | instid1(VALU_DEP_2)
	v_cvt_f16_f32_e32 v20, v59
	v_cvt_f16_f32_e32 v56, v58
	s_delay_alu instid0(VALU_DEP_1) | instskip(SKIP_1) | instid1(VALU_DEP_1)
	v_pack_b32_f16 v20, v20, v56
	v_mul_f32_e32 v56, 0x3fb8aa3b, v21
	v_fma_f32 v60, 0x3fb8aa3b, v21, -v56
	v_rndne_f32_e32 v61, v56
	s_delay_alu instid0(VALU_DEP_2) | instskip(NEXT) | instid1(VALU_DEP_2)
	v_fmac_f32_e32 v60, 0x32a5705f, v21
	v_sub_f32_e32 v56, v56, v61
	s_delay_alu instid0(VALU_DEP_1) | instskip(SKIP_1) | instid1(VALU_DEP_2)
	v_add_f32_e32 v56, v56, v60
	v_cvt_i32_f32_e32 v60, v61
	v_exp_f32_e32 v56, v56
	s_waitcnt_depctr 0xfff
	v_ldexp_f32 v56, v56, v60
	s_delay_alu instid0(VALU_DEP_1) | instskip(SKIP_1) | instid1(VALU_DEP_1)
	v_cndmask_b32_e64 v56, 0, v56, s3
	v_cmp_nlt_f32_e64 s3, 0x42b17218, v21
	v_cndmask_b32_e64 v56, 0x7f800000, v56, s3
	v_cmp_ngt_f32_e64 s3, 0xc2ce8ed0, v22
	v_sub_f32_e32 v33, v33, v24
	s_delay_alu instid0(VALU_DEP_3) | instskip(SKIP_4) | instid1(VALU_DEP_2)
	v_cndmask_b32_e64 v21, v59, v56, s1
	ds_bpermute_b32 v59, v25, v56
	v_cndmask_b32_e64 v58, v58, v56, s2
	s_waitcnt lgkmcnt(0)
	v_cndmask_b32_e64 v60, v21, v59, s0
	v_cndmask_b32_e32 v59, v58, v59, vcc_lo
	s_delay_alu instid0(VALU_DEP_2) | instskip(NEXT) | instid1(VALU_DEP_2)
	v_cvt_f16_f32_e32 v21, v60
	v_cvt_f16_f32_e32 v58, v59
	s_delay_alu instid0(VALU_DEP_1) | instskip(SKIP_1) | instid1(VALU_DEP_1)
	v_pack_b32_f16 v21, v21, v58
	v_mul_f32_e32 v58, 0x3fb8aa3b, v22
	v_fma_f32 v61, 0x3fb8aa3b, v22, -v58
	v_rndne_f32_e32 v62, v58
	s_delay_alu instid0(VALU_DEP_2) | instskip(NEXT) | instid1(VALU_DEP_2)
	v_fmac_f32_e32 v61, 0x32a5705f, v22
	v_sub_f32_e32 v58, v58, v62
	s_delay_alu instid0(VALU_DEP_1) | instskip(SKIP_1) | instid1(VALU_DEP_2)
	v_add_f32_e32 v58, v58, v61
	v_cvt_i32_f32_e32 v61, v62
	v_exp_f32_e32 v58, v58
	s_waitcnt_depctr 0xfff
	v_ldexp_f32 v58, v58, v61
	s_delay_alu instid0(VALU_DEP_1) | instskip(SKIP_1) | instid1(VALU_DEP_1)
	v_cndmask_b32_e64 v58, 0, v58, s3
	v_cmp_nlt_f32_e64 s3, 0x42b17218, v22
	v_cndmask_b32_e64 v58, 0x7f800000, v58, s3
	v_cmp_ngt_f32_e64 s3, 0xc2ce8ed0, v23
	s_delay_alu instid0(VALU_DEP_2) | instskip(SKIP_4) | instid1(VALU_DEP_2)
	v_cndmask_b32_e64 v22, v60, v58, s1
	ds_bpermute_b32 v60, v25, v58
	v_cndmask_b32_e64 v59, v59, v58, s2
	s_waitcnt lgkmcnt(0)
	v_cndmask_b32_e64 v61, v22, v60, s0
	v_cndmask_b32_e32 v60, v59, v60, vcc_lo
	s_delay_alu instid0(VALU_DEP_2) | instskip(NEXT) | instid1(VALU_DEP_2)
	v_cvt_f16_f32_e32 v22, v61
	v_cvt_f16_f32_e32 v59, v60
	s_delay_alu instid0(VALU_DEP_1) | instskip(SKIP_1) | instid1(VALU_DEP_1)
	v_pack_b32_f16 v22, v22, v59
	v_mul_f32_e32 v59, 0x3fb8aa3b, v23
	v_fma_f32 v62, 0x3fb8aa3b, v23, -v59
	v_rndne_f32_e32 v63, v59
	s_delay_alu instid0(VALU_DEP_2) | instskip(NEXT) | instid1(VALU_DEP_2)
	v_fmac_f32_e32 v62, 0x32a5705f, v23
	v_sub_f32_e32 v59, v59, v63
	s_delay_alu instid0(VALU_DEP_1)
	v_add_f32_e32 v59, v59, v62
	v_cvt_i32_f32_e32 v62, v63
	v_lshl_add_u32 v63, v143, 2, 0
	ds_load_2addr_b32 v[74:75], v63 offset1:16
	ds_load_2addr_b32 v[76:77], v63 offset0:36 offset1:52
	ds_load_2addr_b32 v[78:79], v63 offset0:72 offset1:88
	;; [unrolled: 1-line block ×3, first 2 shown]
	v_add_nc_u32_e32 v106, 0x1000, v63
	v_exp_f32_e32 v59, v59
	v_add_nc_u32_e32 v65, 0x200, v63
	v_add_nc_u32_e32 v73, 0x600, v63
	s_waitcnt_depctr 0xfff
	v_ldexp_f32 v59, v59, v62
	v_lshl_add_u32 v62, v148, 2, 0
	v_sub_f32_e32 v35, v35, v24
	s_delay_alu instid0(VALU_DEP_3)
	v_cndmask_b32_e64 v59, 0, v59, s3
	v_cmp_nlt_f32_e64 s3, 0x42b17218, v23
	s_waitcnt lgkmcnt(2)
	v_perm_b32 v66, v76, v74, 0x5040100
	s_waitcnt lgkmcnt(0)
	v_perm_b32 v67, v80, v78, 0x5040100
	v_cndmask_b32_e64 v59, 0x7f800000, v59, s3
	s_delay_alu instid0(VALU_DEP_1) | instskip(SKIP_4) | instid1(VALU_DEP_2)
	v_cndmask_b32_e64 v23, v61, v59, s1
	ds_bpermute_b32 v61, v25, v59
	v_cndmask_b32_e64 v60, v60, v59, s2
	s_waitcnt lgkmcnt(0)
	v_cndmask_b32_e64 v23, v23, v61, s0
	v_cndmask_b32_e32 v60, v60, v61, vcc_lo
	v_lshl_add_u32 v61, v147, 2, 0
	s_delay_alu instid0(VALU_DEP_3) | instskip(NEXT) | instid1(VALU_DEP_3)
	v_cvt_f16_f32_e32 v23, v23
	v_cvt_f16_f32_e32 v60, v60
	s_delay_alu instid0(VALU_DEP_1)
	v_pack_b32_f16 v23, v23, v60
	v_lshl_add_u32 v60, v149, 2, 0
	ds_load_2addr_b32 v[82:83], v60 offset1:16
	ds_load_2addr_b32 v[84:85], v63 offset0:180 offset1:196
	ds_load_2addr_b32 v[86:87], v65 offset0:124 offset1:140
	;; [unrolled: 1-line block ×3, first 2 shown]
	v_add_nc_u32_e32 v65, 0x400, v63
	ds_load_2addr_b32 v[90:91], v62 offset1:16
	ds_load_2addr_b32 v[92:93], v65 offset0:68 offset1:84
	ds_load_2addr_b32 v[94:95], v65 offset0:104 offset1:120
	;; [unrolled: 1-line block ×4, first 2 shown]
	ds_load_2addr_b32 v[100:101], v61 offset1:16
	v_add_nc_u32_e32 v65, 0x800, v63
	ds_load_2addr_b32 v[102:103], v73 offset0:120 offset1:136
	ds_load_2addr_b32 v[104:105], v65 offset0:28 offset1:44
	s_waitcnt lgkmcnt(10)
	v_perm_b32 v68, v84, v82, 0x5040100
	s_waitcnt lgkmcnt(8)
	v_perm_b32 v69, v86, v88, 0x5040100
	s_waitcnt lgkmcnt(6)
	v_perm_b32 v70, v92, v90, 0x5040100
	s_waitcnt lgkmcnt(4)
	v_perm_b32 v71, v96, v94, 0x5040100
	s_waitcnt lgkmcnt(2)
	v_perm_b32 v72, v98, v100, 0x5040100
	s_waitcnt lgkmcnt(0)
	v_perm_b32 v73, v104, v102, 0x5040100
	s_delay_alu instid0(VALU_DEP_1)
	v_wmma_f16_16x16x16_f16 v[8:15], v[66:73], v[16:23], v[8:15]
	v_perm_b32 v66, v77, v75, 0x5040100
	v_perm_b32 v67, v81, v79, 0x5040100
	;; [unrolled: 1-line block ×8, first 2 shown]
	s_delay_alu instid0(VALU_DEP_1)
	v_wmma_f16_16x16x16_f16 v[0:7], v[66:73], v[16:23], v[0:7]
	v_perm_b32 v66, v76, v74, 0x7060302
	v_perm_b32 v67, v80, v78, 0x7060302
	;; [unrolled: 1-line block ×8, first 2 shown]
	v_add_nc_u32_e32 v76, 0xa00, v63
	v_add_nc_u32_e32 v78, 0x800, v62
	s_delay_alu instid0(VALU_DEP_3)
	v_wmma_f16_16x16x16_f16 v[8:15], v[66:73], v[16:23], v[8:15] op_sel:[0,0,1]
	v_perm_b32 v66, v77, v75, 0x7060302
	v_perm_b32 v67, v81, v79, 0x7060302
	v_perm_b32 v68, v85, v83, 0x7060302
	v_perm_b32 v69, v87, v89, 0x7060302
	v_perm_b32 v70, v93, v91, 0x7060302
	v_perm_b32 v71, v97, v95, 0x7060302
	v_perm_b32 v72, v99, v101, 0x7060302
	v_perm_b32 v73, v105, v103, 0x7060302
	s_delay_alu instid0(VALU_DEP_1) | instskip(SKIP_1) | instid1(VALU_DEP_1)
	v_wmma_f16_16x16x16_f16 v[0:7], v[66:73], v[16:23], v[0:7] op_sel:[0,0,1]
	v_sub_f32_e32 v16, v52, v24
	v_mul_f32_e32 v17, 0x3fb8aa3b, v16
	v_cmp_ngt_f32_e64 s3, 0xc2ce8ed0, v16
	s_delay_alu instid0(VALU_DEP_2) | instskip(SKIP_1) | instid1(VALU_DEP_1)
	v_fma_f32 v18, 0x3fb8aa3b, v16, -v17
	v_rndne_f32_e32 v19, v17
	v_dual_fmac_f32 v18, 0x32a5705f, v16 :: v_dual_sub_f32 v17, v17, v19
	v_cvt_i32_f32_e32 v19, v19
	s_delay_alu instid0(VALU_DEP_2) | instskip(NEXT) | instid1(VALU_DEP_1)
	v_dual_add_f32 v17, v17, v18 :: v_dual_sub_f32 v18, v51, v24
	v_exp_f32_e32 v17, v17
	s_delay_alu instid0(VALU_DEP_1) | instskip(SKIP_1) | instid1(VALU_DEP_2)
	v_mul_f32_e32 v20, 0x3fb8aa3b, v18
	v_cmp_ngt_f32_e64 s4, 0xc2ce8ed0, v18
	v_fma_f32 v21, 0x3fb8aa3b, v18, -v20
	v_rndne_f32_e32 v22, v20
	s_waitcnt_depctr 0xfff
	v_ldexp_f32 v17, v17, v19
	v_fmac_f32_e32 v21, 0x32a5705f, v18
	v_sub_f32_e32 v20, v20, v22
	s_delay_alu instid0(VALU_DEP_3) | instskip(SKIP_1) | instid1(VALU_DEP_3)
	v_cndmask_b32_e64 v17, 0, v17, s3
	v_cmp_nlt_f32_e64 s3, 0x42b17218, v16
	v_add_f32_e32 v20, v20, v21
	s_delay_alu instid0(VALU_DEP_2) | instskip(NEXT) | instid1(VALU_DEP_2)
	v_cndmask_b32_e64 v17, 0x7f800000, v17, s3
	v_exp_f32_e32 v19, v20
	v_cvt_i32_f32_e32 v20, v22
	s_waitcnt_depctr 0xfff
	v_ldexp_f32 v19, v19, v20
	ds_bpermute_b32 v20, v25, v17
	v_cndmask_b32_e64 v16, 0, v19, s4
	v_cmp_nlt_f32_e64 s4, 0x42b17218, v18
	s_delay_alu instid0(VALU_DEP_1)
	v_cndmask_b32_e64 v16, 0x7f800000, v16, s4
	v_cmp_ngt_f32_e64 s4, 0xc2ce8ed0, v40
	ds_bpermute_b32 v18, v25, v16
	s_waitcnt lgkmcnt(0)
	v_cndmask_b32_e64 v19, v16, v18, s0
	v_cndmask_b32_e32 v18, v16, v18, vcc_lo
	s_delay_alu instid0(VALU_DEP_2) | instskip(NEXT) | instid1(VALU_DEP_2)
	v_cndmask_b32_e64 v21, v19, v17, s1
	v_cndmask_b32_e64 v22, v18, v17, s2
	v_cvt_f16_f32_e32 v19, v19
	v_cvt_f16_f32_e32 v18, v18
	s_delay_alu instid0(VALU_DEP_4) | instskip(NEXT) | instid1(VALU_DEP_4)
	v_cndmask_b32_e64 v21, v21, v20, s0
	v_cndmask_b32_e32 v20, v22, v20, vcc_lo
	s_delay_alu instid0(VALU_DEP_3) | instskip(SKIP_1) | instid1(VALU_DEP_4)
	v_pack_b32_f16 v66, v19, v18
	v_sub_f32_e32 v18, v47, v24
	v_cvt_f16_f32_e32 v22, v21
	s_delay_alu instid0(VALU_DEP_4) | instskip(NEXT) | instid1(VALU_DEP_3)
	v_cvt_f16_f32_e32 v23, v20
	v_mul_f32_e32 v19, 0x3fb8aa3b, v18
	v_cmp_ngt_f32_e64 s3, 0xc2ce8ed0, v18
	s_delay_alu instid0(VALU_DEP_3) | instskip(NEXT) | instid1(VALU_DEP_3)
	v_pack_b32_f16 v67, v22, v23
	v_fma_f32 v22, 0x3fb8aa3b, v18, -v19
	v_rndne_f32_e32 v23, v19
	s_delay_alu instid0(VALU_DEP_1) | instskip(NEXT) | instid1(VALU_DEP_1)
	v_dual_fmac_f32 v22, 0x32a5705f, v18 :: v_dual_sub_f32 v19, v19, v23
	v_add_f32_e32 v19, v19, v22
	v_cvt_i32_f32_e32 v22, v23
	s_delay_alu instid0(VALU_DEP_2) | instskip(SKIP_2) | instid1(VALU_DEP_1)
	v_exp_f32_e32 v19, v19
	s_waitcnt_depctr 0xfff
	v_ldexp_f32 v19, v19, v22
	v_cndmask_b32_e64 v19, 0, v19, s3
	v_cmp_nlt_f32_e64 s3, 0x42b17218, v18
	s_delay_alu instid0(VALU_DEP_1) | instskip(NEXT) | instid1(VALU_DEP_1)
	v_cndmask_b32_e64 v18, 0x7f800000, v19, s3
	v_cndmask_b32_e64 v19, v21, v18, s1
	ds_bpermute_b32 v21, v25, v18
	v_cndmask_b32_e64 v20, v20, v18, s2
	s_waitcnt lgkmcnt(0)
	v_cndmask_b32_e64 v22, v19, v21, s0
	s_delay_alu instid0(VALU_DEP_2) | instskip(NEXT) | instid1(VALU_DEP_2)
	v_cndmask_b32_e32 v20, v20, v21, vcc_lo
	v_cvt_f16_f32_e32 v19, v22
	s_delay_alu instid0(VALU_DEP_2) | instskip(NEXT) | instid1(VALU_DEP_1)
	v_cvt_f16_f32_e32 v21, v20
	v_pack_b32_f16 v68, v19, v21
	v_sub_f32_e32 v19, v46, v24
	s_delay_alu instid0(VALU_DEP_1) | instskip(SKIP_1) | instid1(VALU_DEP_2)
	v_mul_f32_e32 v21, 0x3fb8aa3b, v19
	v_cmp_ngt_f32_e64 s3, 0xc2ce8ed0, v19
	v_fma_f32 v23, 0x3fb8aa3b, v19, -v21
	v_rndne_f32_e32 v46, v21
	s_delay_alu instid0(VALU_DEP_2) | instskip(NEXT) | instid1(VALU_DEP_2)
	v_fmac_f32_e32 v23, 0x32a5705f, v19
	v_sub_f32_e32 v21, v21, v46
	s_delay_alu instid0(VALU_DEP_1) | instskip(SKIP_1) | instid1(VALU_DEP_2)
	v_add_f32_e32 v21, v21, v23
	v_cvt_i32_f32_e32 v23, v46
	v_exp_f32_e32 v21, v21
	s_waitcnt_depctr 0xfff
	v_ldexp_f32 v21, v21, v23
	s_delay_alu instid0(VALU_DEP_1) | instskip(SKIP_1) | instid1(VALU_DEP_1)
	v_cndmask_b32_e64 v21, 0, v21, s3
	v_cmp_nlt_f32_e64 s3, 0x42b17218, v19
	v_cndmask_b32_e64 v19, 0x7f800000, v21, s3
	s_delay_alu instid0(VALU_DEP_1) | instskip(SKIP_4) | instid1(VALU_DEP_2)
	v_cndmask_b32_e64 v21, v22, v19, s1
	ds_bpermute_b32 v22, v25, v19
	v_cndmask_b32_e64 v20, v20, v19, s2
	s_waitcnt lgkmcnt(0)
	v_cndmask_b32_e64 v21, v21, v22, s0
	v_cndmask_b32_e32 v22, v20, v22, vcc_lo
	s_delay_alu instid0(VALU_DEP_2) | instskip(NEXT) | instid1(VALU_DEP_2)
	v_cvt_f16_f32_e32 v20, v21
	v_cvt_f16_f32_e32 v23, v22
	s_delay_alu instid0(VALU_DEP_1) | instskip(SKIP_1) | instid1(VALU_DEP_1)
	v_pack_b32_f16 v69, v20, v23
	v_sub_f32_e32 v20, v45, v24
	v_mul_f32_e32 v23, 0x3fb8aa3b, v20
	v_cmp_ngt_f32_e64 s3, 0xc2ce8ed0, v20
	s_delay_alu instid0(VALU_DEP_2) | instskip(SKIP_1) | instid1(VALU_DEP_2)
	v_fma_f32 v45, 0x3fb8aa3b, v20, -v23
	v_rndne_f32_e32 v46, v23
	v_fmac_f32_e32 v45, 0x32a5705f, v20
	s_delay_alu instid0(VALU_DEP_2) | instskip(NEXT) | instid1(VALU_DEP_1)
	v_sub_f32_e32 v23, v23, v46
	v_add_f32_e32 v23, v23, v45
	v_cvt_i32_f32_e32 v45, v46
	s_delay_alu instid0(VALU_DEP_2) | instskip(SKIP_2) | instid1(VALU_DEP_1)
	v_exp_f32_e32 v23, v23
	s_waitcnt_depctr 0xfff
	v_ldexp_f32 v23, v23, v45
	v_cndmask_b32_e64 v23, 0, v23, s3
	v_cmp_nlt_f32_e64 s3, 0x42b17218, v20
	s_delay_alu instid0(VALU_DEP_1) | instskip(SKIP_4) | instid1(VALU_DEP_2)
	v_cndmask_b32_e64 v20, 0x7f800000, v23, s3
	ds_bpermute_b32 v23, v25, v20
	v_cndmask_b32_e64 v21, v21, v20, s1
	v_cndmask_b32_e64 v22, v22, v20, s2
	s_waitcnt lgkmcnt(0)
	v_cndmask_b32_e64 v45, v21, v23, s0
	s_delay_alu instid0(VALU_DEP_2) | instskip(NEXT) | instid1(VALU_DEP_2)
	v_cndmask_b32_e32 v22, v22, v23, vcc_lo
	v_cvt_f16_f32_e32 v21, v45
	s_delay_alu instid0(VALU_DEP_2) | instskip(NEXT) | instid1(VALU_DEP_1)
	v_cvt_f16_f32_e32 v23, v22
	v_pack_b32_f16 v70, v21, v23
	v_sub_f32_e32 v21, v44, v24
	s_delay_alu instid0(VALU_DEP_1) | instskip(SKIP_1) | instid1(VALU_DEP_2)
	v_mul_f32_e32 v23, 0x3fb8aa3b, v21
	v_cmp_ngt_f32_e64 s3, 0xc2ce8ed0, v21
	v_fma_f32 v44, 0x3fb8aa3b, v21, -v23
	v_rndne_f32_e32 v46, v23
	s_delay_alu instid0(VALU_DEP_1) | instskip(NEXT) | instid1(VALU_DEP_1)
	v_dual_fmac_f32 v44, 0x32a5705f, v21 :: v_dual_sub_f32 v23, v23, v46
	v_add_f32_e32 v23, v23, v44
	v_cvt_i32_f32_e32 v44, v46
	s_delay_alu instid0(VALU_DEP_2) | instskip(SKIP_2) | instid1(VALU_DEP_1)
	v_exp_f32_e32 v23, v23
	s_waitcnt_depctr 0xfff
	v_ldexp_f32 v23, v23, v44
	v_cndmask_b32_e64 v23, 0, v23, s3
	v_cmp_nlt_f32_e64 s3, 0x42b17218, v21
	s_delay_alu instid0(VALU_DEP_1) | instskip(SKIP_4) | instid1(VALU_DEP_2)
	v_cndmask_b32_e64 v21, 0x7f800000, v23, s3
	ds_bpermute_b32 v44, v25, v21
	v_cndmask_b32_e64 v23, v45, v21, s1
	v_cndmask_b32_e64 v22, v22, v21, s2
	s_waitcnt lgkmcnt(0)
	v_cndmask_b32_e64 v23, v23, v44, s0
	s_delay_alu instid0(VALU_DEP_2) | instskip(NEXT) | instid1(VALU_DEP_2)
	v_cndmask_b32_e32 v44, v22, v44, vcc_lo
	v_cvt_f16_f32_e32 v22, v23
	s_delay_alu instid0(VALU_DEP_2) | instskip(NEXT) | instid1(VALU_DEP_1)
	v_cvt_f16_f32_e32 v45, v44
	v_pack_b32_f16 v71, v22, v45
	v_sub_f32_e32 v22, v43, v24
	s_delay_alu instid0(VALU_DEP_1) | instskip(SKIP_1) | instid1(VALU_DEP_2)
	v_mul_f32_e32 v43, 0x3fb8aa3b, v22
	v_cmp_ngt_f32_e64 s3, 0xc2ce8ed0, v22
	v_fma_f32 v45, 0x3fb8aa3b, v22, -v43
	v_rndne_f32_e32 v46, v43
	s_delay_alu instid0(VALU_DEP_2) | instskip(NEXT) | instid1(VALU_DEP_2)
	v_fmac_f32_e32 v45, 0x32a5705f, v22
	v_sub_f32_e32 v43, v43, v46
	s_delay_alu instid0(VALU_DEP_1) | instskip(SKIP_1) | instid1(VALU_DEP_2)
	v_add_f32_e32 v43, v43, v45
	v_cvt_i32_f32_e32 v45, v46
	v_exp_f32_e32 v43, v43
	s_waitcnt_depctr 0xfff
	v_ldexp_f32 v43, v43, v45
	s_delay_alu instid0(VALU_DEP_1) | instskip(SKIP_1) | instid1(VALU_DEP_1)
	v_cndmask_b32_e64 v43, 0, v43, s3
	v_cmp_nlt_f32_e64 s3, 0x42b17218, v22
	v_cndmask_b32_e64 v22, 0x7f800000, v43, s3
	s_delay_alu instid0(VALU_DEP_1) | instskip(SKIP_3) | instid1(VALU_DEP_1)
	v_cndmask_b32_e64 v43, v44, v22, s2
	ds_bpermute_b32 v44, v25, v22
	v_cndmask_b32_e64 v23, v23, v22, s1
	s_waitcnt lgkmcnt(0)
	v_cndmask_b32_e64 v45, v23, v44, s0
	v_cndmask_b32_e32 v43, v43, v44, vcc_lo
	s_delay_alu instid0(VALU_DEP_2) | instskip(NEXT) | instid1(VALU_DEP_2)
	v_cvt_f16_f32_e32 v23, v45
	v_cvt_f16_f32_e32 v44, v43
	s_delay_alu instid0(VALU_DEP_1) | instskip(SKIP_1) | instid1(VALU_DEP_1)
	v_pack_b32_f16 v72, v23, v44
	v_sub_f32_e32 v23, v42, v24
	v_mul_f32_e32 v42, 0x3fb8aa3b, v23
	v_cmp_ngt_f32_e64 s3, 0xc2ce8ed0, v23
	s_delay_alu instid0(VALU_DEP_2) | instskip(SKIP_1) | instid1(VALU_DEP_2)
	v_fma_f32 v44, 0x3fb8aa3b, v23, -v42
	v_rndne_f32_e32 v46, v42
	v_fmac_f32_e32 v44, 0x32a5705f, v23
	s_delay_alu instid0(VALU_DEP_2) | instskip(NEXT) | instid1(VALU_DEP_1)
	v_sub_f32_e32 v42, v42, v46
	v_add_f32_e32 v42, v42, v44
	v_cvt_i32_f32_e32 v44, v46
	s_delay_alu instid0(VALU_DEP_2) | instskip(SKIP_2) | instid1(VALU_DEP_1)
	v_exp_f32_e32 v42, v42
	s_waitcnt_depctr 0xfff
	v_ldexp_f32 v42, v42, v44
	v_cndmask_b32_e64 v42, 0, v42, s3
	v_cmp_nlt_f32_e64 s3, 0x42b17218, v23
	s_delay_alu instid0(VALU_DEP_1)
	v_cndmask_b32_e64 v23, 0x7f800000, v42, s3
	v_cmp_ngt_f32_e64 s3, 0xc2ce8ed0, v41
	ds_bpermute_b32 v44, v25, v23
	v_cndmask_b32_e64 v42, v45, v23, s1
	v_cndmask_b32_e64 v43, v43, v23, s2
	s_waitcnt lgkmcnt(0)
	s_delay_alu instid0(VALU_DEP_2) | instskip(NEXT) | instid1(VALU_DEP_2)
	v_cndmask_b32_e64 v42, v42, v44, s0
	v_cndmask_b32_e32 v43, v43, v44, vcc_lo
	s_delay_alu instid0(VALU_DEP_2) | instskip(NEXT) | instid1(VALU_DEP_2)
	v_cvt_f16_f32_e32 v42, v42
	v_cvt_f16_f32_e32 v43, v43
	s_delay_alu instid0(VALU_DEP_1)
	v_pack_b32_f16 v73, v42, v43
	ds_load_2addr_b32 v[42:43], v65 offset0:64 offset1:80
	ds_load_2addr_b32 v[44:45], v65 offset0:100 offset1:116
	;; [unrolled: 1-line block ×4, first 2 shown]
	v_add_nc_u32_e32 v65, 0x800, v60
	ds_load_2addr_b32 v[82:83], v65 offset0:64 offset1:80
	ds_load_2addr_b32 v[84:85], v76 offset0:116 offset1:132
	v_add_nc_u32_e32 v65, 0xc00, v63
	ds_load_2addr_b32 v[86:87], v65 offset0:24 offset1:40
	ds_load_2addr_b32 v[88:89], v65 offset0:60 offset1:76
	;; [unrolled: 1-line block ×6, first 2 shown]
	v_add_nc_u32_e32 v65, 0x800, v61
	ds_load_2addr_b32 v[98:99], v65 offset0:64 offset1:80
	ds_load_2addr_b32 v[100:101], v106 offset0:20 offset1:36
	;; [unrolled: 1-line block ×4, first 2 shown]
	s_waitcnt lgkmcnt(14)
	v_perm_b32 v74, v44, v42, 0x5040100
	s_waitcnt lgkmcnt(12)
	v_perm_b32 v75, v51, v46, 0x5040100
	;; [unrolled: 2-line block ×8, first 2 shown]
	s_delay_alu instid0(VALU_DEP_1)
	v_wmma_f16_16x16x16_f16 v[8:15], v[74:81], v[66:73], v[8:15]
	v_perm_b32 v74, v44, v42, 0x7060302
	v_perm_b32 v75, v51, v46, 0x7060302
	;; [unrolled: 1-line block ×8, first 2 shown]
	v_mul_f32_e32 v42, 0x3fb8aa3b, v41
	s_delay_alu instid0(VALU_DEP_2)
	v_wmma_f16_16x16x16_f16 v[8:15], v[74:81], v[66:73], v[8:15] op_sel:[0,0,1]
	v_perm_b32 v74, v45, v43, 0x5040100
	v_perm_b32 v75, v52, v47, 0x5040100
	;; [unrolled: 1-line block ×8, first 2 shown]
	v_rndne_f32_e32 v44, v42
	s_delay_alu instid0(VALU_DEP_2) | instskip(SKIP_2) | instid1(VALU_DEP_4)
	v_wmma_f16_16x16x16_f16 v[0:7], v[74:81], v[66:73], v[0:7]
	v_perm_b32 v74, v45, v43, 0x7060302
	v_fma_f32 v43, 0x3fb8aa3b, v41, -v42
	v_sub_f32_e32 v42, v42, v44
	v_cvt_i32_f32_e32 v44, v44
	v_perm_b32 v75, v52, v47, 0x7060302
	v_perm_b32 v76, v85, v83, 0x7060302
	v_fmac_f32_e32 v43, 0x32a5705f, v41
	v_perm_b32 v77, v89, v87, 0x7060302
	v_perm_b32 v78, v93, v91, 0x7060302
	;; [unrolled: 1-line block ×4, first 2 shown]
	v_dual_add_f32 v42, v42, v43 :: v_dual_mul_f32 v43, 0x3fb8aa3b, v40
	v_perm_b32 v81, v105, v103, 0x7060302
	v_add_nc_u32_e32 v105, 0x1800, v63
	s_delay_alu instid0(VALU_DEP_3) | instskip(NEXT) | instid1(VALU_DEP_3)
	v_exp_f32_e32 v42, v42
	v_fma_f32 v45, 0x3fb8aa3b, v40, -v43
	v_rndne_f32_e32 v46, v43
	v_wmma_f16_16x16x16_f16 v[0:7], v[74:81], v[66:73], v[0:7] op_sel:[0,0,1]
	v_add_nc_u32_e32 v78, 0x1400, v63
	v_add_nc_u32_e32 v77, 0x1000, v62
	v_fmac_f32_e32 v45, 0x32a5705f, v40
	v_sub_f32_e32 v43, v43, v46
	v_add_nc_u32_e32 v79, 0x1000, v61
	s_delay_alu instid0(TRANS32_DEP_1) | instskip(SKIP_1) | instid1(VALU_DEP_4)
	v_ldexp_f32 v42, v42, v44
	v_cvt_i32_f32_e32 v44, v46
	v_add_f32_e32 v43, v43, v45
	s_delay_alu instid0(VALU_DEP_3) | instskip(SKIP_1) | instid1(VALU_DEP_3)
	v_cndmask_b32_e64 v42, 0, v42, s3
	v_cmp_nlt_f32_e64 s3, 0x42b17218, v41
	v_exp_f32_e32 v43, v43
	s_waitcnt_depctr 0xfff
	v_ldexp_f32 v43, v43, v44
	s_delay_alu instid0(VALU_DEP_1) | instskip(SKIP_1) | instid1(VALU_DEP_1)
	v_cndmask_b32_e64 v41, 0, v43, s4
	v_cmp_nlt_f32_e64 s4, 0x42b17218, v40
	v_cndmask_b32_e64 v40, 0x7f800000, v41, s4
	v_cndmask_b32_e64 v41, 0x7f800000, v42, s3
	v_cmp_ngt_f32_e64 s3, 0xc2ce8ed0, v39
	v_cmp_ngt_f32_e64 s4, 0xc2ce8ed0, v32
	ds_bpermute_b32 v42, v25, v40
	ds_bpermute_b32 v44, v25, v41
	s_waitcnt lgkmcnt(1)
	v_cndmask_b32_e64 v43, v40, v42, s0
	v_cndmask_b32_e32 v42, v40, v42, vcc_lo
	s_delay_alu instid0(VALU_DEP_2) | instskip(NEXT) | instid1(VALU_DEP_2)
	v_cndmask_b32_e64 v45, v43, v41, s1
	v_cndmask_b32_e64 v46, v42, v41, s2
	v_cvt_f16_f32_e32 v43, v43
	v_cvt_f16_f32_e32 v42, v42
	s_waitcnt lgkmcnt(0)
	v_cndmask_b32_e64 v45, v45, v44, s0
	v_cndmask_b32_e32 v44, v46, v44, vcc_lo
	s_delay_alu instid0(VALU_DEP_3) | instskip(SKIP_1) | instid1(VALU_DEP_4)
	v_pack_b32_f16 v65, v43, v42
	v_mul_f32_e32 v42, 0x3fb8aa3b, v39
	v_cvt_f16_f32_e32 v46, v45
	s_delay_alu instid0(VALU_DEP_4) | instskip(NEXT) | instid1(VALU_DEP_3)
	v_cvt_f16_f32_e32 v47, v44
	v_fma_f32 v43, 0x3fb8aa3b, v39, -v42
	s_delay_alu instid0(VALU_DEP_2) | instskip(SKIP_1) | instid1(VALU_DEP_1)
	v_pack_b32_f16 v66, v46, v47
	v_rndne_f32_e32 v46, v42
	v_dual_fmac_f32 v43, 0x32a5705f, v39 :: v_dual_sub_f32 v42, v42, v46
	s_delay_alu instid0(VALU_DEP_1) | instskip(SKIP_1) | instid1(VALU_DEP_2)
	v_add_f32_e32 v42, v42, v43
	v_cvt_i32_f32_e32 v43, v46
	v_exp_f32_e32 v42, v42
	s_waitcnt_depctr 0xfff
	v_ldexp_f32 v42, v42, v43
	s_delay_alu instid0(VALU_DEP_1) | instskip(SKIP_1) | instid1(VALU_DEP_1)
	v_cndmask_b32_e64 v42, 0, v42, s3
	v_cmp_nlt_f32_e64 s3, 0x42b17218, v39
	v_cndmask_b32_e64 v39, 0x7f800000, v42, s3
	v_cmp_ngt_f32_e64 s3, 0xc2ce8ed0, v38
	s_delay_alu instid0(VALU_DEP_2) | instskip(SKIP_3) | instid1(VALU_DEP_1)
	v_cndmask_b32_e64 v43, v44, v39, s2
	ds_bpermute_b32 v44, v25, v39
	v_cndmask_b32_e64 v42, v45, v39, s1
	s_waitcnt lgkmcnt(0)
	v_cndmask_b32_e64 v42, v42, v44, s0
	v_cndmask_b32_e32 v43, v43, v44, vcc_lo
	s_delay_alu instid0(VALU_DEP_2) | instskip(NEXT) | instid1(VALU_DEP_2)
	v_cvt_f16_f32_e32 v44, v42
	v_cvt_f16_f32_e32 v45, v43
	s_delay_alu instid0(VALU_DEP_1) | instskip(SKIP_1) | instid1(VALU_DEP_1)
	v_pack_b32_f16 v67, v44, v45
	v_mul_f32_e32 v44, 0x3fb8aa3b, v38
	v_fma_f32 v45, 0x3fb8aa3b, v38, -v44
	v_rndne_f32_e32 v46, v44
	s_delay_alu instid0(VALU_DEP_2) | instskip(NEXT) | instid1(VALU_DEP_2)
	v_fmac_f32_e32 v45, 0x32a5705f, v38
	v_sub_f32_e32 v44, v44, v46
	s_delay_alu instid0(VALU_DEP_1) | instskip(SKIP_1) | instid1(VALU_DEP_2)
	v_add_f32_e32 v44, v44, v45
	v_cvt_i32_f32_e32 v45, v46
	v_exp_f32_e32 v44, v44
	s_waitcnt_depctr 0xfff
	v_ldexp_f32 v44, v44, v45
	s_delay_alu instid0(VALU_DEP_1) | instskip(SKIP_1) | instid1(VALU_DEP_1)
	v_cndmask_b32_e64 v44, 0, v44, s3
	v_cmp_nlt_f32_e64 s3, 0x42b17218, v38
	v_cndmask_b32_e64 v38, 0x7f800000, v44, s3
	v_cmp_ngt_f32_e64 s3, 0xc2ce8ed0, v37
	ds_bpermute_b32 v44, v25, v38
	v_cndmask_b32_e64 v42, v42, v38, s1
	v_cndmask_b32_e64 v43, v43, v38, s2
	s_waitcnt lgkmcnt(0)
	s_delay_alu instid0(VALU_DEP_2) | instskip(NEXT) | instid1(VALU_DEP_2)
	v_cndmask_b32_e64 v42, v42, v44, s0
	v_cndmask_b32_e32 v43, v43, v44, vcc_lo
	s_delay_alu instid0(VALU_DEP_2) | instskip(NEXT) | instid1(VALU_DEP_2)
	v_cvt_f16_f32_e32 v44, v42
	v_cvt_f16_f32_e32 v45, v43
	s_delay_alu instid0(VALU_DEP_1) | instskip(SKIP_1) | instid1(VALU_DEP_1)
	v_pack_b32_f16 v68, v44, v45
	v_mul_f32_e32 v44, 0x3fb8aa3b, v37
	v_fma_f32 v45, 0x3fb8aa3b, v37, -v44
	v_rndne_f32_e32 v46, v44
	s_delay_alu instid0(VALU_DEP_1) | instskip(NEXT) | instid1(VALU_DEP_1)
	v_dual_fmac_f32 v45, 0x32a5705f, v37 :: v_dual_sub_f32 v44, v44, v46
	v_add_f32_e32 v44, v44, v45
	v_cvt_i32_f32_e32 v45, v46
	v_add_nc_u32_e32 v46, 0x1000, v60
	s_delay_alu instid0(VALU_DEP_3) | instskip(SKIP_2) | instid1(VALU_DEP_1)
	v_exp_f32_e32 v44, v44
	s_waitcnt_depctr 0xfff
	v_ldexp_f32 v44, v44, v45
	v_cndmask_b32_e64 v44, 0, v44, s3
	v_cmp_nlt_f32_e64 s3, 0x42b17218, v37
	s_delay_alu instid0(VALU_DEP_1) | instskip(SKIP_1) | instid1(VALU_DEP_2)
	v_cndmask_b32_e64 v101, 0x7f800000, v44, s3
	v_cmp_ngt_f32_e64 s3, 0xc2ce8ed0, v36
	v_cndmask_b32_e64 v37, v42, v101, s1
	v_cndmask_b32_e64 v42, v43, v101, s2
	ds_bpermute_b32 v43, v25, v101
	s_waitcnt lgkmcnt(0)
	v_cndmask_b32_e64 v37, v37, v43, s0
	v_cndmask_b32_e32 v42, v42, v43, vcc_lo
	s_delay_alu instid0(VALU_DEP_2) | instskip(NEXT) | instid1(VALU_DEP_2)
	v_cvt_f16_f32_e32 v43, v37
	v_cvt_f16_f32_e32 v44, v42
	s_delay_alu instid0(VALU_DEP_1) | instskip(SKIP_1) | instid1(VALU_DEP_1)
	v_pack_b32_f16 v69, v43, v44
	v_mul_f32_e32 v43, 0x3fb8aa3b, v36
	v_fma_f32 v44, 0x3fb8aa3b, v36, -v43
	v_rndne_f32_e32 v45, v43
	s_delay_alu instid0(VALU_DEP_1) | instskip(NEXT) | instid1(VALU_DEP_1)
	v_dual_fmac_f32 v44, 0x32a5705f, v36 :: v_dual_sub_f32 v43, v43, v45
	v_add_f32_e32 v43, v43, v44
	v_cvt_i32_f32_e32 v44, v45
	s_delay_alu instid0(VALU_DEP_2) | instskip(SKIP_2) | instid1(VALU_DEP_1)
	v_exp_f32_e32 v43, v43
	s_waitcnt_depctr 0xfff
	v_ldexp_f32 v43, v43, v44
	v_cndmask_b32_e64 v43, 0, v43, s3
	v_cmp_nlt_f32_e64 s3, 0x42b17218, v36
	s_delay_alu instid0(VALU_DEP_1) | instskip(SKIP_1) | instid1(VALU_DEP_2)
	v_cndmask_b32_e64 v102, 0x7f800000, v43, s3
	v_cmp_ngt_f32_e64 s3, 0xc2ce8ed0, v35
	v_cndmask_b32_e64 v36, v37, v102, s1
	v_cndmask_b32_e64 v37, v42, v102, s2
	ds_bpermute_b32 v42, v25, v102
	s_waitcnt lgkmcnt(0)
	v_cndmask_b32_e64 v36, v36, v42, s0
	v_cndmask_b32_e32 v37, v37, v42, vcc_lo
	s_delay_alu instid0(VALU_DEP_2) | instskip(NEXT) | instid1(VALU_DEP_2)
	v_cvt_f16_f32_e32 v42, v36
	v_cvt_f16_f32_e32 v43, v37
	s_delay_alu instid0(VALU_DEP_1) | instskip(SKIP_1) | instid1(VALU_DEP_1)
	v_pack_b32_f16 v70, v42, v43
	v_mul_f32_e32 v42, 0x3fb8aa3b, v35
	v_fma_f32 v43, 0x3fb8aa3b, v35, -v42
	v_rndne_f32_e32 v44, v42
	s_delay_alu instid0(VALU_DEP_1) | instskip(NEXT) | instid1(VALU_DEP_1)
	v_dual_fmac_f32 v43, 0x32a5705f, v35 :: v_dual_sub_f32 v42, v42, v44
	v_add_f32_e32 v42, v42, v43
	v_cvt_i32_f32_e32 v43, v44
	s_delay_alu instid0(VALU_DEP_2) | instskip(SKIP_2) | instid1(VALU_DEP_1)
	v_exp_f32_e32 v42, v42
	s_waitcnt_depctr 0xfff
	v_ldexp_f32 v42, v42, v43
	v_cndmask_b32_e64 v42, 0, v42, s3
	v_cmp_nlt_f32_e64 s3, 0x42b17218, v35
	s_delay_alu instid0(VALU_DEP_1) | instskip(NEXT) | instid1(VALU_DEP_1)
	v_cndmask_b32_e64 v103, 0x7f800000, v42, s3
	v_cndmask_b32_e64 v35, v36, v103, s1
	;; [unrolled: 1-line block ×3, first 2 shown]
	ds_bpermute_b32 v37, v25, v103
	s_waitcnt lgkmcnt(0)
	v_cndmask_b32_e64 v35, v35, v37, s0
	v_cndmask_b32_e32 v36, v36, v37, vcc_lo
	s_delay_alu instid0(VALU_DEP_2) | instskip(NEXT) | instid1(VALU_DEP_2)
	v_cvt_f16_f32_e32 v37, v35
	v_cvt_f16_f32_e32 v42, v36
	s_delay_alu instid0(VALU_DEP_1) | instskip(SKIP_1) | instid1(VALU_DEP_1)
	v_pack_b32_f16 v71, v37, v42
	v_mul_f32_e32 v37, 0x3fb8aa3b, v34
	v_fma_f32 v42, 0x3fb8aa3b, v34, -v37
	v_rndne_f32_e32 v43, v37
	s_delay_alu instid0(VALU_DEP_1) | instskip(SKIP_1) | instid1(VALU_DEP_2)
	v_dual_sub_f32 v37, v37, v43 :: v_dual_fmac_f32 v42, 0x32a5705f, v34
	v_cmp_ngt_f32_e64 s3, 0xc2ce8ed0, v34
	v_add_f32_e32 v37, v37, v42
	v_cvt_i32_f32_e32 v42, v43
	s_delay_alu instid0(VALU_DEP_2) | instskip(SKIP_2) | instid1(VALU_DEP_1)
	v_exp_f32_e32 v37, v37
	s_waitcnt_depctr 0xfff
	v_ldexp_f32 v37, v37, v42
	v_cndmask_b32_e64 v37, 0, v37, s3
	v_cmp_nlt_f32_e64 s3, 0x42b17218, v34
	s_delay_alu instid0(VALU_DEP_1) | instskip(SKIP_1) | instid1(VALU_DEP_2)
	v_cndmask_b32_e64 v104, 0x7f800000, v37, s3
	v_cmp_ngt_f32_e64 s3, 0xc2ce8ed0, v33
	v_cndmask_b32_e64 v34, v35, v104, s1
	v_cndmask_b32_e64 v35, v36, v104, s2
	ds_bpermute_b32 v36, v25, v104
	s_waitcnt lgkmcnt(0)
	v_cndmask_b32_e64 v34, v34, v36, s0
	v_cndmask_b32_e32 v35, v35, v36, vcc_lo
	s_delay_alu instid0(VALU_DEP_2) | instskip(NEXT) | instid1(VALU_DEP_2)
	v_cvt_f16_f32_e32 v34, v34
	v_cvt_f16_f32_e32 v35, v35
	s_delay_alu instid0(VALU_DEP_1)
	v_pack_b32_f16 v72, v34, v35
	ds_load_2addr_b32 v[34:35], v106 offset0:128 offset1:144
	ds_load_2addr_b32 v[36:37], v106 offset0:164 offset1:180
	;; [unrolled: 1-line block ×16, first 2 shown]
	s_waitcnt lgkmcnt(14)
	v_perm_b32 v73, v36, v34, 0x5040100
	s_waitcnt lgkmcnt(12)
	v_perm_b32 v74, v44, v42, 0x5040100
	;; [unrolled: 2-line block ×8, first 2 shown]
	s_delay_alu instid0(VALU_DEP_1)
	v_wmma_f16_16x16x16_f16 v[8:15], v[73:80], v[65:72], v[8:15]
	v_perm_b32 v73, v36, v34, 0x7060302
	v_perm_b32 v74, v44, v42, 0x7060302
	;; [unrolled: 1-line block ×8, first 2 shown]
	v_mul_f32_e32 v34, 0x3fb8aa3b, v33
	s_delay_alu instid0(VALU_DEP_2)
	v_wmma_f16_16x16x16_f16 v[8:15], v[73:80], v[65:72], v[8:15] op_sel:[0,0,1]
	v_perm_b32 v73, v37, v35, 0x5040100
	v_perm_b32 v74, v45, v43, 0x5040100
	v_perm_b32 v75, v52, v47, 0x5040100
	v_perm_b32 v76, v84, v82, 0x5040100
	v_perm_b32 v77, v88, v86, 0x5040100
	v_perm_b32 v78, v92, v90, 0x5040100
	v_perm_b32 v79, v96, v94, 0x5040100
	v_perm_b32 v80, v100, v98, 0x5040100
	v_rndne_f32_e32 v36, v34
	s_delay_alu instid0(VALU_DEP_2) | instskip(SKIP_2) | instid1(VALU_DEP_4)
	v_wmma_f16_16x16x16_f16 v[0:7], v[73:80], v[65:72], v[0:7]
	v_perm_b32 v73, v37, v35, 0x7060302
	v_fma_f32 v35, 0x3fb8aa3b, v33, -v34
	v_sub_f32_e32 v34, v34, v36
	v_cvt_i32_f32_e32 v36, v36
	v_perm_b32 v78, v92, v90, 0x7060302
	v_perm_b32 v74, v45, v43, 0x7060302
	v_fmac_f32_e32 v35, 0x32a5705f, v33
	v_perm_b32 v75, v52, v47, 0x7060302
	v_perm_b32 v76, v84, v82, 0x7060302
	;; [unrolled: 1-line block ×4, first 2 shown]
	v_dual_add_f32 v34, v34, v35 :: v_dual_mul_f32 v35, 0x3fb8aa3b, v32
	v_perm_b32 v80, v100, v98, 0x7060302
	s_delay_alu instid0(VALU_DEP_2) | instskip(NEXT) | instid1(VALU_DEP_2)
	v_exp_f32_e32 v34, v34
	v_fma_f32 v37, 0x3fb8aa3b, v32, -v35
	v_rndne_f32_e32 v42, v35
	s_delay_alu instid0(VALU_DEP_3) | instskip(NEXT) | instid1(VALU_DEP_3)
	v_wmma_f16_16x16x16_f16 v[0:7], v[73:80], v[65:72], v[0:7] op_sel:[0,0,1]
	v_fmac_f32_e32 v37, 0x32a5705f, v32
	s_delay_alu instid0(VALU_DEP_3) | instskip(SKIP_4) | instid1(VALU_DEP_3)
	v_sub_f32_e32 v35, v35, v42
	s_waitcnt_depctr 0xfff
	v_ldexp_f32 v34, v34, v36
	v_cvt_i32_f32_e32 v36, v42
	v_add_f32_e32 v35, v35, v37
	v_cndmask_b32_e64 v34, 0, v34, s3
	v_cmp_nlt_f32_e64 s3, 0x42b17218, v33
	s_delay_alu instid0(VALU_DEP_3) | instskip(NEXT) | instid1(VALU_DEP_1)
	v_exp_f32_e32 v35, v35
	v_cndmask_b32_e64 v90, 0x7f800000, v34, s3
	v_cmp_ngt_f32_e64 s3, 0xc2ce8ed0, v31
	ds_bpermute_b32 v34, v25, v90
	v_ldexp_f32 v35, v35, v36
	s_delay_alu instid0(VALU_DEP_1) | instskip(SKIP_1) | instid1(VALU_DEP_1)
	v_cndmask_b32_e64 v33, 0, v35, s4
	v_cmp_nlt_f32_e64 s4, 0x42b17218, v32
	v_cndmask_b32_e64 v89, 0x7f800000, v33, s4
	ds_bpermute_b32 v32, v25, v89
	s_waitcnt lgkmcnt(0)
	v_cndmask_b32_e64 v33, v89, v32, s0
	v_cndmask_b32_e32 v32, v89, v32, vcc_lo
	s_delay_alu instid0(VALU_DEP_2) | instskip(NEXT) | instid1(VALU_DEP_2)
	v_cndmask_b32_e64 v35, v33, v90, s1
	v_cndmask_b32_e64 v36, v32, v90, s2
	v_cvt_f16_f32_e32 v33, v33
	v_cvt_f16_f32_e32 v32, v32
	s_delay_alu instid0(VALU_DEP_4) | instskip(NEXT) | instid1(VALU_DEP_4)
	v_cndmask_b32_e64 v35, v35, v34, s0
	v_cndmask_b32_e32 v34, v36, v34, vcc_lo
	s_delay_alu instid0(VALU_DEP_3) | instskip(SKIP_1) | instid1(VALU_DEP_4)
	v_pack_b32_f16 v65, v33, v32
	v_mul_f32_e32 v32, 0x3fb8aa3b, v31
	v_cvt_f16_f32_e32 v36, v35
	s_delay_alu instid0(VALU_DEP_4) | instskip(NEXT) | instid1(VALU_DEP_3)
	v_cvt_f16_f32_e32 v37, v34
	v_fma_f32 v33, 0x3fb8aa3b, v31, -v32
	s_delay_alu instid0(VALU_DEP_2) | instskip(SKIP_1) | instid1(VALU_DEP_1)
	v_pack_b32_f16 v66, v36, v37
	v_rndne_f32_e32 v36, v32
	v_dual_fmac_f32 v33, 0x32a5705f, v31 :: v_dual_sub_f32 v32, v32, v36
	s_delay_alu instid0(VALU_DEP_1) | instskip(SKIP_1) | instid1(VALU_DEP_2)
	v_add_f32_e32 v32, v32, v33
	v_cvt_i32_f32_e32 v33, v36
	v_exp_f32_e32 v32, v32
	s_waitcnt_depctr 0xfff
	v_ldexp_f32 v32, v32, v33
	s_delay_alu instid0(VALU_DEP_1) | instskip(SKIP_1) | instid1(VALU_DEP_1)
	v_cndmask_b32_e64 v32, 0, v32, s3
	v_cmp_nlt_f32_e64 s3, 0x42b17218, v31
	v_cndmask_b32_e64 v91, 0x7f800000, v32, s3
	v_cmp_ngt_f32_e64 s3, 0xc2ce8ed0, v30
	ds_bpermute_b32 v33, v25, v91
	v_cndmask_b32_e64 v31, v35, v91, s1
	v_cndmask_b32_e64 v32, v34, v91, s2
	s_waitcnt lgkmcnt(0)
	s_delay_alu instid0(VALU_DEP_2) | instskip(NEXT) | instid1(VALU_DEP_2)
	v_cndmask_b32_e64 v31, v31, v33, s0
	v_cndmask_b32_e32 v32, v32, v33, vcc_lo
	s_delay_alu instid0(VALU_DEP_2) | instskip(NEXT) | instid1(VALU_DEP_2)
	v_cvt_f16_f32_e32 v33, v31
	v_cvt_f16_f32_e32 v34, v32
	s_delay_alu instid0(VALU_DEP_1) | instskip(SKIP_1) | instid1(VALU_DEP_1)
	v_pack_b32_f16 v67, v33, v34
	v_mul_f32_e32 v33, 0x3fb8aa3b, v30
	v_fma_f32 v34, 0x3fb8aa3b, v30, -v33
	v_rndne_f32_e32 v35, v33
	s_delay_alu instid0(VALU_DEP_1) | instskip(NEXT) | instid1(VALU_DEP_1)
	v_dual_fmac_f32 v34, 0x32a5705f, v30 :: v_dual_sub_f32 v33, v33, v35
	v_add_f32_e32 v33, v33, v34
	v_cvt_i32_f32_e32 v34, v35
	s_delay_alu instid0(VALU_DEP_2) | instskip(SKIP_2) | instid1(VALU_DEP_1)
	v_exp_f32_e32 v33, v33
	s_waitcnt_depctr 0xfff
	v_ldexp_f32 v33, v33, v34
	v_cndmask_b32_e64 v33, 0, v33, s3
	v_cmp_nlt_f32_e64 s3, 0x42b17218, v30
	s_delay_alu instid0(VALU_DEP_1) | instskip(SKIP_1) | instid1(VALU_DEP_2)
	v_cndmask_b32_e64 v92, 0x7f800000, v33, s3
	v_cmp_ngt_f32_e64 s3, 0xc2ce8ed0, v29
	v_cndmask_b32_e64 v30, v31, v92, s1
	v_cndmask_b32_e64 v31, v32, v92, s2
	ds_bpermute_b32 v32, v25, v92
	s_waitcnt lgkmcnt(0)
	v_cndmask_b32_e64 v30, v30, v32, s0
	v_cndmask_b32_e32 v31, v31, v32, vcc_lo
	s_delay_alu instid0(VALU_DEP_2) | instskip(NEXT) | instid1(VALU_DEP_2)
	v_cvt_f16_f32_e32 v32, v30
	v_cvt_f16_f32_e32 v33, v31
	s_delay_alu instid0(VALU_DEP_1) | instskip(SKIP_1) | instid1(VALU_DEP_1)
	v_pack_b32_f16 v68, v32, v33
	v_mul_f32_e32 v32, 0x3fb8aa3b, v29
	v_fma_f32 v33, 0x3fb8aa3b, v29, -v32
	v_rndne_f32_e32 v34, v32
	s_delay_alu instid0(VALU_DEP_1) | instskip(NEXT) | instid1(VALU_DEP_1)
	v_dual_fmac_f32 v33, 0x32a5705f, v29 :: v_dual_sub_f32 v32, v32, v34
	v_add_f32_e32 v32, v32, v33
	v_cvt_i32_f32_e32 v33, v34
	s_delay_alu instid0(VALU_DEP_2) | instskip(SKIP_2) | instid1(VALU_DEP_1)
	v_exp_f32_e32 v32, v32
	s_waitcnt_depctr 0xfff
	v_ldexp_f32 v32, v32, v33
	v_cndmask_b32_e64 v32, 0, v32, s3
	v_cmp_nlt_f32_e64 s3, 0x42b17218, v29
	s_delay_alu instid0(VALU_DEP_1) | instskip(SKIP_1) | instid1(VALU_DEP_2)
	v_cndmask_b32_e64 v93, 0x7f800000, v32, s3
	v_cmp_ngt_f32_e64 s3, 0xc2ce8ed0, v28
	v_cndmask_b32_e64 v29, v30, v93, s1
	v_cndmask_b32_e64 v30, v31, v93, s2
	ds_bpermute_b32 v31, v25, v93
	s_waitcnt lgkmcnt(0)
	v_cndmask_b32_e64 v29, v29, v31, s0
	v_cndmask_b32_e32 v30, v30, v31, vcc_lo
	s_delay_alu instid0(VALU_DEP_2) | instskip(NEXT) | instid1(VALU_DEP_2)
	v_cvt_f16_f32_e32 v31, v29
	v_cvt_f16_f32_e32 v32, v30
	s_delay_alu instid0(VALU_DEP_1) | instskip(SKIP_1) | instid1(VALU_DEP_1)
	v_pack_b32_f16 v69, v31, v32
	v_mul_f32_e32 v31, 0x3fb8aa3b, v28
	v_fma_f32 v32, 0x3fb8aa3b, v28, -v31
	v_rndne_f32_e32 v33, v31
	s_delay_alu instid0(VALU_DEP_1) | instskip(NEXT) | instid1(VALU_DEP_1)
	v_dual_fmac_f32 v32, 0x32a5705f, v28 :: v_dual_sub_f32 v31, v31, v33
	v_add_f32_e32 v31, v31, v32
	v_cvt_i32_f32_e32 v32, v33
	v_add_nc_u32_e32 v33, 0x2000, v63
	s_delay_alu instid0(VALU_DEP_3) | instskip(SKIP_2) | instid1(VALU_DEP_1)
	v_exp_f32_e32 v31, v31
	s_waitcnt_depctr 0xfff
	v_ldexp_f32 v31, v31, v32
	v_cndmask_b32_e64 v31, 0, v31, s3
	v_cmp_nlt_f32_e64 s3, 0x42b17218, v28
	s_delay_alu instid0(VALU_DEP_1) | instskip(SKIP_1) | instid1(VALU_DEP_2)
	v_cndmask_b32_e64 v94, 0x7f800000, v31, s3
	v_cmp_ngt_f32_e64 s3, 0xc2ce8ed0, v27
	v_cndmask_b32_e64 v28, v29, v94, s1
	v_cndmask_b32_e64 v29, v30, v94, s2
	ds_bpermute_b32 v30, v25, v94
	s_waitcnt lgkmcnt(0)
	v_cndmask_b32_e64 v28, v28, v30, s0
	v_cndmask_b32_e32 v29, v29, v30, vcc_lo
	s_delay_alu instid0(VALU_DEP_2) | instskip(NEXT) | instid1(VALU_DEP_2)
	v_cvt_f16_f32_e32 v30, v28
	v_cvt_f16_f32_e32 v31, v29
	s_delay_alu instid0(VALU_DEP_1) | instskip(SKIP_1) | instid1(VALU_DEP_1)
	v_pack_b32_f16 v70, v30, v31
	v_mul_f32_e32 v30, 0x3fb8aa3b, v27
	v_fma_f32 v31, 0x3fb8aa3b, v27, -v30
	v_rndne_f32_e32 v32, v30
	s_delay_alu instid0(VALU_DEP_1) | instskip(NEXT) | instid1(VALU_DEP_1)
	v_dual_fmac_f32 v31, 0x32a5705f, v27 :: v_dual_sub_f32 v30, v30, v32
	v_add_f32_e32 v30, v30, v31
	v_cvt_i32_f32_e32 v31, v32
	v_add_nc_u32_e32 v32, 0x1800, v61
	s_delay_alu instid0(VALU_DEP_3) | instskip(SKIP_2) | instid1(VALU_DEP_1)
	v_exp_f32_e32 v30, v30
	s_waitcnt_depctr 0xfff
	v_ldexp_f32 v30, v30, v31
	v_cndmask_b32_e64 v30, 0, v30, s3
	v_cmp_nlt_f32_e64 s3, 0x42b17218, v27
	s_delay_alu instid0(VALU_DEP_1) | instskip(SKIP_1) | instid1(VALU_DEP_2)
	v_cndmask_b32_e64 v95, 0x7f800000, v30, s3
	v_cmp_ngt_f32_e64 s3, 0xc2ce8ed0, v26
	v_cndmask_b32_e64 v27, v28, v95, s1
	v_cndmask_b32_e64 v28, v29, v95, s2
	ds_bpermute_b32 v29, v25, v95
	s_waitcnt lgkmcnt(0)
	v_cndmask_b32_e64 v27, v27, v29, s0
	v_cndmask_b32_e32 v28, v28, v29, vcc_lo
	s_delay_alu instid0(VALU_DEP_2) | instskip(NEXT) | instid1(VALU_DEP_2)
	v_cvt_f16_f32_e32 v29, v27
	v_cvt_f16_f32_e32 v30, v28
	s_delay_alu instid0(VALU_DEP_1) | instskip(SKIP_1) | instid1(VALU_DEP_1)
	v_pack_b32_f16 v71, v29, v30
	v_mul_f32_e32 v29, 0x3fb8aa3b, v26
	v_fma_f32 v30, 0x3fb8aa3b, v26, -v29
	v_rndne_f32_e32 v31, v29
	s_delay_alu instid0(VALU_DEP_1) | instskip(NEXT) | instid1(VALU_DEP_1)
	v_dual_fmac_f32 v30, 0x32a5705f, v26 :: v_dual_sub_f32 v29, v29, v31
	v_add_f32_e32 v29, v29, v30
	v_cvt_i32_f32_e32 v30, v31
	s_delay_alu instid0(VALU_DEP_2) | instskip(SKIP_3) | instid1(VALU_DEP_2)
	v_exp_f32_e32 v29, v29
	s_waitcnt_depctr 0xfff
	v_ldexp_f32 v29, v29, v30
	v_add_nc_u32_e32 v30, 0x1800, v62
	v_cndmask_b32_e64 v29, 0, v29, s3
	v_cmp_nlt_f32_e64 s3, 0x42b17218, v26
	s_delay_alu instid0(VALU_DEP_1)
	v_cndmask_b32_e64 v96, 0x7f800000, v29, s3
	v_add_nc_u32_e32 v29, 0x1c00, v63
	ds_load_2addr_b32 v[34:35], v105 offset0:192 offset1:208
	ds_load_2addr_b32 v[36:37], v105 offset0:228 offset1:244
	;; [unrolled: 1-line block ×4, first 2 shown]
	v_cndmask_b32_e64 v26, v27, v96, s1
	v_cndmask_b32_e64 v27, v28, v96, s2
	ds_bpermute_b32 v28, v25, v96
	s_waitcnt lgkmcnt(0)
	v_cndmask_b32_e64 v26, v26, v28, s0
	v_cndmask_b32_e32 v27, v27, v28, vcc_lo
	v_add_nc_u32_e32 v28, 0x1800, v60
	ds_load_2addr_b32 v[46:47], v28 offset0:192 offset1:208
	ds_load_2addr_b32 v[51:52], v29 offset0:116 offset1:132
	ds_load_2addr_b32 v[62:63], v29 offset0:152 offset1:168
	ds_load_2addr_b32 v[73:74], v29 offset0:188 offset1:204
	ds_load_2addr_b32 v[75:76], v30 offset0:192 offset1:208
	ds_load_2addr_b32 v[77:78], v33 offset0:4 offset1:20
	ds_load_2addr_b32 v[60:61], v33 offset0:40 offset1:56
	ds_load_2addr_b32 v[79:80], v33 offset0:76 offset1:92
	ds_load_2addr_b32 v[81:82], v32 offset0:192 offset1:208
	ds_load_2addr_b32 v[83:84], v33 offset0:148 offset1:164
	ds_load_2addr_b32 v[85:86], v33 offset0:184 offset1:200
	ds_load_2addr_b32 v[87:88], v33 offset0:220 offset1:236
	v_cvt_f16_f32_e32 v26, v26
	v_cvt_f16_f32_e32 v27, v27
	s_mov_b32 s0, exec_lo
	s_waitcnt lgkmcnt(0)
	s_barrier
	buffer_gl0_inv
	v_pack_b32_f16 v72, v26, v27
	v_perm_b32 v26, v36, v34, 0x5040100
	v_perm_b32 v27, v44, v42, 0x5040100
	s_barrier
	buffer_gl0_inv
	v_perm_b32 v28, v51, v46, 0x5040100
	v_perm_b32 v29, v73, v62, 0x5040100
	v_perm_b32 v30, v77, v75, 0x5040100
	v_perm_b32 v31, v79, v60, 0x5040100
	v_perm_b32 v32, v83, v81, 0x5040100
	v_perm_b32 v33, v87, v85, 0x5040100
	s_delay_alu instid0(VALU_DEP_1)
	v_wmma_f16_16x16x16_f16 v[8:15], v[26:33], v[65:72], v[8:15]
	v_perm_b32 v26, v37, v35, 0x5040100
	v_perm_b32 v27, v45, v43, 0x5040100
	;; [unrolled: 1-line block ×8, first 2 shown]
	s_delay_alu instid0(VALU_DEP_1)
	v_wmma_f16_16x16x16_f16 v[0:7], v[26:33], v[65:72], v[0:7]
	v_perm_b32 v26, v36, v34, 0x7060302
	v_add_f32_e32 v34, v48, v49
	v_perm_b32 v27, v44, v42, 0x7060302
	v_perm_b32 v28, v51, v46, 0x7060302
	;; [unrolled: 1-line block ×4, first 2 shown]
	v_add_f32_e32 v34, v53, v34
	v_perm_b32 v31, v79, v60, 0x7060302
	v_perm_b32 v32, v83, v81, 0x7060302
	;; [unrolled: 1-line block ×3, first 2 shown]
	s_delay_alu instid0(VALU_DEP_4) | instskip(NEXT) | instid1(VALU_DEP_2)
	v_add_f32_e32 v34, v54, v34
	v_wmma_f16_16x16x16_f16 v[8:15], v[26:33], v[65:72], v[8:15] op_sel:[0,0,1]
	v_perm_b32 v26, v37, v35, 0x7060302
	s_delay_alu instid0(VALU_DEP_3)
	v_add_f32_e32 v34, v55, v34
	v_perm_b32 v27, v45, v43, 0x7060302
	v_perm_b32 v28, v52, v47, 0x7060302
	v_perm_b32 v29, v74, v63, 0x7060302
	v_perm_b32 v30, v78, v76, 0x7060302
	v_add_f32_e32 v34, v56, v34
	v_perm_b32 v31, v80, v61, 0x7060302
	v_perm_b32 v32, v84, v82, 0x7060302
	;; [unrolled: 1-line block ×3, first 2 shown]
	s_delay_alu instid0(VALU_DEP_4) | instskip(NEXT) | instid1(VALU_DEP_2)
	v_add_f32_e32 v34, v58, v34
	v_wmma_f16_16x16x16_f16 v[0:7], v[26:33], v[65:72], v[0:7] op_sel:[0,0,1]
	s_delay_alu instid0(VALU_DEP_2) | instskip(NEXT) | instid1(VALU_DEP_1)
	v_add_f32_e32 v34, v59, v34
	v_add_f32_e32 v16, v16, v34
	s_delay_alu instid0(VALU_DEP_1) | instskip(NEXT) | instid1(VALU_DEP_1)
	v_add_f32_e32 v16, v17, v16
	v_add_f32_e32 v16, v18, v16
	s_delay_alu instid0(VALU_DEP_1) | instskip(NEXT) | instid1(VALU_DEP_1)
	;; [unrolled: 3-line block ×12, first 2 shown]
	v_add_f32_e32 v16, v96, v16
	v_fmac_f32_e32 v16, v146, v57
	ds_bpermute_b32 v17, v25, v16
	v_cmpx_gt_u32_e32 16, v64
	s_cbranch_execz .LBB0_430
; %bb.429:
	v_readlane_b32 s1, v255, 7
	v_or_b32_e32 v18, v144, v64
	v_mov_b32_e32 v19, 0
	s_mov_b32 s3, s16
	s_waitcnt lgkmcnt(0)
	v_add_f32_e32 v25, v16, v17
	s_add_i32 s1, s1, s24
	v_lshlrev_b64 v[18:19], 3, v[18:19]
	s_lshl_b32 s2, s1, 6
	s_delay_alu instid0(SALU_CYCLE_1) | instskip(NEXT) | instid1(SALU_CYCLE_1)
	s_lshl_b64 s[2:3], s[2:3], 3
	s_add_u32 s1, s30, s2
	s_addc_u32 s2, s31, s3
	s_delay_alu instid0(VALU_DEP_1)
	v_add_co_u32 v18, vcc_lo, s1, v18
	v_add_co_ci_u32_e32 v19, vcc_lo, s2, v19, vcc_lo
	global_store_b64 v[18:19], v[24:25], off
.LBB0_430:
	s_or_b32 exec_lo, exec_lo, s0
	v_or_b32_e32 v16, v144, v143
	s_waitcnt lgkmcnt(0)
	v_lshl_add_u32 v17, v244, 2, v50
	v_readlane_b32 s2, v255, 4
	v_readlane_b32 s3, v255, 5
	s_mov_b32 s1, s16
	v_mad_i32_i24 v16, v16, 36, v145
	s_delay_alu instid0(VALU_DEP_1)
	v_lshl_add_u32 v16, v16, 2, 0
	ds_store_2addr_b32 v16, v8, v9 offset1:2
	ds_store_2addr_b32 v16, v10, v11 offset0:4 offset1:6
	ds_store_2addr_b32 v16, v12, v13 offset0:8 offset1:10
	ds_store_2addr_b32 v16, v14, v15 offset0:12 offset1:14
	ds_store_2addr_b32 v16, v0, v1 offset0:16 offset1:18
	ds_store_2addr_b32 v16, v2, v3 offset0:20 offset1:22
	ds_store_2addr_b32 v16, v4, v5 offset0:24 offset1:26
	ds_store_2addr_b32 v16, v6, v7 offset0:28 offset1:30
	s_waitcnt lgkmcnt(0)
	s_waitcnt_vscnt null, 0x0
	s_barrier
	buffer_gl0_inv
	scratch_load_b32 v16, off, off offset:140 ; 4-byte Folded Reload
	ds_load_2addr_b32 v[0:1], v17 offset1:144
	s_clause 0x1
	s_load_b32 s0, s[2:3], 0x10
	s_load_b32 s2, s[2:3], 0x0
	v_dual_mov_b32 v3, 0 :: v_dual_lshlrev_b32 v2, 2, v245
	v_lshlrev_b32_e32 v8, 2, v242
	v_lshlrev_b32_e32 v7, 2, v243
	s_mov_b32 s3, s16
	s_delay_alu instid0(VALU_DEP_3) | instskip(NEXT) | instid1(VALU_DEP_1)
	v_sub_nc_u32_e32 v2, v124, v2
	v_lshlrev_b64 v[4:5], 3, v[2:3]
	s_waitcnt lgkmcnt(0)
	v_cvt_f32_f16_e32 v10, v1
	v_lshrrev_b32_e32 v1, 16, v1
	v_add_nc_u32_e32 v9, 0x400, v17
	s_lshr_b32 s0, s0, 16
	s_delay_alu instid0(VALU_DEP_3) | instskip(NEXT) | instid1(VALU_DEP_3)
	v_add_f32_e32 v10, 0, v10
	v_cvt_f32_f16_e32 v13, v1
	v_add_nc_u32_e32 v6, 0x90, v124
	s_cmp_lg_u32 s0, 0
	s_cselect_b32 s0, -1, 0
	s_delay_alu instid0(VALU_DEP_1) | instskip(SKIP_4) | instid1(VALU_DEP_1)
	v_sub_nc_u32_e32 v11, v6, v8
	ds_load_2addr_b32 v[8:9], v9 offset0:32 offset1:176
	v_sub_nc_u32_e32 v2, v6, v7
	s_cmp_lg_u32 s0, 0
	s_addc_u32 s0, s2, 0
	v_lshlrev_b64 v[6:7], 3, v[2:3]
	v_cvt_f32_f16_e32 v2, v0
	v_lshrrev_b32_e32 v0, 16, v0
	s_lshl_b32 s0, s0, 7
	s_delay_alu instid0(SALU_CYCLE_1) | instskip(NEXT) | instid1(VALU_DEP_1)
	s_lshl_b64 s[0:1], s[0:1], 3
	v_cvt_f32_f16_e32 v12, v0
	s_add_u32 s4, s30, s0
	v_add_f32_e32 v0, 0, v2
	s_addc_u32 s5, s31, s1
	s_lshl_b32 s2, s24, 11
	v_dual_add_f32 v1, 0, v12 :: v_dual_add_nc_u32 v2, 0x90, v11
	s_waitcnt lgkmcnt(0)
	v_lshrrev_b32_e32 v12, 16, v8
	s_lshl_b64 s[0:1], s[2:3], 3
	v_add_f32_e32 v11, 0, v13
	s_add_u32 s0, s4, s0
	s_addc_u32 s1, s5, s1
	v_cvt_f32_f16_e32 v15, v12
	v_lshlrev_b64 v[12:13], 3, v[2:3]
	v_add_co_u32 v4, vcc_lo, s0, v4
	v_add_co_ci_u32_e32 v5, vcc_lo, s1, v5, vcc_lo
	v_add_co_u32 v6, vcc_lo, s0, v6
	v_cvt_f32_f16_e32 v8, v8
	v_add_co_ci_u32_e32 v7, vcc_lo, s1, v7, vcc_lo
	v_add_co_u32 v12, vcc_lo, s0, v12
	v_add_co_ci_u32_e32 v13, vcc_lo, s1, v13, vcc_lo
	v_add_f32_e32 v15, 0, v15
	s_waitcnt vmcnt(0)
	v_and_or_b32 v14, 0x7f0, v16, v213
	s_delay_alu instid0(VALU_DEP_1) | instskip(SKIP_1) | instid1(VALU_DEP_2)
	v_mul_u32_u24_e32 v2, 36, v14
	v_add_f32_e32 v14, 0, v8
	v_lshl_add_u32 v2, v2, 2, v50
	ds_load_b32 v8, v2
	s_clause 0x1
	global_store_b64 v[4:5], v[0:1], off
	global_store_b64 v[6:7], v[10:11], off
	s_clause 0x1
	scratch_load_b32 v19, off, off offset:128
	scratch_load_b32 v18, off, off offset:108
	v_add_nc_u32_e32 v2, 0xa00, v17
	v_cvt_f32_f16_e32 v4, v9
	v_lshrrev_b32_e32 v5, 16, v9
	global_store_b64 v[12:13], v[14:15], off
	v_lshlrev_b32_e32 v6, 2, v212
	v_add_f32_e32 v4, 0, v4
	v_cvt_f32_f16_e32 v5, v5
	s_delay_alu instid0(VALU_DEP_1)
	v_add_f32_e32 v5, 0, v5
	s_waitcnt vmcnt(1)
	v_and_or_b32 v0, 0x7f0, v19, v213
	s_waitcnt vmcnt(0)
	v_and_or_b32 v1, 0x7f0, v18, v213
	v_lshlrev_b32_e32 v15, 5, v19
	s_delay_alu instid0(VALU_DEP_3) | instskip(NEXT) | instid1(VALU_DEP_3)
	v_mul_u32_u24_e32 v0, 36, v0
	v_mul_u32_u24_e32 v1, 36, v1
	s_delay_alu instid0(VALU_DEP_2) | instskip(NEXT) | instid1(VALU_DEP_2)
	v_lshl_add_u32 v7, v0, 2, v50
	v_lshl_add_u32 v9, v1, 2, v50
	ds_load_2addr_b32 v[0:1], v2 offset0:80 offset1:224
	ds_load_b32 v12, v7
	ds_load_b32 v13, v9
	s_waitcnt lgkmcnt(3)
	v_lshrrev_b32_e32 v9, 16, v8
	s_delay_alu instid0(VALU_DEP_1) | instskip(NEXT) | instid1(VALU_DEP_1)
	v_cvt_f32_f16_e32 v9, v9
	v_dual_add_f32 v9, 0, v9 :: v_dual_add_nc_u32 v10, 0x1b0, v124
	s_delay_alu instid0(VALU_DEP_1) | instskip(NEXT) | instid1(VALU_DEP_1)
	v_sub_nc_u32_e32 v2, v10, v6
	v_lshlrev_b64 v[6:7], 3, v[2:3]
	v_cvt_f32_f16_e32 v2, v8
	scratch_load_b32 v8, off, off offset:144 ; 4-byte Folded Reload
	v_lshlrev_b32_e32 v11, 5, v16
	s_waitcnt lgkmcnt(2)
	v_lshrrev_b32_e32 v14, 16, v0
	v_cvt_f32_f16_e32 v0, v0
	v_add_co_u32 v6, vcc_lo, s0, v6
	v_add_co_ci_u32_e32 v7, vcc_lo, s1, v7, vcc_lo
	global_store_b64 v[6:7], v[4:5], off
	v_add_f32_e32 v6, 0, v0
	scratch_load_b32 v0, off, off offset:132 ; 4-byte Folded Reload
	v_cvt_f32_f16_e32 v7, v14
	s_waitcnt vmcnt(1)
	s_delay_alu instid0(VALU_DEP_1) | instskip(NEXT) | instid1(VALU_DEP_1)
	v_dual_add_f32 v7, 0, v7 :: v_dual_lshlrev_b32 v8, 2, v8
	v_sub_nc_u32_e32 v10, v10, v8
	v_add_f32_e32 v8, 0, v2
	v_add_lshl_u32 v11, v11, v64, 3
	s_delay_alu instid0(VALU_DEP_3)
	v_add_nc_u32_e32 v2, 0x120, v10
	v_lshrrev_b32_e32 v10, 16, v1
	global_store_b64 v11, v[8:9], s[0:1]
	ds_load_b32 v8, v17 offset:4032
	v_cvt_f32_f16_e32 v1, v1
	v_lshlrev_b64 v[4:5], 3, v[2:3]
	scratch_load_b32 v2, off, off offset:136 ; 4-byte Folded Reload
	v_add_nc_u32_e32 v9, 0x360, v124
	s_waitcnt vmcnt(1)
	v_lshlrev_b32_e32 v0, 2, v0
	v_add_co_u32 v4, vcc_lo, s0, v4
	v_add_co_ci_u32_e32 v5, vcc_lo, s1, v5, vcc_lo
	s_waitcnt vmcnt(0)
	v_lshlrev_b32_e32 v11, 2, v2
	v_sub_nc_u32_e32 v2, v9, v0
	v_add_f32_e32 v0, 0, v1
	s_delay_alu instid0(VALU_DEP_3)
	v_sub_nc_u32_e32 v1, v9, v11
	v_add_nc_u32_e32 v9, 0x1400, v17
	global_store_b64 v[4:5], v[6:7], off
	v_cvt_f32_f16_e32 v6, v10
	v_lshlrev_b64 v[4:5], 3, v[2:3]
	s_waitcnt lgkmcnt(0)
	v_lshrrev_b32_e32 v7, 16, v8
	v_add_nc_u32_e32 v2, 0x90, v1
	v_cvt_f32_f16_e32 v10, v8
	v_add_f32_e32 v1, 0, v6
	ds_load_b32 v14, v17 offset:6336
	ds_load_b32 v16, v17 offset:8640
	v_cvt_f32_f16_e32 v11, v7
	v_lshlrev_b64 v[6:7], 3, v[2:3]
	v_add_co_u32 v4, vcc_lo, s0, v4
	v_lshrrev_b32_e32 v2, 16, v12
	v_add_co_ci_u32_e32 v5, vcc_lo, s1, v5, vcc_lo
	s_delay_alu instid0(VALU_DEP_4)
	v_add_co_u32 v6, vcc_lo, s0, v6
	v_dual_add_f32 v10, 0, v10 :: v_dual_add_f32 v11, 0, v11
	v_add_co_ci_u32_e32 v7, vcc_lo, s1, v7, vcc_lo
	v_cvt_f32_f16_e32 v12, v12
	v_cvt_f32_f16_e32 v2, v2
	ds_load_2addr_b32 v[8:9], v9 offset0:16 offset1:160
	s_clause 0x1
	global_store_b64 v[4:5], v[0:1], off
	global_store_b64 v[6:7], v[10:11], off
	scratch_load_b32 v5, off, off offset:124 ; 4-byte Folded Reload
	v_dual_add_f32 v0, 0, v12 :: v_dual_add_f32 v1, 0, v2
	v_add_lshl_u32 v2, v15, v64, 3
	s_waitcnt lgkmcnt(2)
	v_lshrrev_b32_e32 v15, 16, v14
	v_add_nc_u32_e32 v10, 0x1c00, v17
	v_cvt_f32_f16_e32 v14, v14
	s_waitcnt lgkmcnt(1)
	v_lshrrev_b32_e32 v19, 16, v16
	global_store_b64 v2, v[0:1], s[0:1]
	scratch_load_b32 v0, off, off offset:120 ; 4-byte Folded Reload
	v_cvt_f32_f16_e32 v15, v15
	v_add_nc_u32_e32 v4, 0x510, v124
	ds_load_2addr_b32 v[10:11], v10 offset0:80 offset1:224
	v_cvt_f32_f16_e32 v16, v16
	s_waitcnt lgkmcnt(1)
	v_cvt_f32_f16_e32 v7, v8
	v_lshrrev_b32_e32 v6, 16, v8
	s_delay_alu instid0(VALU_DEP_3) | instskip(NEXT) | instid1(VALU_DEP_2)
	v_add_f32_e32 v16, 0, v16
	v_cvt_f32_f16_e32 v6, v6
	s_waitcnt lgkmcnt(0)
	v_cvt_f32_f16_e32 v17, v11
	s_waitcnt vmcnt(1)
	v_lshlrev_b32_e32 v5, 2, v5
	s_delay_alu instid0(VALU_DEP_1) | instskip(SKIP_3) | instid1(VALU_DEP_2)
	v_sub_nc_u32_e32 v2, v4, v5
	s_waitcnt vmcnt(0)
	v_dual_add_f32 v0, 0, v7 :: v_dual_lshlrev_b32 v1, 2, v0
	v_lshrrev_b32_e32 v7, 16, v9
	v_sub_nc_u32_e32 v8, v4, v1
	v_lshlrev_b64 v[4:5], 3, v[2:3]
	v_add_f32_e32 v1, 0, v6
	v_cvt_f32_f16_e32 v6, v9
	v_cvt_f32_f16_e32 v7, v7
	v_add_nc_u32_e32 v2, 0x90, v8
	v_add_co_u32 v4, vcc_lo, s0, v4
	v_add_co_ci_u32_e32 v5, vcc_lo, s1, v5, vcc_lo
	s_delay_alu instid0(VALU_DEP_3)
	v_lshlrev_b64 v[8:9], 3, v[2:3]
	scratch_load_b32 v2, off, off offset:116 ; 4-byte Folded Reload
	v_dual_add_f32 v6, 0, v6 :: v_dual_add_f32 v7, 0, v7
	v_add_co_u32 v8, vcc_lo, s0, v8
	v_add_co_ci_u32_e32 v9, vcc_lo, s1, v9, vcc_lo
	s_clause 0x1
	global_store_b64 v[4:5], v[0:1], off
	global_store_b64 v[8:9], v[6:7], off
	scratch_load_b32 v7, off, off offset:112 ; 4-byte Folded Reload
	v_add_f32_e32 v1, 0, v15
	v_lshrrev_b32_e32 v6, 16, v13
	v_lshrrev_b32_e32 v15, 16, v11
	v_add_f32_e32 v0, 0, v14
	s_delay_alu instid0(VALU_DEP_3) | instskip(NEXT) | instid1(VALU_DEP_3)
	v_cvt_f32_f16_e32 v8, v6
	v_cvt_f32_f16_e32 v15, v15
	s_delay_alu instid0(VALU_DEP_1) | instskip(SKIP_2) | instid1(VALU_DEP_1)
	v_dual_add_f32 v15, 0, v15 :: v_dual_add_nc_u32 v12, 0x630, v124
	s_waitcnt vmcnt(1)
	v_lshlrev_b32_e32 v2, 2, v2
	v_sub_nc_u32_e32 v2, v12, v2
	s_delay_alu instid0(VALU_DEP_1) | instskip(SKIP_2) | instid1(VALU_DEP_1)
	v_lshlrev_b64 v[4:5], 3, v[2:3]
	v_cvt_f32_f16_e32 v2, v13
	s_waitcnt vmcnt(0)
	v_dual_add_f32 v6, 0, v2 :: v_dual_lshlrev_b32 v7, 2, v7
	s_delay_alu instid0(VALU_DEP_1)
	v_sub_nc_u32_e32 v2, v12, v7
	v_add_f32_e32 v7, 0, v8
	v_lshrrev_b32_e32 v12, 16, v10
	v_cvt_f32_f16_e32 v8, v10
	v_lshlrev_b32_e32 v9, 5, v18
	v_add_nc_u32_e32 v2, 0x120, v2
	v_add_nc_u32_e32 v10, 0x7e0, v124
	v_add_co_u32 v4, vcc_lo, s0, v4
	v_add_f32_e32 v8, 0, v8
	v_add_lshl_u32 v18, v9, v64, 3
	v_cvt_f32_f16_e32 v9, v12
	scratch_load_b32 v12, off, off offset:104 ; 4-byte Folded Reload
	v_add_co_ci_u32_e32 v5, vcc_lo, s1, v5, vcc_lo
	s_waitcnt vmcnt(0)
	v_dual_add_f32 v9, 0, v9 :: v_dual_lshlrev_b32 v14, 2, v12
	v_lshlrev_b64 v[12:13], 3, v[2:3]
	s_delay_alu instid0(VALU_DEP_2)
	v_sub_nc_u32_e32 v2, v10, v14
	scratch_load_b32 v14, off, off offset:100 ; 4-byte Folded Reload
	v_add_co_u32 v12, vcc_lo, s0, v12
	v_add_co_ci_u32_e32 v13, vcc_lo, s1, v13, vcc_lo
	s_waitcnt vmcnt(0)
	v_lshlrev_b32_e32 v14, 2, v14
	s_delay_alu instid0(VALU_DEP_1) | instskip(SKIP_1) | instid1(VALU_DEP_2)
	v_sub_nc_u32_e32 v14, v10, v14
	v_lshlrev_b64 v[10:11], 3, v[2:3]
	v_add_nc_u32_e32 v2, 0x90, v14
	v_add_f32_e32 v14, 0, v17
	v_cvt_f32_f16_e32 v17, v19
	s_delay_alu instid0(VALU_DEP_4) | instskip(NEXT) | instid1(VALU_DEP_4)
	v_add_co_u32 v10, vcc_lo, s0, v10
	v_lshlrev_b64 v[2:3], 3, v[2:3]
	v_add_co_ci_u32_e32 v11, vcc_lo, s1, v11, vcc_lo
	s_delay_alu instid0(VALU_DEP_4) | instskip(NEXT) | instid1(VALU_DEP_3)
	v_add_f32_e32 v17, 0, v17
	v_add_co_u32 v2, vcc_lo, s0, v2
	s_delay_alu instid0(VALU_DEP_4)
	v_add_co_ci_u32_e32 v3, vcc_lo, s1, v3, vcc_lo
	s_clause 0x4
	global_store_b64 v[4:5], v[0:1], off
	global_store_b64 v18, v[6:7], s[0:1]
	global_store_b64 v[12:13], v[8:9], off
	global_store_b64 v[10:11], v[14:15], off
	;; [unrolled: 1-line block ×3, first 2 shown]
	s_nop 0
	s_sendmsg sendmsg(MSG_DEALLOC_VGPRS)
	s_endpgm
	.section	.rodata,"a",@progbits
	.p2align	6, 0x0
	.amdhsa_kernel _ZL18flash_attn_ext_f16ILi64ELi64ELi16ELi4ELb0ELb0EEvPKcS1_S1_S1_S1_PKiPfP15HIP_vector_typeIfLj2EEffffjfiS5_IjLj3EEiiiiiiiiiiiliiliiiiil
		.amdhsa_group_segment_fixed_size 0
		.amdhsa_private_segment_fixed_size 176
		.amdhsa_kernarg_size 464
		.amdhsa_user_sgpr_count 15
		.amdhsa_user_sgpr_dispatch_ptr 0
		.amdhsa_user_sgpr_queue_ptr 0
		.amdhsa_user_sgpr_kernarg_segment_ptr 1
		.amdhsa_user_sgpr_dispatch_id 0
		.amdhsa_user_sgpr_private_segment_size 0
		.amdhsa_wavefront_size32 1
		.amdhsa_uses_dynamic_stack 0
		.amdhsa_enable_private_segment 1
		.amdhsa_system_sgpr_workgroup_id_x 1
		.amdhsa_system_sgpr_workgroup_id_y 0
		.amdhsa_system_sgpr_workgroup_id_z 0
		.amdhsa_system_sgpr_workgroup_info 0
		.amdhsa_system_vgpr_workitem_id 1
		.amdhsa_next_free_vgpr 256
		.amdhsa_next_free_sgpr 105
		.amdhsa_reserve_vcc 1
		.amdhsa_float_round_mode_32 0
		.amdhsa_float_round_mode_16_64 0
		.amdhsa_float_denorm_mode_32 3
		.amdhsa_float_denorm_mode_16_64 3
		.amdhsa_dx10_clamp 1
		.amdhsa_ieee_mode 1
		.amdhsa_fp16_overflow 0
		.amdhsa_workgroup_processor_mode 1
		.amdhsa_memory_ordered 1
		.amdhsa_forward_progress 0
		.amdhsa_shared_vgpr_count 0
		.amdhsa_exception_fp_ieee_invalid_op 0
		.amdhsa_exception_fp_denorm_src 0
		.amdhsa_exception_fp_ieee_div_zero 0
		.amdhsa_exception_fp_ieee_overflow 0
		.amdhsa_exception_fp_ieee_underflow 0
		.amdhsa_exception_fp_ieee_inexact 0
		.amdhsa_exception_int_div_zero 0
	.end_amdhsa_kernel
	.section	.text._ZL18flash_attn_ext_f16ILi64ELi64ELi16ELi4ELb0ELb0EEvPKcS1_S1_S1_S1_PKiPfP15HIP_vector_typeIfLj2EEffffjfiS5_IjLj3EEiiiiiiiiiiiliiliiiiil,"axG",@progbits,_ZL18flash_attn_ext_f16ILi64ELi64ELi16ELi4ELb0ELb0EEvPKcS1_S1_S1_S1_PKiPfP15HIP_vector_typeIfLj2EEffffjfiS5_IjLj3EEiiiiiiiiiiiliiliiiiil,comdat
.Lfunc_end0:
	.size	_ZL18flash_attn_ext_f16ILi64ELi64ELi16ELi4ELb0ELb0EEvPKcS1_S1_S1_S1_PKiPfP15HIP_vector_typeIfLj2EEffffjfiS5_IjLj3EEiiiiiiiiiiiliiliiiiil, .Lfunc_end0-_ZL18flash_attn_ext_f16ILi64ELi64ELi16ELi4ELb0ELb0EEvPKcS1_S1_S1_S1_PKiPfP15HIP_vector_typeIfLj2EEffffjfiS5_IjLj3EEiiiiiiiiiiiliiliiiiil
                                        ; -- End function
	.section	.AMDGPU.csdata,"",@progbits
; Kernel info:
; codeLenInByte = 95876
; NumSgprs: 107
; NumVgprs: 256
; ScratchSize: 176
; MemoryBound: 0
; FloatMode: 240
; IeeeMode: 1
; LDSByteSize: 0 bytes/workgroup (compile time only)
; SGPRBlocks: 13
; VGPRBlocks: 31
; NumSGPRsForWavesPerEU: 107
; NumVGPRsForWavesPerEU: 256
; Occupancy: 5
; WaveLimiterHint : 0
; COMPUTE_PGM_RSRC2:SCRATCH_EN: 1
; COMPUTE_PGM_RSRC2:USER_SGPR: 15
; COMPUTE_PGM_RSRC2:TRAP_HANDLER: 0
; COMPUTE_PGM_RSRC2:TGID_X_EN: 1
; COMPUTE_PGM_RSRC2:TGID_Y_EN: 0
; COMPUTE_PGM_RSRC2:TGID_Z_EN: 0
; COMPUTE_PGM_RSRC2:TIDIG_COMP_CNT: 1
	.text
	.p2align	2                               ; -- Begin function __ockl_printf_append_string_n
	.type	__ockl_printf_append_string_n,@function
__ockl_printf_append_string_n:          ; @__ockl_printf_append_string_n
; %bb.0:
	s_waitcnt vmcnt(0) expcnt(0) lgkmcnt(0)
	v_dual_mov_b32 v7, v3 :: v_dual_mov_b32 v6, v2
	v_mov_b32_e32 v3, v0
	v_mbcnt_lo_u32_b32 v32, -1, 0
	s_mov_b32 s0, exec_lo
	s_delay_alu instid0(VALU_DEP_3)
	v_cmpx_ne_u64_e32 0, v[6:7]
	s_xor_b32 s10, exec_lo, s0
	s_cbranch_execz .LBB1_86
; %bb.1:
	s_load_b64 s[2:3], s[8:9], 0x50
	v_dual_mov_b32 v10, 2 :: v_dual_and_b32 v33, 2, v3
	v_dual_mov_b32 v9, 0 :: v_dual_and_b32 v0, -3, v3
	v_mov_b32_e32 v11, 1
	s_mov_b32 s12, 0
	s_mov_b32 s11, 0
	s_branch .LBB1_3
.LBB1_2:                                ;   in Loop: Header=BB1_3 Depth=1
	s_or_b32 exec_lo, exec_lo, s1
	v_sub_co_u32 v4, vcc_lo, v4, v28
	v_sub_co_ci_u32_e32 v5, vcc_lo, v5, v29, vcc_lo
	v_add_co_u32 v6, s0, v6, v28
	s_delay_alu instid0(VALU_DEP_1) | instskip(NEXT) | instid1(VALU_DEP_3)
	v_add_co_ci_u32_e64 v7, s0, v7, v29, s0
	v_cmp_eq_u64_e32 vcc_lo, 0, v[4:5]
	s_or_b32 s11, vcc_lo, s11
	s_delay_alu instid0(SALU_CYCLE_1)
	s_and_not1_b32 exec_lo, exec_lo, s11
	s_cbranch_execz .LBB1_85
.LBB1_3:                                ; =>This Loop Header: Depth=1
                                        ;     Child Loop BB1_6 Depth 2
                                        ;     Child Loop BB1_14 Depth 2
	;; [unrolled: 1-line block ×11, first 2 shown]
	v_cmp_gt_u64_e32 vcc_lo, 56, v[4:5]
	s_mov_b32 s1, exec_lo
                                        ; implicit-def: $vgpr2_vgpr3
                                        ; implicit-def: $sgpr4
	v_dual_cndmask_b32 v29, 0, v5 :: v_dual_cndmask_b32 v28, 56, v4
	v_cmpx_gt_u64_e32 8, v[4:5]
	s_xor_b32 s1, exec_lo, s1
	s_cbranch_execz .LBB1_9
; %bb.4:                                ;   in Loop: Header=BB1_3 Depth=1
	s_waitcnt vmcnt(0)
	v_mov_b32_e32 v2, 0
	v_mov_b32_e32 v3, 0
	s_mov_b64 s[4:5], 0
	s_mov_b32 s6, exec_lo
	v_cmpx_ne_u64_e32 0, v[4:5]
	s_cbranch_execz .LBB1_8
; %bb.5:                                ;   in Loop: Header=BB1_3 Depth=1
	v_lshlrev_b64 v[12:13], 3, v[28:29]
	v_mov_b32_e32 v2, 0
	v_dual_mov_b32 v3, 0 :: v_dual_mov_b32 v14, v7
	v_mov_b32_e32 v13, v6
	s_mov_b32 s7, 0
	.p2align	6
.LBB1_6:                                ;   Parent Loop BB1_3 Depth=1
                                        ; =>  This Inner Loop Header: Depth=2
	flat_load_u8 v8, v[13:14]
	v_mov_b32_e32 v16, s12
	v_add_co_u32 v13, vcc_lo, v13, 1
	v_add_co_ci_u32_e32 v14, vcc_lo, 0, v14, vcc_lo
	s_waitcnt vmcnt(0) lgkmcnt(0)
	v_and_b32_e32 v15, 0xffff, v8
	s_delay_alu instid0(VALU_DEP_1) | instskip(SKIP_3) | instid1(VALU_DEP_2)
	v_lshlrev_b64 v[15:16], s4, v[15:16]
	s_add_u32 s4, s4, 8
	s_addc_u32 s5, s5, 0
	v_cmp_eq_u32_e64 s0, s4, v12
	v_or_b32_e32 v3, v16, v3
	s_delay_alu instid0(VALU_DEP_3) | instskip(NEXT) | instid1(VALU_DEP_3)
	v_or_b32_e32 v2, v15, v2
	s_or_b32 s7, s0, s7
	s_delay_alu instid0(SALU_CYCLE_1)
	s_and_not1_b32 exec_lo, exec_lo, s7
	s_cbranch_execnz .LBB1_6
; %bb.7:                                ;   in Loop: Header=BB1_3 Depth=1
	s_or_b32 exec_lo, exec_lo, s7
.LBB1_8:                                ;   in Loop: Header=BB1_3 Depth=1
	s_delay_alu instid0(SALU_CYCLE_1)
	s_or_b32 exec_lo, exec_lo, s6
	s_mov_b32 s4, 0
.LBB1_9:                                ;   in Loop: Header=BB1_3 Depth=1
	s_or_saveexec_b32 s0, s1
	v_dual_mov_b32 v8, s4 :: v_dual_mov_b32 v25, v7
	v_mov_b32_e32 v24, v6
	s_xor_b32 exec_lo, exec_lo, s0
	s_cbranch_execz .LBB1_11
; %bb.10:                               ;   in Loop: Header=BB1_3 Depth=1
	s_waitcnt vmcnt(0)
	flat_load_b64 v[2:3], v[6:7]
	v_add_co_u32 v24, vcc_lo, v6, 8
	v_add_co_ci_u32_e32 v25, vcc_lo, 0, v7, vcc_lo
	s_waitcnt vmcnt(0) lgkmcnt(0)
	v_and_b32_e32 v8, 0xff, v3
	v_and_b32_e32 v12, 0xff00, v3
	;; [unrolled: 1-line block ×4, first 2 shown]
	v_or3_b32 v2, v2, 0, 0
	s_delay_alu instid0(VALU_DEP_4) | instskip(SKIP_1) | instid1(VALU_DEP_2)
	v_or_b32_e32 v12, v8, v12
	v_add_nc_u32_e32 v8, -8, v28
	v_or3_b32 v3, v12, v13, v3
.LBB1_11:                               ;   in Loop: Header=BB1_3 Depth=1
	s_or_b32 exec_lo, exec_lo, s0
                                        ; implicit-def: $vgpr12_vgpr13
                                        ; implicit-def: $sgpr1
	s_delay_alu instid0(SALU_CYCLE_1) | instskip(NEXT) | instid1(VALU_DEP_2)
	s_mov_b32 s0, exec_lo
	v_cmpx_gt_u32_e32 8, v8
	s_xor_b32 s6, exec_lo, s0
	s_cbranch_execz .LBB1_17
; %bb.12:                               ;   in Loop: Header=BB1_3 Depth=1
	v_mov_b32_e32 v12, 0
	v_mov_b32_e32 v13, 0
	s_mov_b32 s7, exec_lo
	v_cmpx_ne_u32_e32 0, v8
	s_cbranch_execz .LBB1_16
; %bb.13:                               ;   in Loop: Header=BB1_3 Depth=1
	v_mov_b32_e32 v12, 0
	v_mov_b32_e32 v13, 0
	s_mov_b64 s[0:1], 0
	s_mov_b32 s13, 0
	s_mov_b64 s[4:5], 0
	.p2align	6
.LBB1_14:                               ;   Parent Loop BB1_3 Depth=1
                                        ; =>  This Inner Loop Header: Depth=2
	s_delay_alu instid0(SALU_CYCLE_1)
	v_add_co_u32 v14, vcc_lo, v24, s4
	v_add_co_ci_u32_e32 v15, vcc_lo, s5, v25, vcc_lo
	s_add_u32 s4, s4, 1
	s_addc_u32 s5, s5, 0
	v_cmp_eq_u32_e32 vcc_lo, s4, v8
	flat_load_u8 v14, v[14:15]
	s_waitcnt vmcnt(0) lgkmcnt(0)
	v_dual_mov_b32 v15, s12 :: v_dual_and_b32 v14, 0xffff, v14
	s_delay_alu instid0(VALU_DEP_1) | instskip(SKIP_3) | instid1(VALU_DEP_1)
	v_lshlrev_b64 v[14:15], s0, v[14:15]
	s_add_u32 s0, s0, 8
	s_addc_u32 s1, s1, 0
	s_or_b32 s13, vcc_lo, s13
	v_or_b32_e32 v13, v15, v13
	s_delay_alu instid0(VALU_DEP_2)
	v_or_b32_e32 v12, v14, v12
	s_and_not1_b32 exec_lo, exec_lo, s13
	s_cbranch_execnz .LBB1_14
; %bb.15:                               ;   in Loop: Header=BB1_3 Depth=1
	s_or_b32 exec_lo, exec_lo, s13
.LBB1_16:                               ;   in Loop: Header=BB1_3 Depth=1
	s_delay_alu instid0(SALU_CYCLE_1)
	s_or_b32 exec_lo, exec_lo, s7
	s_mov_b32 s1, 0
                                        ; implicit-def: $vgpr8
.LBB1_17:                               ;   in Loop: Header=BB1_3 Depth=1
	s_or_saveexec_b32 s0, s6
	v_mov_b32_e32 v16, s1
	s_xor_b32 exec_lo, exec_lo, s0
	s_cbranch_execz .LBB1_19
; %bb.18:                               ;   in Loop: Header=BB1_3 Depth=1
	flat_load_b64 v[12:13], v[24:25]
	v_add_co_u32 v24, vcc_lo, v24, 8
	v_add_nc_u32_e32 v16, -8, v8
	v_add_co_ci_u32_e32 v25, vcc_lo, 0, v25, vcc_lo
	s_waitcnt vmcnt(0) lgkmcnt(0)
	v_and_b32_e32 v14, 0xff, v13
	v_and_b32_e32 v15, 0xff00, v13
	;; [unrolled: 1-line block ×4, first 2 shown]
	v_or3_b32 v12, v12, 0, 0
	s_delay_alu instid0(VALU_DEP_4) | instskip(NEXT) | instid1(VALU_DEP_1)
	v_or_b32_e32 v14, v14, v15
	v_or3_b32 v13, v14, v17, v13
.LBB1_19:                               ;   in Loop: Header=BB1_3 Depth=1
	s_or_b32 exec_lo, exec_lo, s0
                                        ; implicit-def: $sgpr1
	s_delay_alu instid0(SALU_CYCLE_1)
	s_mov_b32 s0, exec_lo
	v_cmpx_gt_u32_e32 8, v16
	s_xor_b32 s6, exec_lo, s0
	s_cbranch_execz .LBB1_25
; %bb.20:                               ;   in Loop: Header=BB1_3 Depth=1
	v_mov_b32_e32 v14, 0
	v_mov_b32_e32 v15, 0
	s_mov_b32 s7, exec_lo
	v_cmpx_ne_u32_e32 0, v16
	s_cbranch_execz .LBB1_24
; %bb.21:                               ;   in Loop: Header=BB1_3 Depth=1
	v_mov_b32_e32 v14, 0
	v_mov_b32_e32 v15, 0
	s_mov_b64 s[0:1], 0
	s_mov_b32 s13, 0
	s_mov_b64 s[4:5], 0
	.p2align	6
.LBB1_22:                               ;   Parent Loop BB1_3 Depth=1
                                        ; =>  This Inner Loop Header: Depth=2
	s_delay_alu instid0(SALU_CYCLE_1)
	v_add_co_u32 v17, vcc_lo, v24, s4
	v_add_co_ci_u32_e32 v18, vcc_lo, s5, v25, vcc_lo
	s_add_u32 s4, s4, 1
	s_addc_u32 s5, s5, 0
	v_cmp_eq_u32_e32 vcc_lo, s4, v16
	flat_load_u8 v8, v[17:18]
	s_waitcnt vmcnt(0) lgkmcnt(0)
	v_dual_mov_b32 v18, s12 :: v_dual_and_b32 v17, 0xffff, v8
	s_delay_alu instid0(VALU_DEP_1) | instskip(SKIP_3) | instid1(VALU_DEP_1)
	v_lshlrev_b64 v[17:18], s0, v[17:18]
	s_add_u32 s0, s0, 8
	s_addc_u32 s1, s1, 0
	s_or_b32 s13, vcc_lo, s13
	v_or_b32_e32 v15, v18, v15
	s_delay_alu instid0(VALU_DEP_2)
	v_or_b32_e32 v14, v17, v14
	s_and_not1_b32 exec_lo, exec_lo, s13
	s_cbranch_execnz .LBB1_22
; %bb.23:                               ;   in Loop: Header=BB1_3 Depth=1
	s_or_b32 exec_lo, exec_lo, s13
.LBB1_24:                               ;   in Loop: Header=BB1_3 Depth=1
	s_delay_alu instid0(SALU_CYCLE_1)
	s_or_b32 exec_lo, exec_lo, s7
	s_mov_b32 s1, 0
                                        ; implicit-def: $vgpr16
.LBB1_25:                               ;   in Loop: Header=BB1_3 Depth=1
	s_or_saveexec_b32 s0, s6
	v_mov_b32_e32 v8, s1
	s_xor_b32 exec_lo, exec_lo, s0
	s_cbranch_execz .LBB1_27
; %bb.26:                               ;   in Loop: Header=BB1_3 Depth=1
	flat_load_b64 v[14:15], v[24:25]
	v_add_co_u32 v24, vcc_lo, v24, 8
	v_add_co_ci_u32_e32 v25, vcc_lo, 0, v25, vcc_lo
	s_waitcnt vmcnt(0) lgkmcnt(0)
	v_and_b32_e32 v8, 0xff, v15
	v_and_b32_e32 v17, 0xff00, v15
	;; [unrolled: 1-line block ×4, first 2 shown]
	v_or3_b32 v14, v14, 0, 0
	s_delay_alu instid0(VALU_DEP_4) | instskip(SKIP_1) | instid1(VALU_DEP_2)
	v_or_b32_e32 v17, v8, v17
	v_add_nc_u32_e32 v8, -8, v16
	v_or3_b32 v15, v17, v18, v15
.LBB1_27:                               ;   in Loop: Header=BB1_3 Depth=1
	s_or_b32 exec_lo, exec_lo, s0
                                        ; implicit-def: $vgpr16_vgpr17
                                        ; implicit-def: $sgpr1
	s_delay_alu instid0(SALU_CYCLE_1) | instskip(NEXT) | instid1(VALU_DEP_1)
	s_mov_b32 s0, exec_lo
	v_cmpx_gt_u32_e32 8, v8
	s_xor_b32 s6, exec_lo, s0
	s_cbranch_execz .LBB1_33
; %bb.28:                               ;   in Loop: Header=BB1_3 Depth=1
	v_mov_b32_e32 v16, 0
	v_mov_b32_e32 v17, 0
	s_mov_b32 s7, exec_lo
	v_cmpx_ne_u32_e32 0, v8
	s_cbranch_execz .LBB1_32
; %bb.29:                               ;   in Loop: Header=BB1_3 Depth=1
	v_mov_b32_e32 v16, 0
	v_mov_b32_e32 v17, 0
	s_mov_b64 s[0:1], 0
	s_mov_b32 s13, 0
	s_mov_b64 s[4:5], 0
	.p2align	6
.LBB1_30:                               ;   Parent Loop BB1_3 Depth=1
                                        ; =>  This Inner Loop Header: Depth=2
	s_delay_alu instid0(SALU_CYCLE_1)
	v_add_co_u32 v18, vcc_lo, v24, s4
	v_add_co_ci_u32_e32 v19, vcc_lo, s5, v25, vcc_lo
	s_add_u32 s4, s4, 1
	s_addc_u32 s5, s5, 0
	v_cmp_eq_u32_e32 vcc_lo, s4, v8
	flat_load_u8 v18, v[18:19]
	s_waitcnt vmcnt(0) lgkmcnt(0)
	v_dual_mov_b32 v19, s12 :: v_dual_and_b32 v18, 0xffff, v18
	s_delay_alu instid0(VALU_DEP_1) | instskip(SKIP_3) | instid1(VALU_DEP_1)
	v_lshlrev_b64 v[18:19], s0, v[18:19]
	s_add_u32 s0, s0, 8
	s_addc_u32 s1, s1, 0
	s_or_b32 s13, vcc_lo, s13
	v_or_b32_e32 v17, v19, v17
	s_delay_alu instid0(VALU_DEP_2)
	v_or_b32_e32 v16, v18, v16
	s_and_not1_b32 exec_lo, exec_lo, s13
	s_cbranch_execnz .LBB1_30
; %bb.31:                               ;   in Loop: Header=BB1_3 Depth=1
	s_or_b32 exec_lo, exec_lo, s13
.LBB1_32:                               ;   in Loop: Header=BB1_3 Depth=1
	s_delay_alu instid0(SALU_CYCLE_1)
	s_or_b32 exec_lo, exec_lo, s7
	s_mov_b32 s1, 0
                                        ; implicit-def: $vgpr8
.LBB1_33:                               ;   in Loop: Header=BB1_3 Depth=1
	s_or_saveexec_b32 s0, s6
	v_mov_b32_e32 v20, s1
	s_xor_b32 exec_lo, exec_lo, s0
	s_cbranch_execz .LBB1_35
; %bb.34:                               ;   in Loop: Header=BB1_3 Depth=1
	flat_load_b64 v[16:17], v[24:25]
	v_add_co_u32 v24, vcc_lo, v24, 8
	v_add_nc_u32_e32 v20, -8, v8
	v_add_co_ci_u32_e32 v25, vcc_lo, 0, v25, vcc_lo
	s_waitcnt vmcnt(0) lgkmcnt(0)
	v_and_b32_e32 v18, 0xff, v17
	v_and_b32_e32 v19, 0xff00, v17
	;; [unrolled: 1-line block ×4, first 2 shown]
	v_or3_b32 v16, v16, 0, 0
	s_delay_alu instid0(VALU_DEP_4) | instskip(NEXT) | instid1(VALU_DEP_1)
	v_or_b32_e32 v18, v18, v19
	v_or3_b32 v17, v18, v21, v17
.LBB1_35:                               ;   in Loop: Header=BB1_3 Depth=1
	s_or_b32 exec_lo, exec_lo, s0
                                        ; implicit-def: $sgpr1
	s_delay_alu instid0(SALU_CYCLE_1)
	s_mov_b32 s0, exec_lo
	v_cmpx_gt_u32_e32 8, v20
	s_xor_b32 s6, exec_lo, s0
	s_cbranch_execz .LBB1_41
; %bb.36:                               ;   in Loop: Header=BB1_3 Depth=1
	v_mov_b32_e32 v18, 0
	v_mov_b32_e32 v19, 0
	s_mov_b32 s7, exec_lo
	v_cmpx_ne_u32_e32 0, v20
	s_cbranch_execz .LBB1_40
; %bb.37:                               ;   in Loop: Header=BB1_3 Depth=1
	v_mov_b32_e32 v18, 0
	v_mov_b32_e32 v19, 0
	s_mov_b64 s[0:1], 0
	s_mov_b32 s13, 0
	s_mov_b64 s[4:5], 0
	.p2align	6
.LBB1_38:                               ;   Parent Loop BB1_3 Depth=1
                                        ; =>  This Inner Loop Header: Depth=2
	s_delay_alu instid0(SALU_CYCLE_1)
	v_add_co_u32 v21, vcc_lo, v24, s4
	v_add_co_ci_u32_e32 v22, vcc_lo, s5, v25, vcc_lo
	s_add_u32 s4, s4, 1
	s_addc_u32 s5, s5, 0
	v_cmp_eq_u32_e32 vcc_lo, s4, v20
	flat_load_u8 v8, v[21:22]
	s_waitcnt vmcnt(0) lgkmcnt(0)
	v_dual_mov_b32 v22, s12 :: v_dual_and_b32 v21, 0xffff, v8
	s_delay_alu instid0(VALU_DEP_1) | instskip(SKIP_3) | instid1(VALU_DEP_1)
	v_lshlrev_b64 v[21:22], s0, v[21:22]
	s_add_u32 s0, s0, 8
	s_addc_u32 s1, s1, 0
	s_or_b32 s13, vcc_lo, s13
	v_or_b32_e32 v19, v22, v19
	s_delay_alu instid0(VALU_DEP_2)
	v_or_b32_e32 v18, v21, v18
	s_and_not1_b32 exec_lo, exec_lo, s13
	s_cbranch_execnz .LBB1_38
; %bb.39:                               ;   in Loop: Header=BB1_3 Depth=1
	s_or_b32 exec_lo, exec_lo, s13
.LBB1_40:                               ;   in Loop: Header=BB1_3 Depth=1
	s_delay_alu instid0(SALU_CYCLE_1)
	s_or_b32 exec_lo, exec_lo, s7
	s_mov_b32 s1, 0
                                        ; implicit-def: $vgpr20
.LBB1_41:                               ;   in Loop: Header=BB1_3 Depth=1
	s_or_saveexec_b32 s0, s6
	v_mov_b32_e32 v8, s1
	s_xor_b32 exec_lo, exec_lo, s0
	s_cbranch_execz .LBB1_43
; %bb.42:                               ;   in Loop: Header=BB1_3 Depth=1
	flat_load_b64 v[18:19], v[24:25]
	v_add_co_u32 v24, vcc_lo, v24, 8
	v_add_co_ci_u32_e32 v25, vcc_lo, 0, v25, vcc_lo
	s_waitcnt vmcnt(0) lgkmcnt(0)
	v_and_b32_e32 v8, 0xff, v19
	v_and_b32_e32 v21, 0xff00, v19
	v_and_b32_e32 v22, 0xff0000, v19
	v_and_b32_e32 v19, 0xff000000, v19
	v_or3_b32 v18, v18, 0, 0
	s_delay_alu instid0(VALU_DEP_4) | instskip(SKIP_1) | instid1(VALU_DEP_2)
	v_or_b32_e32 v21, v8, v21
	v_add_nc_u32_e32 v8, -8, v20
	v_or3_b32 v19, v21, v22, v19
.LBB1_43:                               ;   in Loop: Header=BB1_3 Depth=1
	s_or_b32 exec_lo, exec_lo, s0
                                        ; implicit-def: $vgpr20_vgpr21
                                        ; implicit-def: $sgpr1
	s_delay_alu instid0(SALU_CYCLE_1) | instskip(NEXT) | instid1(VALU_DEP_1)
	s_mov_b32 s0, exec_lo
	v_cmpx_gt_u32_e32 8, v8
	s_xor_b32 s6, exec_lo, s0
	s_cbranch_execz .LBB1_49
; %bb.44:                               ;   in Loop: Header=BB1_3 Depth=1
	v_mov_b32_e32 v20, 0
	v_mov_b32_e32 v21, 0
	s_mov_b32 s7, exec_lo
	v_cmpx_ne_u32_e32 0, v8
	s_cbranch_execz .LBB1_48
; %bb.45:                               ;   in Loop: Header=BB1_3 Depth=1
	v_mov_b32_e32 v20, 0
	v_mov_b32_e32 v21, 0
	s_mov_b64 s[0:1], 0
	s_mov_b32 s13, 0
	s_mov_b64 s[4:5], 0
	.p2align	6
.LBB1_46:                               ;   Parent Loop BB1_3 Depth=1
                                        ; =>  This Inner Loop Header: Depth=2
	s_delay_alu instid0(SALU_CYCLE_1)
	v_add_co_u32 v22, vcc_lo, v24, s4
	v_add_co_ci_u32_e32 v23, vcc_lo, s5, v25, vcc_lo
	s_add_u32 s4, s4, 1
	s_addc_u32 s5, s5, 0
	v_cmp_eq_u32_e32 vcc_lo, s4, v8
	flat_load_u8 v22, v[22:23]
	s_waitcnt vmcnt(0) lgkmcnt(0)
	v_dual_mov_b32 v23, s12 :: v_dual_and_b32 v22, 0xffff, v22
	s_delay_alu instid0(VALU_DEP_1) | instskip(SKIP_3) | instid1(VALU_DEP_1)
	v_lshlrev_b64 v[22:23], s0, v[22:23]
	s_add_u32 s0, s0, 8
	s_addc_u32 s1, s1, 0
	s_or_b32 s13, vcc_lo, s13
	v_or_b32_e32 v21, v23, v21
	s_delay_alu instid0(VALU_DEP_2)
	v_or_b32_e32 v20, v22, v20
	s_and_not1_b32 exec_lo, exec_lo, s13
	s_cbranch_execnz .LBB1_46
; %bb.47:                               ;   in Loop: Header=BB1_3 Depth=1
	s_or_b32 exec_lo, exec_lo, s13
.LBB1_48:                               ;   in Loop: Header=BB1_3 Depth=1
	s_delay_alu instid0(SALU_CYCLE_1)
	s_or_b32 exec_lo, exec_lo, s7
	s_mov_b32 s1, 0
                                        ; implicit-def: $vgpr8
.LBB1_49:                               ;   in Loop: Header=BB1_3 Depth=1
	s_or_saveexec_b32 s0, s6
	v_mov_b32_e32 v26, s1
	s_xor_b32 exec_lo, exec_lo, s0
	s_cbranch_execz .LBB1_51
; %bb.50:                               ;   in Loop: Header=BB1_3 Depth=1
	flat_load_b64 v[20:21], v[24:25]
	v_add_co_u32 v24, vcc_lo, v24, 8
	v_add_nc_u32_e32 v26, -8, v8
	v_add_co_ci_u32_e32 v25, vcc_lo, 0, v25, vcc_lo
	s_waitcnt vmcnt(0) lgkmcnt(0)
	v_and_b32_e32 v22, 0xff, v21
	v_and_b32_e32 v23, 0xff00, v21
	v_and_b32_e32 v27, 0xff0000, v21
	v_and_b32_e32 v21, 0xff000000, v21
	v_or3_b32 v20, v20, 0, 0
	s_delay_alu instid0(VALU_DEP_4) | instskip(NEXT) | instid1(VALU_DEP_1)
	v_or_b32_e32 v22, v22, v23
	v_or3_b32 v21, v22, v27, v21
.LBB1_51:                               ;   in Loop: Header=BB1_3 Depth=1
	s_or_b32 exec_lo, exec_lo, s0
	s_delay_alu instid0(SALU_CYCLE_1)
	s_mov_b32 s0, exec_lo
	v_cmpx_gt_u32_e32 8, v26
	s_xor_b32 s4, exec_lo, s0
	s_cbranch_execz .LBB1_57
; %bb.52:                               ;   in Loop: Header=BB1_3 Depth=1
	v_mov_b32_e32 v22, 0
	v_mov_b32_e32 v23, 0
	s_mov_b32 s5, exec_lo
	v_cmpx_ne_u32_e32 0, v26
	s_cbranch_execz .LBB1_56
; %bb.53:                               ;   in Loop: Header=BB1_3 Depth=1
	v_mov_b32_e32 v22, 0
	v_mov_b32_e32 v23, 0
	s_mov_b64 s[0:1], 0
	s_mov_b32 s6, 0
	.p2align	6
.LBB1_54:                               ;   Parent Loop BB1_3 Depth=1
                                        ; =>  This Inner Loop Header: Depth=2
	flat_load_u8 v8, v[24:25]
	v_dual_mov_b32 v31, s12 :: v_dual_add_nc_u32 v26, -1, v26
	v_add_co_u32 v24, vcc_lo, v24, 1
	v_add_co_ci_u32_e32 v25, vcc_lo, 0, v25, vcc_lo
	s_delay_alu instid0(VALU_DEP_3) | instskip(SKIP_2) | instid1(VALU_DEP_1)
	v_cmp_eq_u32_e32 vcc_lo, 0, v26
	s_waitcnt vmcnt(0) lgkmcnt(0)
	v_and_b32_e32 v30, 0xffff, v8
	v_lshlrev_b64 v[30:31], s0, v[30:31]
	s_add_u32 s0, s0, 8
	s_addc_u32 s1, s1, 0
	s_or_b32 s6, vcc_lo, s6
	s_delay_alu instid0(VALU_DEP_1) | instskip(NEXT) | instid1(VALU_DEP_2)
	v_or_b32_e32 v23, v31, v23
	v_or_b32_e32 v22, v30, v22
	s_and_not1_b32 exec_lo, exec_lo, s6
	s_cbranch_execnz .LBB1_54
; %bb.55:                               ;   in Loop: Header=BB1_3 Depth=1
	s_or_b32 exec_lo, exec_lo, s6
.LBB1_56:                               ;   in Loop: Header=BB1_3 Depth=1
	s_delay_alu instid0(SALU_CYCLE_1)
	s_or_b32 exec_lo, exec_lo, s5
                                        ; implicit-def: $vgpr24_vgpr25
.LBB1_57:                               ;   in Loop: Header=BB1_3 Depth=1
	s_and_not1_saveexec_b32 s0, s4
	s_cbranch_execz .LBB1_59
; %bb.58:                               ;   in Loop: Header=BB1_3 Depth=1
	flat_load_b64 v[22:23], v[24:25]
	s_waitcnt vmcnt(0) lgkmcnt(0)
	v_and_b32_e32 v8, 0xff, v23
	v_and_b32_e32 v24, 0xff00, v23
	;; [unrolled: 1-line block ×4, first 2 shown]
	v_or3_b32 v22, v22, 0, 0
	s_delay_alu instid0(VALU_DEP_4) | instskip(NEXT) | instid1(VALU_DEP_1)
	v_or_b32_e32 v8, v8, v24
	v_or3_b32 v23, v8, v25, v23
.LBB1_59:                               ;   in Loop: Header=BB1_3 Depth=1
	s_or_b32 exec_lo, exec_lo, s0
	v_readfirstlane_b32 s0, v32
	v_mov_b32_e32 v30, 0
	v_mov_b32_e32 v31, 0
	s_delay_alu instid0(VALU_DEP_3) | instskip(NEXT) | instid1(VALU_DEP_1)
	v_cmp_eq_u32_e64 s0, s0, v32
	s_and_saveexec_b32 s1, s0
	s_cbranch_execz .LBB1_65
; %bb.60:                               ;   in Loop: Header=BB1_3 Depth=1
	s_waitcnt lgkmcnt(0)
	global_load_b64 v[26:27], v9, s[2:3] offset:24 glc
	s_waitcnt vmcnt(0)
	buffer_gl1_inv
	buffer_gl0_inv
	s_clause 0x1
	global_load_b64 v[24:25], v9, s[2:3] offset:40
	global_load_b64 v[30:31], v9, s[2:3]
	s_mov_b32 s4, exec_lo
	s_waitcnt vmcnt(1)
	v_and_b32_e32 v8, v25, v27
	v_and_b32_e32 v24, v24, v26
	s_delay_alu instid0(VALU_DEP_2) | instskip(NEXT) | instid1(VALU_DEP_2)
	v_mul_lo_u32 v8, v8, 24
	v_mul_hi_u32 v25, v24, 24
	v_mul_lo_u32 v24, v24, 24
	s_delay_alu instid0(VALU_DEP_2) | instskip(SKIP_1) | instid1(VALU_DEP_2)
	v_add_nc_u32_e32 v8, v25, v8
	s_waitcnt vmcnt(0)
	v_add_co_u32 v24, vcc_lo, v30, v24
	s_delay_alu instid0(VALU_DEP_2)
	v_add_co_ci_u32_e32 v25, vcc_lo, v31, v8, vcc_lo
	global_load_b64 v[24:25], v[24:25], off glc
	s_waitcnt vmcnt(0)
	global_atomic_cmpswap_b64 v[30:31], v9, v[24:27], s[2:3] offset:24 glc
	s_waitcnt vmcnt(0)
	buffer_gl1_inv
	buffer_gl0_inv
	v_cmpx_ne_u64_e64 v[30:31], v[26:27]
	s_cbranch_execz .LBB1_64
; %bb.61:                               ;   in Loop: Header=BB1_3 Depth=1
	s_mov_b32 s5, 0
	.p2align	6
.LBB1_62:                               ;   Parent Loop BB1_3 Depth=1
                                        ; =>  This Inner Loop Header: Depth=2
	s_sleep 1
	s_clause 0x1
	global_load_b64 v[24:25], v9, s[2:3] offset:40
	global_load_b64 v[34:35], v9, s[2:3]
	v_dual_mov_b32 v26, v30 :: v_dual_mov_b32 v27, v31
	s_waitcnt vmcnt(1)
	s_delay_alu instid0(VALU_DEP_1) | instskip(SKIP_1) | instid1(VALU_DEP_1)
	v_and_b32_e32 v8, v24, v26
	s_waitcnt vmcnt(0)
	v_mad_u64_u32 v[30:31], null, v8, 24, v[34:35]
	v_and_b32_e32 v34, v25, v27
	s_delay_alu instid0(VALU_DEP_2) | instskip(NEXT) | instid1(VALU_DEP_1)
	v_mov_b32_e32 v8, v31
	v_mad_u64_u32 v[24:25], null, v34, 24, v[8:9]
	s_delay_alu instid0(VALU_DEP_1)
	v_mov_b32_e32 v31, v24
	global_load_b64 v[24:25], v[30:31], off glc
	s_waitcnt vmcnt(0)
	global_atomic_cmpswap_b64 v[30:31], v9, v[24:27], s[2:3] offset:24 glc
	s_waitcnt vmcnt(0)
	buffer_gl1_inv
	buffer_gl0_inv
	v_cmp_eq_u64_e32 vcc_lo, v[30:31], v[26:27]
	s_or_b32 s5, vcc_lo, s5
	s_delay_alu instid0(SALU_CYCLE_1)
	s_and_not1_b32 exec_lo, exec_lo, s5
	s_cbranch_execnz .LBB1_62
; %bb.63:                               ;   in Loop: Header=BB1_3 Depth=1
	s_or_b32 exec_lo, exec_lo, s5
.LBB1_64:                               ;   in Loop: Header=BB1_3 Depth=1
	s_delay_alu instid0(SALU_CYCLE_1)
	s_or_b32 exec_lo, exec_lo, s4
.LBB1_65:                               ;   in Loop: Header=BB1_3 Depth=1
	s_delay_alu instid0(SALU_CYCLE_1)
	s_or_b32 exec_lo, exec_lo, s1
	s_waitcnt lgkmcnt(0)
	s_clause 0x1
	global_load_b64 v[34:35], v9, s[2:3] offset:40
	global_load_b128 v[24:27], v9, s[2:3]
	v_readfirstlane_b32 s4, v30
	v_readfirstlane_b32 s5, v31
	s_mov_b32 s1, exec_lo
	s_waitcnt vmcnt(1)
	v_readfirstlane_b32 s6, v34
	v_readfirstlane_b32 s7, v35
	s_delay_alu instid0(VALU_DEP_1) | instskip(NEXT) | instid1(SALU_CYCLE_1)
	s_and_b64 s[6:7], s[4:5], s[6:7]
	s_mul_i32 s13, s7, 24
	s_mul_hi_u32 s14, s6, 24
	s_mul_i32 s15, s6, 24
	s_add_i32 s14, s14, s13
	s_waitcnt vmcnt(0)
	v_add_co_u32 v30, vcc_lo, v24, s15
	v_add_co_ci_u32_e32 v31, vcc_lo, s14, v25, vcc_lo
	s_and_saveexec_b32 s13, s0
	s_cbranch_execz .LBB1_67
; %bb.66:                               ;   in Loop: Header=BB1_3 Depth=1
	v_mov_b32_e32 v8, s1
	global_store_b128 v[30:31], v[8:11], off offset:8
.LBB1_67:                               ;   in Loop: Header=BB1_3 Depth=1
	s_or_b32 exec_lo, exec_lo, s13
	v_cmp_lt_u64_e32 vcc_lo, 56, v[4:5]
	v_or_b32_e32 v8, 0, v1
	v_or_b32_e32 v34, v0, v33
	v_lshl_add_u32 v35, v28, 2, 28
	s_lshl_b64 s[6:7], s[6:7], 12
	s_delay_alu instid0(SALU_CYCLE_1) | instskip(NEXT) | instid1(VALU_DEP_1)
	v_add_co_u32 v26, s1, v26, s6
	v_add_co_ci_u32_e64 v27, s1, s7, v27, s1
	v_dual_cndmask_b32 v1, v8, v1 :: v_dual_cndmask_b32 v0, v34, v0
	v_and_b32_e32 v8, 0x1e0, v35
	v_lshlrev_b32_e32 v34, 6, v32
	v_readfirstlane_b32 s6, v26
	v_readfirstlane_b32 s7, v27
	s_delay_alu instid0(VALU_DEP_4)
	v_and_or_b32 v0, 0xffffff1f, v0, v8
	s_clause 0x3
	global_store_b128 v34, v[0:3], s[6:7]
	global_store_b128 v34, v[12:15], s[6:7] offset:16
	global_store_b128 v34, v[16:19], s[6:7] offset:32
	;; [unrolled: 1-line block ×3, first 2 shown]
	s_and_saveexec_b32 s1, s0
	s_cbranch_execz .LBB1_75
; %bb.68:                               ;   in Loop: Header=BB1_3 Depth=1
	s_clause 0x1
	global_load_b64 v[16:17], v9, s[2:3] offset:32 glc
	global_load_b64 v[0:1], v9, s[2:3] offset:40
	v_dual_mov_b32 v14, s4 :: v_dual_mov_b32 v15, s5
	s_waitcnt vmcnt(0)
	v_readfirstlane_b32 s6, v0
	v_readfirstlane_b32 s7, v1
	s_delay_alu instid0(VALU_DEP_1) | instskip(NEXT) | instid1(SALU_CYCLE_1)
	s_and_b64 s[6:7], s[6:7], s[4:5]
	s_mul_i32 s7, s7, 24
	s_mul_hi_u32 s13, s6, 24
	s_mul_i32 s6, s6, 24
	s_add_i32 s13, s13, s7
	v_add_co_u32 v12, vcc_lo, v24, s6
	v_add_co_ci_u32_e32 v13, vcc_lo, s13, v25, vcc_lo
	s_mov_b32 s6, exec_lo
	global_store_b64 v[12:13], v[16:17], off
	s_waitcnt_vscnt null, 0x0
	global_atomic_cmpswap_b64 v[2:3], v9, v[14:17], s[2:3] offset:32 glc
	s_waitcnt vmcnt(0)
	v_cmpx_ne_u64_e64 v[2:3], v[16:17]
	s_cbranch_execz .LBB1_71
; %bb.69:                               ;   in Loop: Header=BB1_3 Depth=1
	s_mov_b32 s7, 0
.LBB1_70:                               ;   Parent Loop BB1_3 Depth=1
                                        ; =>  This Inner Loop Header: Depth=2
	v_dual_mov_b32 v0, s4 :: v_dual_mov_b32 v1, s5
	s_sleep 1
	global_store_b64 v[12:13], v[2:3], off
	s_waitcnt_vscnt null, 0x0
	global_atomic_cmpswap_b64 v[0:1], v9, v[0:3], s[2:3] offset:32 glc
	s_waitcnt vmcnt(0)
	v_cmp_eq_u64_e32 vcc_lo, v[0:1], v[2:3]
	v_dual_mov_b32 v3, v1 :: v_dual_mov_b32 v2, v0
	s_or_b32 s7, vcc_lo, s7
	s_delay_alu instid0(SALU_CYCLE_1)
	s_and_not1_b32 exec_lo, exec_lo, s7
	s_cbranch_execnz .LBB1_70
.LBB1_71:                               ;   in Loop: Header=BB1_3 Depth=1
	s_or_b32 exec_lo, exec_lo, s6
	global_load_b64 v[0:1], v9, s[2:3] offset:16
	s_mov_b32 s7, exec_lo
	s_mov_b32 s6, exec_lo
	v_mbcnt_lo_u32_b32 v2, s7, 0
	s_delay_alu instid0(VALU_DEP_1)
	v_cmpx_eq_u32_e32 0, v2
	s_cbranch_execz .LBB1_73
; %bb.72:                               ;   in Loop: Header=BB1_3 Depth=1
	s_bcnt1_i32_b32 s7, s7
	s_delay_alu instid0(SALU_CYCLE_1)
	v_mov_b32_e32 v8, s7
	s_waitcnt vmcnt(0)
	global_atomic_add_u64 v[0:1], v[8:9], off offset:8
.LBB1_73:                               ;   in Loop: Header=BB1_3 Depth=1
	s_or_b32 exec_lo, exec_lo, s6
	s_waitcnt vmcnt(0)
	global_load_b64 v[2:3], v[0:1], off offset:16
	s_waitcnt vmcnt(0)
	v_cmp_eq_u64_e32 vcc_lo, 0, v[2:3]
	s_cbranch_vccnz .LBB1_75
; %bb.74:                               ;   in Loop: Header=BB1_3 Depth=1
	global_load_b32 v8, v[0:1], off offset:24
	s_waitcnt vmcnt(0)
	v_and_b32_e32 v0, 0xffffff, v8
	s_waitcnt_vscnt null, 0x0
	global_store_b64 v[2:3], v[8:9], off
	v_readfirstlane_b32 m0, v0
	s_sendmsg sendmsg(MSG_INTERRUPT)
.LBB1_75:                               ;   in Loop: Header=BB1_3 Depth=1
	s_or_b32 exec_lo, exec_lo, s1
	v_add_co_u32 v0, vcc_lo, v26, v34
	v_add_co_ci_u32_e32 v1, vcc_lo, 0, v27, vcc_lo
	s_branch .LBB1_79
	.p2align	6
.LBB1_76:                               ;   in Loop: Header=BB1_79 Depth=2
	s_or_b32 exec_lo, exec_lo, s1
	s_delay_alu instid0(VALU_DEP_1) | instskip(NEXT) | instid1(VALU_DEP_1)
	v_readfirstlane_b32 s1, v2
	s_cmp_eq_u32 s1, 0
	s_cbranch_scc1 .LBB1_78
; %bb.77:                               ;   in Loop: Header=BB1_79 Depth=2
	s_sleep 1
	s_cbranch_execnz .LBB1_79
	s_branch .LBB1_81
	.p2align	6
.LBB1_78:                               ;   in Loop: Header=BB1_3 Depth=1
	s_branch .LBB1_81
.LBB1_79:                               ;   Parent Loop BB1_3 Depth=1
                                        ; =>  This Inner Loop Header: Depth=2
	v_mov_b32_e32 v2, 1
	s_and_saveexec_b32 s1, s0
	s_cbranch_execz .LBB1_76
; %bb.80:                               ;   in Loop: Header=BB1_79 Depth=2
	global_load_b32 v2, v[30:31], off offset:20 glc
	s_waitcnt vmcnt(0)
	buffer_gl1_inv
	buffer_gl0_inv
	v_and_b32_e32 v2, 1, v2
	s_branch .LBB1_76
.LBB1_81:                               ;   in Loop: Header=BB1_3 Depth=1
	global_load_b128 v[0:3], v[0:1], off
	s_and_saveexec_b32 s1, s0
	s_cbranch_execz .LBB1_2
; %bb.82:                               ;   in Loop: Header=BB1_3 Depth=1
	s_clause 0x2
	global_load_b64 v[2:3], v9, s[2:3] offset:40
	global_load_b64 v[16:17], v9, s[2:3] offset:24 glc
	global_load_b64 v[14:15], v9, s[2:3]
	s_waitcnt vmcnt(2)
	v_add_co_u32 v8, vcc_lo, v2, 1
	v_add_co_ci_u32_e32 v18, vcc_lo, 0, v3, vcc_lo
	s_delay_alu instid0(VALU_DEP_2) | instskip(NEXT) | instid1(VALU_DEP_2)
	v_add_co_u32 v12, vcc_lo, v8, s4
	v_add_co_ci_u32_e32 v13, vcc_lo, s5, v18, vcc_lo
	s_delay_alu instid0(VALU_DEP_1) | instskip(SKIP_1) | instid1(VALU_DEP_1)
	v_cmp_eq_u64_e32 vcc_lo, 0, v[12:13]
	v_dual_cndmask_b32 v13, v13, v18 :: v_dual_cndmask_b32 v12, v12, v8
	v_and_b32_e32 v3, v13, v3
	s_delay_alu instid0(VALU_DEP_2) | instskip(NEXT) | instid1(VALU_DEP_1)
	v_and_b32_e32 v2, v12, v2
	v_mul_hi_u32 v8, v2, 24
	v_mul_lo_u32 v2, v2, 24
	s_waitcnt vmcnt(0)
	s_delay_alu instid0(VALU_DEP_1) | instskip(SKIP_2) | instid1(VALU_DEP_1)
	v_add_co_u32 v2, vcc_lo, v14, v2
	v_mov_b32_e32 v14, v16
	v_mul_lo_u32 v3, v3, 24
	v_add_nc_u32_e32 v3, v8, v3
	s_delay_alu instid0(VALU_DEP_1)
	v_add_co_ci_u32_e32 v3, vcc_lo, v15, v3, vcc_lo
	v_mov_b32_e32 v15, v17
	global_store_b64 v[2:3], v[16:17], off
	s_waitcnt_vscnt null, 0x0
	global_atomic_cmpswap_b64 v[14:15], v9, v[12:15], s[2:3] offset:24 glc
	s_waitcnt vmcnt(0)
	v_cmp_ne_u64_e32 vcc_lo, v[14:15], v[16:17]
	s_and_b32 exec_lo, exec_lo, vcc_lo
	s_cbranch_execz .LBB1_2
; %bb.83:                               ;   in Loop: Header=BB1_3 Depth=1
	s_mov_b32 s0, 0
.LBB1_84:                               ;   Parent Loop BB1_3 Depth=1
                                        ; =>  This Inner Loop Header: Depth=2
	s_sleep 1
	global_store_b64 v[2:3], v[14:15], off
	s_waitcnt_vscnt null, 0x0
	global_atomic_cmpswap_b64 v[16:17], v9, v[12:15], s[2:3] offset:24 glc
	s_waitcnt vmcnt(0)
	v_cmp_eq_u64_e32 vcc_lo, v[16:17], v[14:15]
	v_dual_mov_b32 v14, v16 :: v_dual_mov_b32 v15, v17
	s_or_b32 s0, vcc_lo, s0
	s_delay_alu instid0(SALU_CYCLE_1)
	s_and_not1_b32 exec_lo, exec_lo, s0
	s_cbranch_execnz .LBB1_84
	s_branch .LBB1_2
.LBB1_85:
	s_or_b32 exec_lo, exec_lo, s11
                                        ; implicit-def: $vgpr3
                                        ; implicit-def: $vgpr32
.LBB1_86:
	s_and_not1_saveexec_b32 s1, s10
	s_cbranch_execz .LBB1_108
; %bb.87:
	s_load_b64 s[2:3], s[8:9], 0x50
	v_readfirstlane_b32 s0, v32
	v_mov_b32_e32 v8, 0
	v_mov_b32_e32 v9, 0
	s_delay_alu instid0(VALU_DEP_3) | instskip(NEXT) | instid1(VALU_DEP_1)
	v_cmp_eq_u32_e64 s0, s0, v32
	s_and_saveexec_b32 s4, s0
	s_cbranch_execz .LBB1_93
; %bb.88:
	s_waitcnt vmcnt(0)
	v_mov_b32_e32 v0, 0
	s_mov_b32 s5, exec_lo
	s_waitcnt lgkmcnt(0)
	global_load_b64 v[6:7], v0, s[2:3] offset:24 glc
	s_waitcnt vmcnt(0)
	buffer_gl1_inv
	buffer_gl0_inv
	s_clause 0x1
	global_load_b64 v[4:5], v0, s[2:3] offset:40
	global_load_b64 v[8:9], v0, s[2:3]
	s_waitcnt vmcnt(1)
	v_and_b32_e32 v2, v5, v7
	v_and_b32_e32 v4, v4, v6
	s_delay_alu instid0(VALU_DEP_2) | instskip(NEXT) | instid1(VALU_DEP_2)
	v_mul_lo_u32 v2, v2, 24
	v_mul_hi_u32 v5, v4, 24
	v_mul_lo_u32 v4, v4, 24
	s_delay_alu instid0(VALU_DEP_2) | instskip(SKIP_1) | instid1(VALU_DEP_2)
	v_add_nc_u32_e32 v2, v5, v2
	s_waitcnt vmcnt(0)
	v_add_co_u32 v4, vcc_lo, v8, v4
	s_delay_alu instid0(VALU_DEP_2)
	v_add_co_ci_u32_e32 v5, vcc_lo, v9, v2, vcc_lo
	global_load_b64 v[4:5], v[4:5], off glc
	s_waitcnt vmcnt(0)
	global_atomic_cmpswap_b64 v[8:9], v0, v[4:7], s[2:3] offset:24 glc
	s_waitcnt vmcnt(0)
	buffer_gl1_inv
	buffer_gl0_inv
	v_cmpx_ne_u64_e64 v[8:9], v[6:7]
	s_cbranch_execz .LBB1_92
; %bb.89:
	s_mov_b32 s6, 0
	.p2align	6
.LBB1_90:                               ; =>This Inner Loop Header: Depth=1
	s_sleep 1
	s_clause 0x1
	global_load_b64 v[4:5], v0, s[2:3] offset:40
	global_load_b64 v[10:11], v0, s[2:3]
	v_dual_mov_b32 v6, v8 :: v_dual_mov_b32 v7, v9
	s_waitcnt vmcnt(1)
	s_delay_alu instid0(VALU_DEP_1) | instskip(SKIP_1) | instid1(VALU_DEP_1)
	v_and_b32_e32 v2, v4, v6
	s_waitcnt vmcnt(0)
	v_mad_u64_u32 v[8:9], null, v2, 24, v[10:11]
	v_and_b32_e32 v10, v5, v7
	s_delay_alu instid0(VALU_DEP_2) | instskip(NEXT) | instid1(VALU_DEP_1)
	v_mov_b32_e32 v2, v9
	v_mad_u64_u32 v[4:5], null, v10, 24, v[2:3]
	s_delay_alu instid0(VALU_DEP_1)
	v_mov_b32_e32 v9, v4
	global_load_b64 v[4:5], v[8:9], off glc
	s_waitcnt vmcnt(0)
	global_atomic_cmpswap_b64 v[8:9], v0, v[4:7], s[2:3] offset:24 glc
	s_waitcnt vmcnt(0)
	buffer_gl1_inv
	buffer_gl0_inv
	v_cmp_eq_u64_e32 vcc_lo, v[8:9], v[6:7]
	s_or_b32 s6, vcc_lo, s6
	s_delay_alu instid0(SALU_CYCLE_1)
	s_and_not1_b32 exec_lo, exec_lo, s6
	s_cbranch_execnz .LBB1_90
; %bb.91:
	s_or_b32 exec_lo, exec_lo, s6
.LBB1_92:
	s_delay_alu instid0(SALU_CYCLE_1)
	s_or_b32 exec_lo, exec_lo, s5
.LBB1_93:
	s_delay_alu instid0(SALU_CYCLE_1)
	s_or_b32 exec_lo, exec_lo, s4
	s_waitcnt vmcnt(0)
	v_mov_b32_e32 v2, 0
	v_readfirstlane_b32 s4, v8
	v_readfirstlane_b32 s5, v9
	s_mov_b32 s8, exec_lo
	s_waitcnt lgkmcnt(0)
	s_clause 0x1
	global_load_b64 v[10:11], v2, s[2:3] offset:40
	global_load_b128 v[4:7], v2, s[2:3]
	s_waitcnt vmcnt(1)
	v_readfirstlane_b32 s6, v10
	v_readfirstlane_b32 s7, v11
	s_delay_alu instid0(VALU_DEP_1) | instskip(NEXT) | instid1(SALU_CYCLE_1)
	s_and_b64 s[6:7], s[4:5], s[6:7]
	s_mul_i32 s9, s7, 24
	s_mul_hi_u32 s10, s6, 24
	s_mul_i32 s11, s6, 24
	s_add_i32 s10, s10, s9
	s_waitcnt vmcnt(0)
	v_add_co_u32 v8, vcc_lo, v4, s11
	v_add_co_ci_u32_e32 v9, vcc_lo, s10, v5, vcc_lo
	s_and_saveexec_b32 s9, s0
	s_cbranch_execz .LBB1_95
; %bb.94:
	v_dual_mov_b32 v10, s8 :: v_dual_mov_b32 v11, v2
	v_dual_mov_b32 v12, 2 :: v_dual_mov_b32 v13, 1
	global_store_b128 v[8:9], v[10:13], off offset:8
.LBB1_95:
	s_or_b32 exec_lo, exec_lo, s9
	s_lshl_b64 s[6:7], s[6:7], 12
	v_lshlrev_b32_e32 v14, 6, v32
	v_add_co_u32 v6, vcc_lo, v6, s6
	v_add_co_ci_u32_e32 v7, vcc_lo, s7, v7, vcc_lo
	s_mov_b32 s8, 0
	v_and_or_b32 v0, 0xffffff1f, v3, 32
	v_mov_b32_e32 v3, v2
	v_readfirstlane_b32 s6, v6
	s_mov_b32 s11, s8
	v_add_co_u32 v6, vcc_lo, v6, v14
	s_mov_b32 s9, s8
	s_mov_b32 s10, s8
	v_readfirstlane_b32 s7, v7
	v_dual_mov_b32 v13, s11 :: v_dual_mov_b32 v12, s10
	v_add_co_ci_u32_e32 v7, vcc_lo, 0, v7, vcc_lo
	v_dual_mov_b32 v11, s9 :: v_dual_mov_b32 v10, s8
	s_clause 0x3
	global_store_b128 v14, v[0:3], s[6:7]
	global_store_b128 v14, v[10:13], s[6:7] offset:16
	global_store_b128 v14, v[10:13], s[6:7] offset:32
	global_store_b128 v14, v[10:13], s[6:7] offset:48
	s_and_saveexec_b32 s6, s0
	s_cbranch_execz .LBB1_102
; %bb.96:
	v_mov_b32_e32 v10, 0
	s_mov_b32 s7, exec_lo
	s_clause 0x1
	global_load_b64 v[13:14], v10, s[2:3] offset:32 glc
	global_load_b64 v[0:1], v10, s[2:3] offset:40
	v_dual_mov_b32 v11, s4 :: v_dual_mov_b32 v12, s5
	s_waitcnt vmcnt(0)
	v_and_b32_e32 v1, s5, v1
	v_and_b32_e32 v0, s4, v0
	s_delay_alu instid0(VALU_DEP_2) | instskip(NEXT) | instid1(VALU_DEP_2)
	v_mul_lo_u32 v1, v1, 24
	v_mul_hi_u32 v2, v0, 24
	v_mul_lo_u32 v0, v0, 24
	s_delay_alu instid0(VALU_DEP_2) | instskip(NEXT) | instid1(VALU_DEP_2)
	v_add_nc_u32_e32 v1, v2, v1
	v_add_co_u32 v4, vcc_lo, v4, v0
	s_delay_alu instid0(VALU_DEP_2)
	v_add_co_ci_u32_e32 v5, vcc_lo, v5, v1, vcc_lo
	global_store_b64 v[4:5], v[13:14], off
	s_waitcnt_vscnt null, 0x0
	global_atomic_cmpswap_b64 v[2:3], v10, v[11:14], s[2:3] offset:32 glc
	s_waitcnt vmcnt(0)
	v_cmpx_ne_u64_e64 v[2:3], v[13:14]
	s_cbranch_execz .LBB1_98
.LBB1_97:                               ; =>This Inner Loop Header: Depth=1
	v_dual_mov_b32 v0, s4 :: v_dual_mov_b32 v1, s5
	s_sleep 1
	global_store_b64 v[4:5], v[2:3], off
	s_waitcnt_vscnt null, 0x0
	global_atomic_cmpswap_b64 v[0:1], v10, v[0:3], s[2:3] offset:32 glc
	s_waitcnt vmcnt(0)
	v_cmp_eq_u64_e32 vcc_lo, v[0:1], v[2:3]
	v_dual_mov_b32 v3, v1 :: v_dual_mov_b32 v2, v0
	s_or_b32 s8, vcc_lo, s8
	s_delay_alu instid0(SALU_CYCLE_1)
	s_and_not1_b32 exec_lo, exec_lo, s8
	s_cbranch_execnz .LBB1_97
.LBB1_98:
	s_or_b32 exec_lo, exec_lo, s7
	v_mov_b32_e32 v3, 0
	s_mov_b32 s8, exec_lo
	s_mov_b32 s7, exec_lo
	v_mbcnt_lo_u32_b32 v2, s8, 0
	global_load_b64 v[0:1], v3, s[2:3] offset:16
	v_cmpx_eq_u32_e32 0, v2
	s_cbranch_execz .LBB1_100
; %bb.99:
	s_bcnt1_i32_b32 s8, s8
	s_delay_alu instid0(SALU_CYCLE_1)
	v_mov_b32_e32 v2, s8
	s_waitcnt vmcnt(0)
	global_atomic_add_u64 v[0:1], v[2:3], off offset:8
.LBB1_100:
	s_or_b32 exec_lo, exec_lo, s7
	s_waitcnt vmcnt(0)
	global_load_b64 v[2:3], v[0:1], off offset:16
	s_waitcnt vmcnt(0)
	v_cmp_eq_u64_e32 vcc_lo, 0, v[2:3]
	s_cbranch_vccnz .LBB1_102
; %bb.101:
	global_load_b32 v0, v[0:1], off offset:24
	s_waitcnt vmcnt(0)
	v_dual_mov_b32 v1, 0 :: v_dual_and_b32 v4, 0xffffff, v0
	s_waitcnt_vscnt null, 0x0
	global_store_b64 v[2:3], v[0:1], off
	v_readfirstlane_b32 m0, v4
	s_sendmsg sendmsg(MSG_INTERRUPT)
.LBB1_102:
	s_or_b32 exec_lo, exec_lo, s6
	s_branch .LBB1_106
	.p2align	6
.LBB1_103:                              ;   in Loop: Header=BB1_106 Depth=1
	s_or_b32 exec_lo, exec_lo, s6
	s_delay_alu instid0(VALU_DEP_1) | instskip(NEXT) | instid1(VALU_DEP_1)
	v_readfirstlane_b32 s6, v0
	s_cmp_eq_u32 s6, 0
	s_cbranch_scc1 .LBB1_105
; %bb.104:                              ;   in Loop: Header=BB1_106 Depth=1
	s_sleep 1
	s_cbranch_execnz .LBB1_106
	s_branch .LBB1_109
	.p2align	6
.LBB1_105:
	s_branch .LBB1_109
.LBB1_106:                              ; =>This Inner Loop Header: Depth=1
	v_mov_b32_e32 v0, 1
	s_and_saveexec_b32 s6, s0
	s_cbranch_execz .LBB1_103
; %bb.107:                              ;   in Loop: Header=BB1_106 Depth=1
	global_load_b32 v0, v[8:9], off offset:20 glc
	s_waitcnt vmcnt(0)
	buffer_gl1_inv
	buffer_gl0_inv
	v_and_b32_e32 v0, 1, v0
	s_branch .LBB1_103
.LBB1_108:
	s_or_b32 exec_lo, exec_lo, s1
	s_waitcnt vmcnt(0) lgkmcnt(0)
	s_setpc_b64 s[30:31]
.LBB1_109:
	global_load_b64 v[0:1], v[6:7], off
	s_and_saveexec_b32 s6, s0
	s_cbranch_execz .LBB1_113
; %bb.110:
	v_mov_b32_e32 v8, 0
	s_clause 0x2
	global_load_b64 v[4:5], v8, s[2:3] offset:40
	global_load_b64 v[9:10], v8, s[2:3] offset:24 glc
	global_load_b64 v[6:7], v8, s[2:3]
	s_waitcnt vmcnt(2)
	v_add_co_u32 v11, vcc_lo, v4, 1
	v_add_co_ci_u32_e32 v12, vcc_lo, 0, v5, vcc_lo
	s_delay_alu instid0(VALU_DEP_2) | instskip(NEXT) | instid1(VALU_DEP_2)
	v_add_co_u32 v2, vcc_lo, v11, s4
	v_add_co_ci_u32_e32 v3, vcc_lo, s5, v12, vcc_lo
	s_delay_alu instid0(VALU_DEP_1) | instskip(SKIP_1) | instid1(VALU_DEP_1)
	v_cmp_eq_u64_e32 vcc_lo, 0, v[2:3]
	v_dual_cndmask_b32 v3, v3, v12 :: v_dual_cndmask_b32 v2, v2, v11
	v_and_b32_e32 v5, v3, v5
	s_delay_alu instid0(VALU_DEP_2) | instskip(NEXT) | instid1(VALU_DEP_2)
	v_and_b32_e32 v4, v2, v4
	v_mul_lo_u32 v5, v5, 24
	s_delay_alu instid0(VALU_DEP_2) | instskip(SKIP_1) | instid1(VALU_DEP_2)
	v_mul_hi_u32 v11, v4, 24
	v_mul_lo_u32 v4, v4, 24
	v_add_nc_u32_e32 v5, v11, v5
	s_waitcnt vmcnt(0)
	s_delay_alu instid0(VALU_DEP_2) | instskip(SKIP_1) | instid1(VALU_DEP_3)
	v_add_co_u32 v6, vcc_lo, v6, v4
	v_mov_b32_e32 v4, v9
	v_add_co_ci_u32_e32 v7, vcc_lo, v7, v5, vcc_lo
	v_mov_b32_e32 v5, v10
	global_store_b64 v[6:7], v[9:10], off
	s_waitcnt_vscnt null, 0x0
	global_atomic_cmpswap_b64 v[4:5], v8, v[2:5], s[2:3] offset:24 glc
	s_waitcnt vmcnt(0)
	v_cmp_ne_u64_e32 vcc_lo, v[4:5], v[9:10]
	s_and_b32 exec_lo, exec_lo, vcc_lo
	s_cbranch_execz .LBB1_113
; %bb.111:
	s_mov_b32 s0, 0
.LBB1_112:                              ; =>This Inner Loop Header: Depth=1
	s_sleep 1
	global_store_b64 v[6:7], v[4:5], off
	s_waitcnt_vscnt null, 0x0
	global_atomic_cmpswap_b64 v[9:10], v8, v[2:5], s[2:3] offset:24 glc
	s_waitcnt vmcnt(0)
	v_cmp_eq_u64_e32 vcc_lo, v[9:10], v[4:5]
	v_dual_mov_b32 v4, v9 :: v_dual_mov_b32 v5, v10
	s_or_b32 s0, vcc_lo, s0
	s_delay_alu instid0(SALU_CYCLE_1)
	s_and_not1_b32 exec_lo, exec_lo, s0
	s_cbranch_execnz .LBB1_112
.LBB1_113:
	s_or_b32 exec_lo, exec_lo, s6
	s_delay_alu instid0(SALU_CYCLE_1)
	s_or_b32 exec_lo, exec_lo, s1
	s_waitcnt vmcnt(0) lgkmcnt(0)
	s_setpc_b64 s[30:31]
.Lfunc_end1:
	.size	__ockl_printf_append_string_n, .Lfunc_end1-__ockl_printf_append_string_n
                                        ; -- End function
	.section	.AMDGPU.csdata,"",@progbits
; Function info:
; codeLenInByte = 4760
; NumSgprs: 34
; NumVgprs: 36
; ScratchSize: 0
; MemoryBound: 0
	.text
	.p2align	2                               ; -- Begin function __ockl_printf_append_args
	.type	__ockl_printf_append_args,@function
__ockl_printf_append_args:              ; @__ockl_printf_append_args
; %bb.0:
	s_waitcnt vmcnt(0) expcnt(0) lgkmcnt(0)
	s_load_b64 s[2:3], s[8:9], 0x50
	v_mbcnt_lo_u32_b32 v15, -1, 0
	v_mov_b32_e32 v11, 0
	v_mov_b32_e32 v12, 0
	s_delay_alu instid0(VALU_DEP_3) | instskip(NEXT) | instid1(VALU_DEP_1)
	v_readfirstlane_b32 s0, v15
	v_cmp_eq_u32_e64 s0, s0, v15
	s_delay_alu instid0(VALU_DEP_1)
	s_and_saveexec_b32 s1, s0
	s_cbranch_execz .LBB2_6
; %bb.1:
	v_mov_b32_e32 v5, 0
	s_mov_b32 s4, exec_lo
	s_waitcnt lgkmcnt(0)
	global_load_b64 v[8:9], v5, s[2:3] offset:24 glc
	s_waitcnt vmcnt(0)
	buffer_gl1_inv
	buffer_gl0_inv
	s_clause 0x1
	global_load_b64 v[6:7], v5, s[2:3] offset:40
	global_load_b64 v[10:11], v5, s[2:3]
	s_waitcnt vmcnt(1)
	v_and_b32_e32 v6, v6, v8
	v_and_b32_e32 v7, v7, v9
	s_delay_alu instid0(VALU_DEP_2) | instskip(NEXT) | instid1(VALU_DEP_2)
	v_mul_hi_u32 v12, v6, 24
	v_mul_lo_u32 v7, v7, 24
	v_mul_lo_u32 v6, v6, 24
	s_delay_alu instid0(VALU_DEP_2) | instskip(SKIP_1) | instid1(VALU_DEP_2)
	v_add_nc_u32_e32 v7, v12, v7
	s_waitcnt vmcnt(0)
	v_add_co_u32 v6, vcc_lo, v10, v6
	s_delay_alu instid0(VALU_DEP_2)
	v_add_co_ci_u32_e32 v7, vcc_lo, v11, v7, vcc_lo
	global_load_b64 v[6:7], v[6:7], off glc
	s_waitcnt vmcnt(0)
	global_atomic_cmpswap_b64 v[11:12], v5, v[6:9], s[2:3] offset:24 glc
	s_waitcnt vmcnt(0)
	buffer_gl1_inv
	buffer_gl0_inv
	v_cmpx_ne_u64_e64 v[11:12], v[8:9]
	s_cbranch_execz .LBB2_5
; %bb.2:
	s_mov_b32 s5, 0
	.p2align	6
.LBB2_3:                                ; =>This Inner Loop Header: Depth=1
	s_sleep 1
	s_clause 0x1
	global_load_b64 v[6:7], v5, s[2:3] offset:40
	global_load_b64 v[13:14], v5, s[2:3]
	v_dual_mov_b32 v8, v11 :: v_dual_mov_b32 v9, v12
	s_waitcnt vmcnt(1)
	s_delay_alu instid0(VALU_DEP_1) | instskip(NEXT) | instid1(VALU_DEP_2)
	v_and_b32_e32 v6, v6, v8
	v_and_b32_e32 v7, v7, v9
	s_waitcnt vmcnt(0)
	s_delay_alu instid0(VALU_DEP_2) | instskip(NEXT) | instid1(VALU_DEP_1)
	v_mad_u64_u32 v[10:11], null, v6, 24, v[13:14]
	v_mov_b32_e32 v6, v11
	s_delay_alu instid0(VALU_DEP_1)
	v_mad_u64_u32 v[11:12], null, v7, 24, v[6:7]
	global_load_b64 v[6:7], v[10:11], off glc
	s_waitcnt vmcnt(0)
	global_atomic_cmpswap_b64 v[11:12], v5, v[6:9], s[2:3] offset:24 glc
	s_waitcnt vmcnt(0)
	buffer_gl1_inv
	buffer_gl0_inv
	v_cmp_eq_u64_e32 vcc_lo, v[11:12], v[8:9]
	s_or_b32 s5, vcc_lo, s5
	s_delay_alu instid0(SALU_CYCLE_1)
	s_and_not1_b32 exec_lo, exec_lo, s5
	s_cbranch_execnz .LBB2_3
; %bb.4:
	s_or_b32 exec_lo, exec_lo, s5
.LBB2_5:
	s_delay_alu instid0(SALU_CYCLE_1)
	s_or_b32 exec_lo, exec_lo, s4
.LBB2_6:
	s_delay_alu instid0(SALU_CYCLE_1)
	s_or_b32 exec_lo, exec_lo, s1
	v_mov_b32_e32 v10, 0
	v_readfirstlane_b32 s4, v11
	v_readfirstlane_b32 s5, v12
	s_mov_b32 s1, exec_lo
	s_waitcnt lgkmcnt(0)
	s_clause 0x1
	global_load_b64 v[13:14], v10, s[2:3] offset:40
	global_load_b128 v[5:8], v10, s[2:3]
	s_waitcnt vmcnt(1)
	v_readfirstlane_b32 s6, v13
	v_readfirstlane_b32 s7, v14
	s_delay_alu instid0(VALU_DEP_1) | instskip(NEXT) | instid1(SALU_CYCLE_1)
	s_and_b64 s[6:7], s[4:5], s[6:7]
	s_mul_i32 s8, s7, 24
	s_mul_hi_u32 s9, s6, 24
	s_mul_i32 s10, s6, 24
	s_add_i32 s9, s9, s8
	s_waitcnt vmcnt(0)
	v_add_co_u32 v13, vcc_lo, v5, s10
	v_add_co_ci_u32_e32 v14, vcc_lo, s9, v6, vcc_lo
	s_and_saveexec_b32 s8, s0
	s_cbranch_execz .LBB2_8
; %bb.7:
	v_dual_mov_b32 v9, s1 :: v_dual_mov_b32 v12, 1
	v_mov_b32_e32 v11, 2
	global_store_b128 v[13:14], v[9:12], off offset:8
.LBB2_8:
	s_or_b32 exec_lo, exec_lo, s8
	v_or_b32_e32 v9, 2, v0
	v_cmp_eq_u32_e32 vcc_lo, 0, v4
	s_lshl_b64 s[6:7], s[6:7], 12
	s_mov_b32 s8, 0
	v_lshlrev_b32_e32 v11, 6, v15
	s_mov_b32 s9, s8
	v_cndmask_b32_e32 v0, v9, v0, vcc_lo
	v_add_co_u32 v4, vcc_lo, v7, s6
	v_add_co_ci_u32_e32 v7, vcc_lo, s7, v8, vcc_lo
	s_mov_b32 s10, s8
	s_mov_b32 s11, s8
	v_and_or_b32 v0, 0xffffff1f, v0, 32
	v_readfirstlane_b32 s6, v4
	v_readfirstlane_b32 s7, v7
	v_dual_mov_b32 v7, s8 :: v_dual_mov_b32 v8, s9
	v_dual_mov_b32 v9, s10 :: v_dual_mov_b32 v10, s11
	s_clause 0x3
	global_store_b128 v11, v[0:3], s[6:7]
	global_store_b128 v11, v[7:10], s[6:7] offset:16
	global_store_b128 v11, v[7:10], s[6:7] offset:32
	;; [unrolled: 1-line block ×3, first 2 shown]
	s_and_saveexec_b32 s1, s0
	s_cbranch_execz .LBB2_16
; %bb.9:
	v_mov_b32_e32 v7, 0
	v_mov_b32_e32 v9, s5
	s_mov_b32 s6, exec_lo
	s_clause 0x1
	global_load_b64 v[10:11], v7, s[2:3] offset:32 glc
	global_load_b64 v[0:1], v7, s[2:3] offset:40
	v_mov_b32_e32 v8, s4
	s_waitcnt vmcnt(0)
	v_and_b32_e32 v0, s4, v0
	v_and_b32_e32 v1, s5, v1
	s_delay_alu instid0(VALU_DEP_2) | instskip(NEXT) | instid1(VALU_DEP_2)
	v_mul_hi_u32 v2, v0, 24
	v_mul_lo_u32 v1, v1, 24
	v_mul_lo_u32 v0, v0, 24
	s_delay_alu instid0(VALU_DEP_2) | instskip(NEXT) | instid1(VALU_DEP_2)
	v_add_nc_u32_e32 v1, v2, v1
	v_add_co_u32 v4, vcc_lo, v5, v0
	s_delay_alu instid0(VALU_DEP_2)
	v_add_co_ci_u32_e32 v5, vcc_lo, v6, v1, vcc_lo
	global_store_b64 v[4:5], v[10:11], off
	s_waitcnt_vscnt null, 0x0
	global_atomic_cmpswap_b64 v[2:3], v7, v[8:11], s[2:3] offset:32 glc
	s_waitcnt vmcnt(0)
	v_cmpx_ne_u64_e64 v[2:3], v[10:11]
	s_cbranch_execz .LBB2_12
; %bb.10:
	s_mov_b32 s7, 0
.LBB2_11:                               ; =>This Inner Loop Header: Depth=1
	v_dual_mov_b32 v0, s4 :: v_dual_mov_b32 v1, s5
	s_sleep 1
	global_store_b64 v[4:5], v[2:3], off
	s_waitcnt_vscnt null, 0x0
	global_atomic_cmpswap_b64 v[0:1], v7, v[0:3], s[2:3] offset:32 glc
	s_waitcnt vmcnt(0)
	v_cmp_eq_u64_e32 vcc_lo, v[0:1], v[2:3]
	v_dual_mov_b32 v3, v1 :: v_dual_mov_b32 v2, v0
	s_or_b32 s7, vcc_lo, s7
	s_delay_alu instid0(SALU_CYCLE_1)
	s_and_not1_b32 exec_lo, exec_lo, s7
	s_cbranch_execnz .LBB2_11
.LBB2_12:
	s_or_b32 exec_lo, exec_lo, s6
	v_mov_b32_e32 v3, 0
	s_mov_b32 s7, exec_lo
	s_mov_b32 s6, exec_lo
	v_mbcnt_lo_u32_b32 v2, s7, 0
	global_load_b64 v[0:1], v3, s[2:3] offset:16
	v_cmpx_eq_u32_e32 0, v2
	s_cbranch_execz .LBB2_14
; %bb.13:
	s_bcnt1_i32_b32 s7, s7
	s_delay_alu instid0(SALU_CYCLE_1)
	v_mov_b32_e32 v2, s7
	s_waitcnt vmcnt(0)
	global_atomic_add_u64 v[0:1], v[2:3], off offset:8
.LBB2_14:
	s_or_b32 exec_lo, exec_lo, s6
	s_waitcnt vmcnt(0)
	global_load_b64 v[2:3], v[0:1], off offset:16
	s_waitcnt vmcnt(0)
	v_cmp_eq_u64_e32 vcc_lo, 0, v[2:3]
	s_cbranch_vccnz .LBB2_16
; %bb.15:
	global_load_b32 v0, v[0:1], off offset:24
	s_waitcnt vmcnt(0)
	v_dual_mov_b32 v1, 0 :: v_dual_and_b32 v4, 0xffffff, v0
	s_waitcnt_vscnt null, 0x0
	global_store_b64 v[2:3], v[0:1], off
	v_readfirstlane_b32 m0, v4
	s_sendmsg sendmsg(MSG_INTERRUPT)
.LBB2_16:
	s_or_b32 exec_lo, exec_lo, s1
	s_branch .LBB2_20
	.p2align	6
.LBB2_17:                               ;   in Loop: Header=BB2_20 Depth=1
	s_or_b32 exec_lo, exec_lo, s1
	s_delay_alu instid0(VALU_DEP_1) | instskip(NEXT) | instid1(VALU_DEP_1)
	v_readfirstlane_b32 s1, v0
	s_cmp_eq_u32 s1, 0
	s_cbranch_scc1 .LBB2_19
; %bb.18:                               ;   in Loop: Header=BB2_20 Depth=1
	s_sleep 1
	s_cbranch_execnz .LBB2_20
	s_branch .LBB2_22
	.p2align	6
.LBB2_19:
	s_branch .LBB2_22
.LBB2_20:                               ; =>This Inner Loop Header: Depth=1
	v_mov_b32_e32 v0, 1
	s_and_saveexec_b32 s1, s0
	s_cbranch_execz .LBB2_17
; %bb.21:                               ;   in Loop: Header=BB2_20 Depth=1
	global_load_b32 v0, v[13:14], off offset:20 glc
	s_waitcnt vmcnt(0)
	buffer_gl1_inv
	buffer_gl0_inv
	v_and_b32_e32 v0, 1, v0
	s_branch .LBB2_17
.LBB2_22:
	s_and_saveexec_b32 s1, s0
	s_cbranch_execz .LBB2_26
; %bb.23:
	v_mov_b32_e32 v6, 0
	s_clause 0x2
	global_load_b64 v[2:3], v6, s[2:3] offset:40
	global_load_b64 v[7:8], v6, s[2:3] offset:24 glc
	global_load_b64 v[4:5], v6, s[2:3]
	s_waitcnt vmcnt(2)
	v_add_co_u32 v9, vcc_lo, v2, 1
	v_add_co_ci_u32_e32 v10, vcc_lo, 0, v3, vcc_lo
	s_delay_alu instid0(VALU_DEP_2) | instskip(NEXT) | instid1(VALU_DEP_2)
	v_add_co_u32 v0, vcc_lo, v9, s4
	v_add_co_ci_u32_e32 v1, vcc_lo, s5, v10, vcc_lo
	s_delay_alu instid0(VALU_DEP_1) | instskip(SKIP_1) | instid1(VALU_DEP_1)
	v_cmp_eq_u64_e32 vcc_lo, 0, v[0:1]
	v_dual_cndmask_b32 v1, v1, v10 :: v_dual_cndmask_b32 v0, v0, v9
	v_and_b32_e32 v3, v1, v3
	s_delay_alu instid0(VALU_DEP_2) | instskip(NEXT) | instid1(VALU_DEP_2)
	v_and_b32_e32 v2, v0, v2
	v_mul_lo_u32 v3, v3, 24
	s_delay_alu instid0(VALU_DEP_2) | instskip(SKIP_1) | instid1(VALU_DEP_2)
	v_mul_hi_u32 v9, v2, 24
	v_mul_lo_u32 v2, v2, 24
	v_add_nc_u32_e32 v3, v9, v3
	s_waitcnt vmcnt(0)
	s_delay_alu instid0(VALU_DEP_2) | instskip(SKIP_1) | instid1(VALU_DEP_3)
	v_add_co_u32 v4, vcc_lo, v4, v2
	v_mov_b32_e32 v2, v7
	v_add_co_ci_u32_e32 v5, vcc_lo, v5, v3, vcc_lo
	v_mov_b32_e32 v3, v8
	global_store_b64 v[4:5], v[7:8], off
	s_waitcnt_vscnt null, 0x0
	global_atomic_cmpswap_b64 v[2:3], v6, v[0:3], s[2:3] offset:24 glc
	s_waitcnt vmcnt(0)
	v_cmp_ne_u64_e32 vcc_lo, v[2:3], v[7:8]
	s_and_b32 exec_lo, exec_lo, vcc_lo
	s_cbranch_execz .LBB2_26
; %bb.24:
	s_mov_b32 s0, 0
.LBB2_25:                               ; =>This Inner Loop Header: Depth=1
	s_sleep 1
	global_store_b64 v[4:5], v[2:3], off
	s_waitcnt_vscnt null, 0x0
	global_atomic_cmpswap_b64 v[7:8], v6, v[0:3], s[2:3] offset:24 glc
	s_waitcnt vmcnt(0)
	v_cmp_eq_u64_e32 vcc_lo, v[7:8], v[2:3]
	v_dual_mov_b32 v2, v7 :: v_dual_mov_b32 v3, v8
	s_or_b32 s0, vcc_lo, s0
	s_delay_alu instid0(SALU_CYCLE_1)
	s_and_not1_b32 exec_lo, exec_lo, s0
	s_cbranch_execnz .LBB2_25
.LBB2_26:
	s_or_b32 exec_lo, exec_lo, s1
	s_waitcnt lgkmcnt(0)
	s_setpc_b64 s[30:31]
.Lfunc_end2:
	.size	__ockl_printf_append_args, .Lfunc_end2-__ockl_printf_append_args
                                        ; -- End function
	.section	.AMDGPU.csdata,"",@progbits
; Function info:
; codeLenInByte = 1352
; NumSgprs: 34
; NumVgprs: 16
; ScratchSize: 0
; MemoryBound: 0
	.text
	.p2align	2                               ; -- Begin function _ZL14no_device_codePKciS0_iS0_
	.type	_ZL14no_device_codePKciS0_iS0_,@function
_ZL14no_device_codePKciS0_iS0_:         ; @_ZL14no_device_codePKciS0_iS0_
; %bb.0:
	s_waitcnt vmcnt(0) expcnt(0) lgkmcnt(0)
	s_mov_b32 s20, s33
	s_mov_b32 s33, s32
	s_xor_saveexec_b32 s0, -1
	scratch_store_b32 off, v36, s33         ; 4-byte Folded Spill
	s_mov_b32 exec_lo, s0
	v_writelane_b32 v36, s30, 0
	s_add_i32 s32, s32, 16
	v_writelane_b32 v36, s31, 1
	s_load_b64 s[2:3], s[8:9], 0x50
	v_mbcnt_lo_u32_b32 v33, -1, 0
	v_mov_b32_e32 v7, 0
	v_mov_b32_e32 v8, 0
	s_delay_alu instid0(VALU_DEP_3) | instskip(NEXT) | instid1(VALU_DEP_1)
	v_readfirstlane_b32 s0, v33
	v_cmp_eq_u32_e64 s0, s0, v33
	s_delay_alu instid0(VALU_DEP_1)
	s_and_saveexec_b32 s1, s0
	s_cbranch_execz .LBB3_6
; %bb.1:
	v_mov_b32_e32 v1, 0
	s_mov_b32 s4, exec_lo
	s_waitcnt lgkmcnt(0)
	global_load_b64 v[4:5], v1, s[2:3] offset:24 glc
	s_waitcnt vmcnt(0)
	buffer_gl1_inv
	buffer_gl0_inv
	s_clause 0x1
	global_load_b64 v[2:3], v1, s[2:3] offset:40
	global_load_b64 v[6:7], v1, s[2:3]
	s_waitcnt vmcnt(1)
	v_and_b32_e32 v2, v2, v4
	v_and_b32_e32 v3, v3, v5
	s_delay_alu instid0(VALU_DEP_2) | instskip(NEXT) | instid1(VALU_DEP_2)
	v_mul_hi_u32 v8, v2, 24
	v_mul_lo_u32 v3, v3, 24
	v_mul_lo_u32 v2, v2, 24
	s_delay_alu instid0(VALU_DEP_2) | instskip(SKIP_1) | instid1(VALU_DEP_2)
	v_add_nc_u32_e32 v3, v8, v3
	s_waitcnt vmcnt(0)
	v_add_co_u32 v2, vcc_lo, v6, v2
	s_delay_alu instid0(VALU_DEP_2)
	v_add_co_ci_u32_e32 v3, vcc_lo, v7, v3, vcc_lo
	global_load_b64 v[2:3], v[2:3], off glc
	s_waitcnt vmcnt(0)
	global_atomic_cmpswap_b64 v[7:8], v1, v[2:5], s[2:3] offset:24 glc
	s_waitcnt vmcnt(0)
	buffer_gl1_inv
	buffer_gl0_inv
	v_cmpx_ne_u64_e64 v[7:8], v[4:5]
	s_cbranch_execz .LBB3_5
; %bb.2:
	s_mov_b32 s5, 0
	.p2align	6
.LBB3_3:                                ; =>This Inner Loop Header: Depth=1
	s_sleep 1
	s_clause 0x1
	global_load_b64 v[2:3], v1, s[2:3] offset:40
	global_load_b64 v[9:10], v1, s[2:3]
	v_dual_mov_b32 v4, v7 :: v_dual_mov_b32 v5, v8
	s_waitcnt vmcnt(1)
	s_delay_alu instid0(VALU_DEP_1) | instskip(NEXT) | instid1(VALU_DEP_2)
	v_and_b32_e32 v2, v2, v4
	v_and_b32_e32 v3, v3, v5
	s_waitcnt vmcnt(0)
	s_delay_alu instid0(VALU_DEP_2) | instskip(NEXT) | instid1(VALU_DEP_1)
	v_mad_u64_u32 v[6:7], null, v2, 24, v[9:10]
	v_mov_b32_e32 v2, v7
	s_delay_alu instid0(VALU_DEP_1)
	v_mad_u64_u32 v[7:8], null, v3, 24, v[2:3]
	global_load_b64 v[2:3], v[6:7], off glc
	s_waitcnt vmcnt(0)
	global_atomic_cmpswap_b64 v[7:8], v1, v[2:5], s[2:3] offset:24 glc
	s_waitcnt vmcnt(0)
	buffer_gl1_inv
	buffer_gl0_inv
	v_cmp_eq_u64_e32 vcc_lo, v[7:8], v[4:5]
	s_or_b32 s5, vcc_lo, s5
	s_delay_alu instid0(SALU_CYCLE_1)
	s_and_not1_b32 exec_lo, exec_lo, s5
	s_cbranch_execnz .LBB3_3
; %bb.4:
	s_or_b32 exec_lo, exec_lo, s5
.LBB3_5:
	s_delay_alu instid0(SALU_CYCLE_1)
	s_or_b32 exec_lo, exec_lo, s4
.LBB3_6:
	s_delay_alu instid0(SALU_CYCLE_1)
	s_or_b32 exec_lo, exec_lo, s1
	v_mov_b32_e32 v6, 0
	v_readfirstlane_b32 s4, v7
	v_readfirstlane_b32 s5, v8
	s_mov_b32 s1, exec_lo
	s_waitcnt lgkmcnt(0)
	s_clause 0x1
	global_load_b64 v[9:10], v6, s[2:3] offset:40
	global_load_b128 v[1:4], v6, s[2:3]
	s_waitcnt vmcnt(1)
	v_readfirstlane_b32 s6, v9
	v_readfirstlane_b32 s7, v10
	s_delay_alu instid0(VALU_DEP_1) | instskip(NEXT) | instid1(SALU_CYCLE_1)
	s_and_b64 s[6:7], s[4:5], s[6:7]
	s_mul_i32 s10, s7, 24
	s_mul_hi_u32 s11, s6, 24
	s_mul_i32 s12, s6, 24
	s_add_i32 s11, s11, s10
	s_waitcnt vmcnt(0)
	v_add_co_u32 v9, vcc_lo, v1, s12
	v_add_co_ci_u32_e32 v10, vcc_lo, s11, v2, vcc_lo
	s_and_saveexec_b32 s10, s0
	s_cbranch_execz .LBB3_8
; %bb.7:
	v_dual_mov_b32 v5, s1 :: v_dual_mov_b32 v8, 1
	v_mov_b32_e32 v7, 2
	global_store_b128 v[9:10], v[5:8], off offset:8
.LBB3_8:
	s_or_b32 exec_lo, exec_lo, s10
	s_lshl_b64 s[6:7], s[6:7], 12
	v_dual_mov_b32 v5, 33 :: v_dual_lshlrev_b32 v32, 6, v33
	v_add_co_u32 v3, vcc_lo, v3, s6
	v_add_co_ci_u32_e32 v4, vcc_lo, s7, v4, vcc_lo
	s_mov_b32 s12, 0
	s_delay_alu instid0(VALU_DEP_2)
	v_add_co_u32 v11, vcc_lo, v3, v32
	s_mov_b32 s15, s12
	s_mov_b32 s13, s12
	;; [unrolled: 1-line block ×3, first 2 shown]
	v_dual_mov_b32 v7, v6 :: v_dual_mov_b32 v16, s15
	v_dual_mov_b32 v8, v6 :: v_dual_mov_b32 v15, s14
	v_readfirstlane_b32 s6, v3
	v_readfirstlane_b32 s7, v4
	v_add_co_ci_u32_e32 v12, vcc_lo, 0, v4, vcc_lo
	v_dual_mov_b32 v14, s13 :: v_dual_mov_b32 v13, s12
	s_clause 0x3
	global_store_b128 v32, v[5:8], s[6:7]
	global_store_b128 v32, v[13:16], s[6:7] offset:16
	global_store_b128 v32, v[13:16], s[6:7] offset:32
	;; [unrolled: 1-line block ×3, first 2 shown]
	s_and_saveexec_b32 s1, s0
	s_cbranch_execz .LBB3_16
; %bb.9:
	v_mov_b32_e32 v7, 0
	s_mov_b32 s6, exec_lo
	s_clause 0x1
	global_load_b64 v[15:16], v7, s[2:3] offset:32 glc
	global_load_b64 v[3:4], v7, s[2:3] offset:40
	v_dual_mov_b32 v14, s5 :: v_dual_mov_b32 v13, s4
	s_waitcnt vmcnt(0)
	v_and_b32_e32 v4, s5, v4
	v_and_b32_e32 v3, s4, v3
	s_delay_alu instid0(VALU_DEP_2) | instskip(NEXT) | instid1(VALU_DEP_2)
	v_mul_lo_u32 v4, v4, 24
	v_mul_hi_u32 v5, v3, 24
	v_mul_lo_u32 v3, v3, 24
	s_delay_alu instid0(VALU_DEP_2) | instskip(NEXT) | instid1(VALU_DEP_2)
	v_add_nc_u32_e32 v4, v5, v4
	v_add_co_u32 v5, vcc_lo, v1, v3
	s_delay_alu instid0(VALU_DEP_2)
	v_add_co_ci_u32_e32 v6, vcc_lo, v2, v4, vcc_lo
	global_store_b64 v[5:6], v[15:16], off
	s_waitcnt_vscnt null, 0x0
	global_atomic_cmpswap_b64 v[3:4], v7, v[13:16], s[2:3] offset:32 glc
	s_waitcnt vmcnt(0)
	v_cmpx_ne_u64_e64 v[3:4], v[15:16]
	s_cbranch_execz .LBB3_12
; %bb.10:
	s_mov_b32 s7, 0
.LBB3_11:                               ; =>This Inner Loop Header: Depth=1
	v_dual_mov_b32 v1, s4 :: v_dual_mov_b32 v2, s5
	s_sleep 1
	global_store_b64 v[5:6], v[3:4], off
	s_waitcnt_vscnt null, 0x0
	global_atomic_cmpswap_b64 v[1:2], v7, v[1:4], s[2:3] offset:32 glc
	s_waitcnt vmcnt(0)
	v_cmp_eq_u64_e32 vcc_lo, v[1:2], v[3:4]
	v_dual_mov_b32 v4, v2 :: v_dual_mov_b32 v3, v1
	s_or_b32 s7, vcc_lo, s7
	s_delay_alu instid0(SALU_CYCLE_1)
	s_and_not1_b32 exec_lo, exec_lo, s7
	s_cbranch_execnz .LBB3_11
.LBB3_12:
	s_or_b32 exec_lo, exec_lo, s6
	v_mov_b32_e32 v4, 0
	s_mov_b32 s7, exec_lo
	s_mov_b32 s6, exec_lo
	v_mbcnt_lo_u32_b32 v3, s7, 0
	global_load_b64 v[1:2], v4, s[2:3] offset:16
	v_cmpx_eq_u32_e32 0, v3
	s_cbranch_execz .LBB3_14
; %bb.13:
	s_bcnt1_i32_b32 s7, s7
	s_delay_alu instid0(SALU_CYCLE_1)
	v_mov_b32_e32 v3, s7
	s_waitcnt vmcnt(0)
	global_atomic_add_u64 v[1:2], v[3:4], off offset:8
.LBB3_14:
	s_or_b32 exec_lo, exec_lo, s6
	s_waitcnt vmcnt(0)
	global_load_b64 v[3:4], v[1:2], off offset:16
	s_waitcnt vmcnt(0)
	v_cmp_eq_u64_e32 vcc_lo, 0, v[3:4]
	s_cbranch_vccnz .LBB3_16
; %bb.15:
	global_load_b32 v1, v[1:2], off offset:24
	s_waitcnt vmcnt(0)
	v_dual_mov_b32 v2, 0 :: v_dual_and_b32 v5, 0xffffff, v1
	s_waitcnt_vscnt null, 0x0
	global_store_b64 v[3:4], v[1:2], off
	v_readfirstlane_b32 m0, v5
	s_sendmsg sendmsg(MSG_INTERRUPT)
.LBB3_16:
	s_or_b32 exec_lo, exec_lo, s1
	s_branch .LBB3_20
	.p2align	6
.LBB3_17:                               ;   in Loop: Header=BB3_20 Depth=1
	s_or_b32 exec_lo, exec_lo, s1
	s_delay_alu instid0(VALU_DEP_1) | instskip(NEXT) | instid1(VALU_DEP_1)
	v_readfirstlane_b32 s1, v1
	s_cmp_eq_u32 s1, 0
	s_cbranch_scc1 .LBB3_19
; %bb.18:                               ;   in Loop: Header=BB3_20 Depth=1
	s_sleep 1
	s_cbranch_execnz .LBB3_20
	s_branch .LBB3_22
	.p2align	6
.LBB3_19:
	s_branch .LBB3_22
.LBB3_20:                               ; =>This Inner Loop Header: Depth=1
	v_mov_b32_e32 v1, 1
	s_and_saveexec_b32 s1, s0
	s_cbranch_execz .LBB3_17
; %bb.21:                               ;   in Loop: Header=BB3_20 Depth=1
	global_load_b32 v1, v[9:10], off offset:20 glc
	s_waitcnt vmcnt(0)
	buffer_gl1_inv
	buffer_gl0_inv
	v_and_b32_e32 v1, 1, v1
	s_branch .LBB3_17
.LBB3_22:
	global_load_b64 v[5:6], v[11:12], off
	s_and_saveexec_b32 s1, s0
	s_cbranch_execz .LBB3_26
; %bb.23:
	v_mov_b32_e32 v9, 0
	s_clause 0x2
	global_load_b64 v[3:4], v9, s[2:3] offset:40
	global_load_b64 v[10:11], v9, s[2:3] offset:24 glc
	global_load_b64 v[7:8], v9, s[2:3]
	s_waitcnt vmcnt(2)
	v_add_co_u32 v12, vcc_lo, v3, 1
	v_add_co_ci_u32_e32 v13, vcc_lo, 0, v4, vcc_lo
	s_delay_alu instid0(VALU_DEP_2) | instskip(NEXT) | instid1(VALU_DEP_2)
	v_add_co_u32 v1, vcc_lo, v12, s4
	v_add_co_ci_u32_e32 v2, vcc_lo, s5, v13, vcc_lo
	s_delay_alu instid0(VALU_DEP_1) | instskip(SKIP_1) | instid1(VALU_DEP_1)
	v_cmp_eq_u64_e32 vcc_lo, 0, v[1:2]
	v_dual_cndmask_b32 v2, v2, v13 :: v_dual_cndmask_b32 v1, v1, v12
	v_and_b32_e32 v4, v2, v4
	s_delay_alu instid0(VALU_DEP_2) | instskip(NEXT) | instid1(VALU_DEP_2)
	v_and_b32_e32 v3, v1, v3
	v_mul_lo_u32 v4, v4, 24
	s_delay_alu instid0(VALU_DEP_2) | instskip(SKIP_1) | instid1(VALU_DEP_2)
	v_mul_hi_u32 v12, v3, 24
	v_mul_lo_u32 v3, v3, 24
	v_add_nc_u32_e32 v4, v12, v4
	s_waitcnt vmcnt(0)
	s_delay_alu instid0(VALU_DEP_2) | instskip(SKIP_1) | instid1(VALU_DEP_3)
	v_add_co_u32 v7, vcc_lo, v7, v3
	v_mov_b32_e32 v3, v10
	v_add_co_ci_u32_e32 v8, vcc_lo, v8, v4, vcc_lo
	v_mov_b32_e32 v4, v11
	global_store_b64 v[7:8], v[10:11], off
	s_waitcnt_vscnt null, 0x0
	global_atomic_cmpswap_b64 v[3:4], v9, v[1:4], s[2:3] offset:24 glc
	s_waitcnt vmcnt(0)
	v_cmp_ne_u64_e32 vcc_lo, v[3:4], v[10:11]
	s_and_b32 exec_lo, exec_lo, vcc_lo
	s_cbranch_execz .LBB3_26
; %bb.24:
	s_mov_b32 s0, 0
.LBB3_25:                               ; =>This Inner Loop Header: Depth=1
	s_sleep 1
	global_store_b64 v[7:8], v[3:4], off
	s_waitcnt_vscnt null, 0x0
	global_atomic_cmpswap_b64 v[10:11], v9, v[1:4], s[2:3] offset:24 glc
	s_waitcnt vmcnt(0)
	v_cmp_eq_u64_e32 vcc_lo, v[10:11], v[3:4]
	v_dual_mov_b32 v3, v10 :: v_dual_mov_b32 v4, v11
	s_or_b32 s0, vcc_lo, s0
	s_delay_alu instid0(SALU_CYCLE_1)
	s_and_not1_b32 exec_lo, exec_lo, s0
	s_cbranch_execnz .LBB3_25
.LBB3_26:
	s_or_b32 exec_lo, exec_lo, s1
	s_getpc_b64 s[4:5]
	s_add_u32 s4, s4, .str.3@rel32@lo+4
	s_addc_u32 s5, s5, .str.3@rel32@hi+12
	s_delay_alu instid0(SALU_CYCLE_1)
	s_cmp_lg_u64 s[4:5], 0
	s_cbranch_scc0 .LBB3_104
; %bb.27:
	s_waitcnt vmcnt(0)
	v_dual_mov_b32 v8, 0 :: v_dual_and_b32 v29, 2, v5
	v_dual_mov_b32 v2, v6 :: v_dual_and_b32 v1, -3, v5
	v_dual_mov_b32 v9, 2 :: v_dual_mov_b32 v10, 1
	s_mov_b64 s[6:7], 0x4d
	s_branch .LBB3_29
.LBB3_28:                               ;   in Loop: Header=BB3_29 Depth=1
	s_or_b32 exec_lo, exec_lo, s1
	s_sub_u32 s6, s6, s10
	s_subb_u32 s7, s7, s11
	s_add_u32 s4, s4, s10
	s_addc_u32 s5, s5, s11
	s_cmp_lg_u64 s[6:7], 0
	s_cbranch_scc0 .LBB3_105
.LBB3_29:                               ; =>This Loop Header: Depth=1
                                        ;     Child Loop BB3_38 Depth 2
                                        ;     Child Loop BB3_34 Depth 2
	;; [unrolled: 1-line block ×11, first 2 shown]
	v_cmp_lt_u64_e64 s0, s[6:7], 56
	v_cmp_gt_u64_e64 s1, s[6:7], 7
                                        ; implicit-def: $vgpr3_vgpr4
                                        ; implicit-def: $sgpr16
	s_delay_alu instid0(VALU_DEP_2) | instskip(SKIP_2) | instid1(VALU_DEP_1)
	s_and_b32 s0, s0, exec_lo
	s_cselect_b32 s11, s7, 0
	s_cselect_b32 s10, s6, 56
	s_and_b32 vcc_lo, exec_lo, s1
	s_mov_b32 s0, -1
	s_cbranch_vccz .LBB3_36
; %bb.30:                               ;   in Loop: Header=BB3_29 Depth=1
	s_and_not1_b32 vcc_lo, exec_lo, s0
	s_mov_b64 s[0:1], s[4:5]
	s_cbranch_vccz .LBB3_40
.LBB3_31:                               ;   in Loop: Header=BB3_29 Depth=1
	s_cmp_gt_u32 s16, 7
	s_cbranch_scc1 .LBB3_41
.LBB3_32:                               ;   in Loop: Header=BB3_29 Depth=1
	v_mov_b32_e32 v11, 0
	v_mov_b32_e32 v12, 0
	s_cmp_eq_u32 s16, 0
	s_cbranch_scc1 .LBB3_35
; %bb.33:                               ;   in Loop: Header=BB3_29 Depth=1
	s_mov_b64 s[12:13], 0
	s_mov_b64 s[14:15], 0
.LBB3_34:                               ;   Parent Loop BB3_29 Depth=1
                                        ; =>  This Inner Loop Header: Depth=2
	s_delay_alu instid0(SALU_CYCLE_1)
	s_add_u32 s18, s0, s14
	s_addc_u32 s19, s1, s15
	s_add_u32 s14, s14, 1
	global_load_u8 v7, v8, s[18:19]
	s_addc_u32 s15, s15, 0
	s_waitcnt vmcnt(0)
	v_and_b32_e32 v7, 0xffff, v7
	s_delay_alu instid0(VALU_DEP_1) | instskip(SKIP_3) | instid1(VALU_DEP_1)
	v_lshlrev_b64 v[13:14], s12, v[7:8]
	s_add_u32 s12, s12, 8
	s_addc_u32 s13, s13, 0
	s_cmp_lg_u32 s16, s14
	v_or_b32_e32 v11, v13, v11
	s_delay_alu instid0(VALU_DEP_2)
	v_or_b32_e32 v12, v14, v12
	s_cbranch_scc1 .LBB3_34
.LBB3_35:                               ;   in Loop: Header=BB3_29 Depth=1
	s_mov_b32 s17, 0
	s_cbranch_execz .LBB3_42
	s_branch .LBB3_43
.LBB3_36:                               ;   in Loop: Header=BB3_29 Depth=1
	s_waitcnt vmcnt(0)
	v_mov_b32_e32 v3, 0
	v_mov_b32_e32 v4, 0
	s_cmp_eq_u64 s[6:7], 0
	s_mov_b64 s[0:1], 0
	s_cbranch_scc1 .LBB3_39
; %bb.37:                               ;   in Loop: Header=BB3_29 Depth=1
	v_mov_b32_e32 v3, 0
	v_mov_b32_e32 v4, 0
	s_lshl_b64 s[12:13], s[10:11], 3
	s_mov_b64 s[14:15], s[4:5]
.LBB3_38:                               ;   Parent Loop BB3_29 Depth=1
                                        ; =>  This Inner Loop Header: Depth=2
	global_load_u8 v7, v8, s[14:15]
	s_waitcnt vmcnt(0)
	v_and_b32_e32 v7, 0xffff, v7
	s_delay_alu instid0(VALU_DEP_1)
	v_lshlrev_b64 v[11:12], s0, v[7:8]
	s_add_u32 s0, s0, 8
	s_addc_u32 s1, s1, 0
	s_add_u32 s14, s14, 1
	s_addc_u32 s15, s15, 0
	s_cmp_lg_u32 s12, s0
	v_or_b32_e32 v3, v11, v3
	v_or_b32_e32 v4, v12, v4
	s_cbranch_scc1 .LBB3_38
.LBB3_39:                               ;   in Loop: Header=BB3_29 Depth=1
	s_mov_b32 s16, 0
	s_mov_b64 s[0:1], s[4:5]
	s_cbranch_execnz .LBB3_31
.LBB3_40:                               ;   in Loop: Header=BB3_29 Depth=1
	global_load_b64 v[3:4], v8, s[4:5]
	s_add_i32 s16, s10, -8
	s_add_u32 s0, s4, 8
	s_addc_u32 s1, s5, 0
	s_cmp_gt_u32 s16, 7
	s_cbranch_scc0 .LBB3_32
.LBB3_41:                               ;   in Loop: Header=BB3_29 Depth=1
                                        ; implicit-def: $vgpr11_vgpr12
                                        ; implicit-def: $sgpr17
.LBB3_42:                               ;   in Loop: Header=BB3_29 Depth=1
	global_load_b64 v[11:12], v8, s[0:1]
	s_add_i32 s17, s16, -8
	s_add_u32 s0, s0, 8
	s_addc_u32 s1, s1, 0
.LBB3_43:                               ;   in Loop: Header=BB3_29 Depth=1
	s_cmp_gt_u32 s17, 7
	s_cbranch_scc1 .LBB3_48
; %bb.44:                               ;   in Loop: Header=BB3_29 Depth=1
	v_mov_b32_e32 v13, 0
	v_mov_b32_e32 v14, 0
	s_cmp_eq_u32 s17, 0
	s_cbranch_scc1 .LBB3_47
; %bb.45:                               ;   in Loop: Header=BB3_29 Depth=1
	s_mov_b64 s[12:13], 0
	s_mov_b64 s[14:15], 0
.LBB3_46:                               ;   Parent Loop BB3_29 Depth=1
                                        ; =>  This Inner Loop Header: Depth=2
	s_delay_alu instid0(SALU_CYCLE_1)
	s_add_u32 s18, s0, s14
	s_addc_u32 s19, s1, s15
	s_add_u32 s14, s14, 1
	global_load_u8 v7, v8, s[18:19]
	s_addc_u32 s15, s15, 0
	s_waitcnt vmcnt(0)
	v_and_b32_e32 v7, 0xffff, v7
	s_delay_alu instid0(VALU_DEP_1) | instskip(SKIP_3) | instid1(VALU_DEP_1)
	v_lshlrev_b64 v[15:16], s12, v[7:8]
	s_add_u32 s12, s12, 8
	s_addc_u32 s13, s13, 0
	s_cmp_lg_u32 s17, s14
	v_or_b32_e32 v13, v15, v13
	s_delay_alu instid0(VALU_DEP_2)
	v_or_b32_e32 v14, v16, v14
	s_cbranch_scc1 .LBB3_46
.LBB3_47:                               ;   in Loop: Header=BB3_29 Depth=1
	s_mov_b32 s16, 0
	s_cbranch_execz .LBB3_49
	s_branch .LBB3_50
.LBB3_48:                               ;   in Loop: Header=BB3_29 Depth=1
                                        ; implicit-def: $sgpr16
.LBB3_49:                               ;   in Loop: Header=BB3_29 Depth=1
	global_load_b64 v[13:14], v8, s[0:1]
	s_add_i32 s16, s17, -8
	s_add_u32 s0, s0, 8
	s_addc_u32 s1, s1, 0
.LBB3_50:                               ;   in Loop: Header=BB3_29 Depth=1
	s_cmp_gt_u32 s16, 7
	s_cbranch_scc1 .LBB3_55
; %bb.51:                               ;   in Loop: Header=BB3_29 Depth=1
	v_mov_b32_e32 v15, 0
	v_mov_b32_e32 v16, 0
	s_cmp_eq_u32 s16, 0
	s_cbranch_scc1 .LBB3_54
; %bb.52:                               ;   in Loop: Header=BB3_29 Depth=1
	s_mov_b64 s[12:13], 0
	s_mov_b64 s[14:15], 0
.LBB3_53:                               ;   Parent Loop BB3_29 Depth=1
                                        ; =>  This Inner Loop Header: Depth=2
	s_delay_alu instid0(SALU_CYCLE_1)
	s_add_u32 s18, s0, s14
	s_addc_u32 s19, s1, s15
	s_add_u32 s14, s14, 1
	global_load_u8 v7, v8, s[18:19]
	s_addc_u32 s15, s15, 0
	s_waitcnt vmcnt(0)
	v_and_b32_e32 v7, 0xffff, v7
	s_delay_alu instid0(VALU_DEP_1) | instskip(SKIP_3) | instid1(VALU_DEP_1)
	v_lshlrev_b64 v[17:18], s12, v[7:8]
	s_add_u32 s12, s12, 8
	s_addc_u32 s13, s13, 0
	s_cmp_lg_u32 s16, s14
	v_or_b32_e32 v15, v17, v15
	s_delay_alu instid0(VALU_DEP_2)
	v_or_b32_e32 v16, v18, v16
	s_cbranch_scc1 .LBB3_53
.LBB3_54:                               ;   in Loop: Header=BB3_29 Depth=1
	s_mov_b32 s17, 0
	s_cbranch_execz .LBB3_56
	s_branch .LBB3_57
.LBB3_55:                               ;   in Loop: Header=BB3_29 Depth=1
                                        ; implicit-def: $vgpr15_vgpr16
                                        ; implicit-def: $sgpr17
.LBB3_56:                               ;   in Loop: Header=BB3_29 Depth=1
	global_load_b64 v[15:16], v8, s[0:1]
	s_add_i32 s17, s16, -8
	s_add_u32 s0, s0, 8
	s_addc_u32 s1, s1, 0
.LBB3_57:                               ;   in Loop: Header=BB3_29 Depth=1
	s_cmp_gt_u32 s17, 7
	s_cbranch_scc1 .LBB3_62
; %bb.58:                               ;   in Loop: Header=BB3_29 Depth=1
	v_mov_b32_e32 v17, 0
	v_mov_b32_e32 v18, 0
	s_cmp_eq_u32 s17, 0
	s_cbranch_scc1 .LBB3_61
; %bb.59:                               ;   in Loop: Header=BB3_29 Depth=1
	s_mov_b64 s[12:13], 0
	s_mov_b64 s[14:15], 0
.LBB3_60:                               ;   Parent Loop BB3_29 Depth=1
                                        ; =>  This Inner Loop Header: Depth=2
	s_delay_alu instid0(SALU_CYCLE_1)
	s_add_u32 s18, s0, s14
	s_addc_u32 s19, s1, s15
	s_add_u32 s14, s14, 1
	global_load_u8 v7, v8, s[18:19]
	s_addc_u32 s15, s15, 0
	s_waitcnt vmcnt(0)
	v_and_b32_e32 v7, 0xffff, v7
	s_delay_alu instid0(VALU_DEP_1) | instskip(SKIP_3) | instid1(VALU_DEP_1)
	v_lshlrev_b64 v[19:20], s12, v[7:8]
	s_add_u32 s12, s12, 8
	s_addc_u32 s13, s13, 0
	s_cmp_lg_u32 s17, s14
	v_or_b32_e32 v17, v19, v17
	s_delay_alu instid0(VALU_DEP_2)
	v_or_b32_e32 v18, v20, v18
	s_cbranch_scc1 .LBB3_60
.LBB3_61:                               ;   in Loop: Header=BB3_29 Depth=1
	s_mov_b32 s16, 0
	s_cbranch_execz .LBB3_63
	s_branch .LBB3_64
.LBB3_62:                               ;   in Loop: Header=BB3_29 Depth=1
                                        ; implicit-def: $sgpr16
.LBB3_63:                               ;   in Loop: Header=BB3_29 Depth=1
	global_load_b64 v[17:18], v8, s[0:1]
	s_add_i32 s16, s17, -8
	s_add_u32 s0, s0, 8
	s_addc_u32 s1, s1, 0
.LBB3_64:                               ;   in Loop: Header=BB3_29 Depth=1
	s_cmp_gt_u32 s16, 7
	s_cbranch_scc1 .LBB3_69
; %bb.65:                               ;   in Loop: Header=BB3_29 Depth=1
	v_mov_b32_e32 v19, 0
	v_mov_b32_e32 v20, 0
	s_cmp_eq_u32 s16, 0
	s_cbranch_scc1 .LBB3_68
; %bb.66:                               ;   in Loop: Header=BB3_29 Depth=1
	s_mov_b64 s[12:13], 0
	s_mov_b64 s[14:15], 0
.LBB3_67:                               ;   Parent Loop BB3_29 Depth=1
                                        ; =>  This Inner Loop Header: Depth=2
	s_delay_alu instid0(SALU_CYCLE_1)
	s_add_u32 s18, s0, s14
	s_addc_u32 s19, s1, s15
	s_add_u32 s14, s14, 1
	global_load_u8 v7, v8, s[18:19]
	s_addc_u32 s15, s15, 0
	s_waitcnt vmcnt(0)
	v_and_b32_e32 v7, 0xffff, v7
	s_delay_alu instid0(VALU_DEP_1) | instskip(SKIP_3) | instid1(VALU_DEP_1)
	v_lshlrev_b64 v[21:22], s12, v[7:8]
	s_add_u32 s12, s12, 8
	s_addc_u32 s13, s13, 0
	s_cmp_lg_u32 s16, s14
	v_or_b32_e32 v19, v21, v19
	s_delay_alu instid0(VALU_DEP_2)
	v_or_b32_e32 v20, v22, v20
	s_cbranch_scc1 .LBB3_67
.LBB3_68:                               ;   in Loop: Header=BB3_29 Depth=1
	s_mov_b32 s17, 0
	s_cbranch_execz .LBB3_70
	s_branch .LBB3_71
.LBB3_69:                               ;   in Loop: Header=BB3_29 Depth=1
                                        ; implicit-def: $vgpr19_vgpr20
                                        ; implicit-def: $sgpr17
.LBB3_70:                               ;   in Loop: Header=BB3_29 Depth=1
	global_load_b64 v[19:20], v8, s[0:1]
	s_add_i32 s17, s16, -8
	s_add_u32 s0, s0, 8
	s_addc_u32 s1, s1, 0
.LBB3_71:                               ;   in Loop: Header=BB3_29 Depth=1
	s_cmp_gt_u32 s17, 7
	s_cbranch_scc1 .LBB3_76
; %bb.72:                               ;   in Loop: Header=BB3_29 Depth=1
	v_mov_b32_e32 v21, 0
	v_mov_b32_e32 v22, 0
	s_cmp_eq_u32 s17, 0
	s_cbranch_scc1 .LBB3_75
; %bb.73:                               ;   in Loop: Header=BB3_29 Depth=1
	s_mov_b64 s[12:13], 0
	s_mov_b64 s[14:15], s[0:1]
.LBB3_74:                               ;   Parent Loop BB3_29 Depth=1
                                        ; =>  This Inner Loop Header: Depth=2
	global_load_u8 v7, v8, s[14:15]
	s_add_i32 s17, s17, -1
	s_waitcnt vmcnt(0)
	v_and_b32_e32 v7, 0xffff, v7
	s_delay_alu instid0(VALU_DEP_1)
	v_lshlrev_b64 v[23:24], s12, v[7:8]
	s_add_u32 s12, s12, 8
	s_addc_u32 s13, s13, 0
	s_add_u32 s14, s14, 1
	s_addc_u32 s15, s15, 0
	s_cmp_lg_u32 s17, 0
	v_or_b32_e32 v21, v23, v21
	v_or_b32_e32 v22, v24, v22
	s_cbranch_scc1 .LBB3_74
.LBB3_75:                               ;   in Loop: Header=BB3_29 Depth=1
	s_cbranch_execz .LBB3_77
	s_branch .LBB3_78
.LBB3_76:                               ;   in Loop: Header=BB3_29 Depth=1
.LBB3_77:                               ;   in Loop: Header=BB3_29 Depth=1
	global_load_b64 v[21:22], v8, s[0:1]
.LBB3_78:                               ;   in Loop: Header=BB3_29 Depth=1
	v_readfirstlane_b32 s0, v33
	v_mov_b32_e32 v27, 0
	v_mov_b32_e32 v28, 0
	s_delay_alu instid0(VALU_DEP_3) | instskip(NEXT) | instid1(VALU_DEP_1)
	v_cmp_eq_u32_e64 s0, s0, v33
	s_and_saveexec_b32 s1, s0
	s_cbranch_execz .LBB3_84
; %bb.79:                               ;   in Loop: Header=BB3_29 Depth=1
	global_load_b64 v[25:26], v8, s[2:3] offset:24 glc
	s_waitcnt vmcnt(0)
	buffer_gl1_inv
	buffer_gl0_inv
	s_clause 0x1
	global_load_b64 v[23:24], v8, s[2:3] offset:40
	global_load_b64 v[27:28], v8, s[2:3]
	s_mov_b32 s12, exec_lo
	s_waitcnt vmcnt(1)
	v_and_b32_e32 v7, v24, v26
	v_and_b32_e32 v23, v23, v25
	s_delay_alu instid0(VALU_DEP_2) | instskip(NEXT) | instid1(VALU_DEP_2)
	v_mul_lo_u32 v7, v7, 24
	v_mul_hi_u32 v24, v23, 24
	v_mul_lo_u32 v23, v23, 24
	s_delay_alu instid0(VALU_DEP_2) | instskip(SKIP_1) | instid1(VALU_DEP_2)
	v_add_nc_u32_e32 v7, v24, v7
	s_waitcnt vmcnt(0)
	v_add_co_u32 v23, vcc_lo, v27, v23
	s_delay_alu instid0(VALU_DEP_2)
	v_add_co_ci_u32_e32 v24, vcc_lo, v28, v7, vcc_lo
	global_load_b64 v[23:24], v[23:24], off glc
	s_waitcnt vmcnt(0)
	global_atomic_cmpswap_b64 v[27:28], v8, v[23:26], s[2:3] offset:24 glc
	s_waitcnt vmcnt(0)
	buffer_gl1_inv
	buffer_gl0_inv
	v_cmpx_ne_u64_e64 v[27:28], v[25:26]
	s_cbranch_execz .LBB3_83
; %bb.80:                               ;   in Loop: Header=BB3_29 Depth=1
	s_mov_b32 s13, 0
	.p2align	6
.LBB3_81:                               ;   Parent Loop BB3_29 Depth=1
                                        ; =>  This Inner Loop Header: Depth=2
	s_sleep 1
	s_clause 0x1
	global_load_b64 v[23:24], v8, s[2:3] offset:40
	global_load_b64 v[30:31], v8, s[2:3]
	v_dual_mov_b32 v25, v27 :: v_dual_mov_b32 v26, v28
	s_waitcnt vmcnt(1)
	s_delay_alu instid0(VALU_DEP_1) | instskip(SKIP_1) | instid1(VALU_DEP_1)
	v_and_b32_e32 v7, v23, v25
	s_waitcnt vmcnt(0)
	v_mad_u64_u32 v[27:28], null, v7, 24, v[30:31]
	v_and_b32_e32 v30, v24, v26
	s_delay_alu instid0(VALU_DEP_2) | instskip(NEXT) | instid1(VALU_DEP_1)
	v_mov_b32_e32 v7, v28
	v_mad_u64_u32 v[23:24], null, v30, 24, v[7:8]
	s_delay_alu instid0(VALU_DEP_1)
	v_mov_b32_e32 v28, v23
	global_load_b64 v[23:24], v[27:28], off glc
	s_waitcnt vmcnt(0)
	global_atomic_cmpswap_b64 v[27:28], v8, v[23:26], s[2:3] offset:24 glc
	s_waitcnt vmcnt(0)
	buffer_gl1_inv
	buffer_gl0_inv
	v_cmp_eq_u64_e32 vcc_lo, v[27:28], v[25:26]
	s_or_b32 s13, vcc_lo, s13
	s_delay_alu instid0(SALU_CYCLE_1)
	s_and_not1_b32 exec_lo, exec_lo, s13
	s_cbranch_execnz .LBB3_81
; %bb.82:                               ;   in Loop: Header=BB3_29 Depth=1
	s_or_b32 exec_lo, exec_lo, s13
.LBB3_83:                               ;   in Loop: Header=BB3_29 Depth=1
	s_delay_alu instid0(SALU_CYCLE_1)
	s_or_b32 exec_lo, exec_lo, s12
.LBB3_84:                               ;   in Loop: Header=BB3_29 Depth=1
	s_delay_alu instid0(SALU_CYCLE_1)
	s_or_b32 exec_lo, exec_lo, s1
	s_clause 0x1
	global_load_b64 v[30:31], v8, s[2:3] offset:40
	global_load_b128 v[23:26], v8, s[2:3]
	v_readfirstlane_b32 s12, v27
	v_readfirstlane_b32 s13, v28
	s_mov_b32 s1, exec_lo
	s_waitcnt vmcnt(1)
	v_readfirstlane_b32 s14, v30
	v_readfirstlane_b32 s15, v31
	s_delay_alu instid0(VALU_DEP_1) | instskip(NEXT) | instid1(SALU_CYCLE_1)
	s_and_b64 s[14:15], s[12:13], s[14:15]
	s_mul_i32 s16, s15, 24
	s_mul_hi_u32 s17, s14, 24
	s_mul_i32 s18, s14, 24
	s_add_i32 s17, s17, s16
	s_waitcnt vmcnt(0)
	v_add_co_u32 v27, vcc_lo, v23, s18
	v_add_co_ci_u32_e32 v28, vcc_lo, s17, v24, vcc_lo
	s_and_saveexec_b32 s16, s0
	s_cbranch_execz .LBB3_86
; %bb.85:                               ;   in Loop: Header=BB3_29 Depth=1
	v_mov_b32_e32 v7, s1
	global_store_b128 v[27:28], v[7:10], off offset:8
.LBB3_86:                               ;   in Loop: Header=BB3_29 Depth=1
	s_or_b32 exec_lo, exec_lo, s16
	s_lshl_b64 s[14:15], s[14:15], 12
	v_cmp_gt_u64_e64 vcc_lo, s[6:7], 56
	v_or_b32_e32 v7, 0, v2
	v_or_b32_e32 v30, v1, v29
	v_add_co_u32 v25, s1, v25, s14
	s_delay_alu instid0(VALU_DEP_1) | instskip(SKIP_1) | instid1(VALU_DEP_3)
	v_add_co_ci_u32_e64 v26, s1, s15, v26, s1
	s_lshl_b32 s1, s10, 2
	v_dual_cndmask_b32 v2, v7, v2 :: v_dual_cndmask_b32 v1, v30, v1
	s_add_i32 s1, s1, 28
	v_readfirstlane_b32 s14, v25
	s_and_b32 s1, s1, 0x1e0
	v_readfirstlane_b32 s15, v26
	v_and_or_b32 v1, 0xffffff1f, v1, s1
	s_clause 0x3
	global_store_b128 v32, v[1:4], s[14:15]
	global_store_b128 v32, v[11:14], s[14:15] offset:16
	global_store_b128 v32, v[15:18], s[14:15] offset:32
	global_store_b128 v32, v[19:22], s[14:15] offset:48
	s_and_saveexec_b32 s1, s0
	s_cbranch_execz .LBB3_94
; %bb.87:                               ;   in Loop: Header=BB3_29 Depth=1
	s_clause 0x1
	global_load_b64 v[15:16], v8, s[2:3] offset:32 glc
	global_load_b64 v[1:2], v8, s[2:3] offset:40
	v_dual_mov_b32 v13, s12 :: v_dual_mov_b32 v14, s13
	s_waitcnt vmcnt(0)
	v_readfirstlane_b32 s14, v1
	v_readfirstlane_b32 s15, v2
	s_delay_alu instid0(VALU_DEP_1) | instskip(NEXT) | instid1(SALU_CYCLE_1)
	s_and_b64 s[14:15], s[14:15], s[12:13]
	s_mul_i32 s15, s15, 24
	s_mul_hi_u32 s16, s14, 24
	s_mul_i32 s14, s14, 24
	s_add_i32 s16, s16, s15
	v_add_co_u32 v11, vcc_lo, v23, s14
	v_add_co_ci_u32_e32 v12, vcc_lo, s16, v24, vcc_lo
	s_mov_b32 s14, exec_lo
	global_store_b64 v[11:12], v[15:16], off
	s_waitcnt_vscnt null, 0x0
	global_atomic_cmpswap_b64 v[3:4], v8, v[13:16], s[2:3] offset:32 glc
	s_waitcnt vmcnt(0)
	v_cmpx_ne_u64_e64 v[3:4], v[15:16]
	s_cbranch_execz .LBB3_90
; %bb.88:                               ;   in Loop: Header=BB3_29 Depth=1
	s_mov_b32 s15, 0
.LBB3_89:                               ;   Parent Loop BB3_29 Depth=1
                                        ; =>  This Inner Loop Header: Depth=2
	v_dual_mov_b32 v1, s12 :: v_dual_mov_b32 v2, s13
	s_sleep 1
	global_store_b64 v[11:12], v[3:4], off
	s_waitcnt_vscnt null, 0x0
	global_atomic_cmpswap_b64 v[1:2], v8, v[1:4], s[2:3] offset:32 glc
	s_waitcnt vmcnt(0)
	v_cmp_eq_u64_e32 vcc_lo, v[1:2], v[3:4]
	v_dual_mov_b32 v4, v2 :: v_dual_mov_b32 v3, v1
	s_or_b32 s15, vcc_lo, s15
	s_delay_alu instid0(SALU_CYCLE_1)
	s_and_not1_b32 exec_lo, exec_lo, s15
	s_cbranch_execnz .LBB3_89
.LBB3_90:                               ;   in Loop: Header=BB3_29 Depth=1
	s_or_b32 exec_lo, exec_lo, s14
	global_load_b64 v[1:2], v8, s[2:3] offset:16
	s_mov_b32 s15, exec_lo
	s_mov_b32 s14, exec_lo
	v_mbcnt_lo_u32_b32 v3, s15, 0
	s_delay_alu instid0(VALU_DEP_1)
	v_cmpx_eq_u32_e32 0, v3
	s_cbranch_execz .LBB3_92
; %bb.91:                               ;   in Loop: Header=BB3_29 Depth=1
	s_bcnt1_i32_b32 s15, s15
	s_delay_alu instid0(SALU_CYCLE_1)
	v_mov_b32_e32 v7, s15
	s_waitcnt vmcnt(0)
	global_atomic_add_u64 v[1:2], v[7:8], off offset:8
.LBB3_92:                               ;   in Loop: Header=BB3_29 Depth=1
	s_or_b32 exec_lo, exec_lo, s14
	s_waitcnt vmcnt(0)
	global_load_b64 v[3:4], v[1:2], off offset:16
	s_waitcnt vmcnt(0)
	v_cmp_eq_u64_e32 vcc_lo, 0, v[3:4]
	s_cbranch_vccnz .LBB3_94
; %bb.93:                               ;   in Loop: Header=BB3_29 Depth=1
	global_load_b32 v7, v[1:2], off offset:24
	s_waitcnt vmcnt(0)
	v_and_b32_e32 v1, 0xffffff, v7
	s_waitcnt_vscnt null, 0x0
	global_store_b64 v[3:4], v[7:8], off
	v_readfirstlane_b32 m0, v1
	s_sendmsg sendmsg(MSG_INTERRUPT)
.LBB3_94:                               ;   in Loop: Header=BB3_29 Depth=1
	s_or_b32 exec_lo, exec_lo, s1
	v_add_co_u32 v1, vcc_lo, v25, v32
	v_add_co_ci_u32_e32 v2, vcc_lo, 0, v26, vcc_lo
	s_branch .LBB3_98
	.p2align	6
.LBB3_95:                               ;   in Loop: Header=BB3_98 Depth=2
	s_or_b32 exec_lo, exec_lo, s1
	s_delay_alu instid0(VALU_DEP_1) | instskip(NEXT) | instid1(VALU_DEP_1)
	v_readfirstlane_b32 s1, v3
	s_cmp_eq_u32 s1, 0
	s_cbranch_scc1 .LBB3_97
; %bb.96:                               ;   in Loop: Header=BB3_98 Depth=2
	s_sleep 1
	s_cbranch_execnz .LBB3_98
	s_branch .LBB3_100
	.p2align	6
.LBB3_97:                               ;   in Loop: Header=BB3_29 Depth=1
	s_branch .LBB3_100
.LBB3_98:                               ;   Parent Loop BB3_29 Depth=1
                                        ; =>  This Inner Loop Header: Depth=2
	v_mov_b32_e32 v3, 1
	s_and_saveexec_b32 s1, s0
	s_cbranch_execz .LBB3_95
; %bb.99:                               ;   in Loop: Header=BB3_98 Depth=2
	global_load_b32 v3, v[27:28], off offset:20 glc
	s_waitcnt vmcnt(0)
	buffer_gl1_inv
	buffer_gl0_inv
	v_and_b32_e32 v3, 1, v3
	s_branch .LBB3_95
.LBB3_100:                              ;   in Loop: Header=BB3_29 Depth=1
	global_load_b128 v[1:4], v[1:2], off
	s_and_saveexec_b32 s1, s0
	s_cbranch_execz .LBB3_28
; %bb.101:                              ;   in Loop: Header=BB3_29 Depth=1
	s_clause 0x2
	global_load_b64 v[3:4], v8, s[2:3] offset:40
	global_load_b64 v[15:16], v8, s[2:3] offset:24 glc
	global_load_b64 v[13:14], v8, s[2:3]
	s_waitcnt vmcnt(2)
	v_add_co_u32 v7, vcc_lo, v3, 1
	v_add_co_ci_u32_e32 v17, vcc_lo, 0, v4, vcc_lo
	s_delay_alu instid0(VALU_DEP_2) | instskip(NEXT) | instid1(VALU_DEP_2)
	v_add_co_u32 v11, vcc_lo, v7, s12
	v_add_co_ci_u32_e32 v12, vcc_lo, s13, v17, vcc_lo
	s_delay_alu instid0(VALU_DEP_1) | instskip(SKIP_1) | instid1(VALU_DEP_1)
	v_cmp_eq_u64_e32 vcc_lo, 0, v[11:12]
	v_dual_cndmask_b32 v12, v12, v17 :: v_dual_cndmask_b32 v11, v11, v7
	v_and_b32_e32 v4, v12, v4
	s_delay_alu instid0(VALU_DEP_2) | instskip(NEXT) | instid1(VALU_DEP_1)
	v_and_b32_e32 v3, v11, v3
	v_mul_hi_u32 v7, v3, 24
	v_mul_lo_u32 v3, v3, 24
	s_waitcnt vmcnt(0)
	s_delay_alu instid0(VALU_DEP_1) | instskip(SKIP_2) | instid1(VALU_DEP_1)
	v_add_co_u32 v3, vcc_lo, v13, v3
	v_mov_b32_e32 v13, v15
	v_mul_lo_u32 v4, v4, 24
	v_add_nc_u32_e32 v4, v7, v4
	s_delay_alu instid0(VALU_DEP_1)
	v_add_co_ci_u32_e32 v4, vcc_lo, v14, v4, vcc_lo
	v_mov_b32_e32 v14, v16
	global_store_b64 v[3:4], v[15:16], off
	s_waitcnt_vscnt null, 0x0
	global_atomic_cmpswap_b64 v[13:14], v8, v[11:14], s[2:3] offset:24 glc
	s_waitcnt vmcnt(0)
	v_cmp_ne_u64_e32 vcc_lo, v[13:14], v[15:16]
	s_and_b32 exec_lo, exec_lo, vcc_lo
	s_cbranch_execz .LBB3_28
; %bb.102:                              ;   in Loop: Header=BB3_29 Depth=1
	s_mov_b32 s0, 0
.LBB3_103:                              ;   Parent Loop BB3_29 Depth=1
                                        ; =>  This Inner Loop Header: Depth=2
	s_sleep 1
	global_store_b64 v[3:4], v[13:14], off
	s_waitcnt_vscnt null, 0x0
	global_atomic_cmpswap_b64 v[15:16], v8, v[11:14], s[2:3] offset:24 glc
	s_waitcnt vmcnt(0)
	v_cmp_eq_u64_e32 vcc_lo, v[15:16], v[13:14]
	v_dual_mov_b32 v13, v15 :: v_dual_mov_b32 v14, v16
	s_or_b32 s0, vcc_lo, s0
	s_delay_alu instid0(SALU_CYCLE_1)
	s_and_not1_b32 exec_lo, exec_lo, s0
	s_cbranch_execnz .LBB3_103
	s_branch .LBB3_28
.LBB3_104:
                                        ; implicit-def: $vgpr1_vgpr2
	s_cbranch_execnz .LBB3_106
	s_branch .LBB3_133
.LBB3_105:
	s_branch .LBB3_133
.LBB3_106:
	v_readfirstlane_b32 s0, v33
	v_mov_b32_e32 v8, 0
	v_mov_b32_e32 v9, 0
	s_delay_alu instid0(VALU_DEP_3) | instskip(NEXT) | instid1(VALU_DEP_1)
	v_cmp_eq_u32_e64 s0, s0, v33
	s_and_saveexec_b32 s1, s0
	s_cbranch_execz .LBB3_112
; %bb.107:
	s_waitcnt vmcnt(0)
	v_mov_b32_e32 v1, 0
	s_mov_b32 s4, exec_lo
	global_load_b64 v[10:11], v1, s[2:3] offset:24 glc
	s_waitcnt vmcnt(0)
	buffer_gl1_inv
	buffer_gl0_inv
	s_clause 0x1
	global_load_b64 v[2:3], v1, s[2:3] offset:40
	global_load_b64 v[7:8], v1, s[2:3]
	s_waitcnt vmcnt(1)
	v_and_b32_e32 v2, v2, v10
	v_and_b32_e32 v3, v3, v11
	s_delay_alu instid0(VALU_DEP_2) | instskip(NEXT) | instid1(VALU_DEP_2)
	v_mul_hi_u32 v4, v2, 24
	v_mul_lo_u32 v3, v3, 24
	v_mul_lo_u32 v2, v2, 24
	s_delay_alu instid0(VALU_DEP_2) | instskip(SKIP_1) | instid1(VALU_DEP_2)
	v_add_nc_u32_e32 v3, v4, v3
	s_waitcnt vmcnt(0)
	v_add_co_u32 v2, vcc_lo, v7, v2
	s_delay_alu instid0(VALU_DEP_2)
	v_add_co_ci_u32_e32 v3, vcc_lo, v8, v3, vcc_lo
	global_load_b64 v[8:9], v[2:3], off glc
	s_waitcnt vmcnt(0)
	global_atomic_cmpswap_b64 v[8:9], v1, v[8:11], s[2:3] offset:24 glc
	s_waitcnt vmcnt(0)
	buffer_gl1_inv
	buffer_gl0_inv
	v_cmpx_ne_u64_e64 v[8:9], v[10:11]
	s_cbranch_execz .LBB3_111
; %bb.108:
	s_mov_b32 s5, 0
	.p2align	6
.LBB3_109:                              ; =>This Inner Loop Header: Depth=1
	s_sleep 1
	s_clause 0x1
	global_load_b64 v[2:3], v1, s[2:3] offset:40
	global_load_b64 v[12:13], v1, s[2:3]
	v_dual_mov_b32 v11, v9 :: v_dual_mov_b32 v10, v8
	s_waitcnt vmcnt(1)
	s_delay_alu instid0(VALU_DEP_1) | instskip(SKIP_1) | instid1(VALU_DEP_1)
	v_and_b32_e32 v2, v2, v10
	s_waitcnt vmcnt(0)
	v_mad_u64_u32 v[7:8], null, v2, 24, v[12:13]
	s_delay_alu instid0(VALU_DEP_1) | instskip(NEXT) | instid1(VALU_DEP_1)
	v_dual_mov_b32 v2, v8 :: v_dual_and_b32 v9, v3, v11
	v_mad_u64_u32 v[3:4], null, v9, 24, v[2:3]
	s_delay_alu instid0(VALU_DEP_1)
	v_mov_b32_e32 v8, v3
	global_load_b64 v[8:9], v[7:8], off glc
	s_waitcnt vmcnt(0)
	global_atomic_cmpswap_b64 v[8:9], v1, v[8:11], s[2:3] offset:24 glc
	s_waitcnt vmcnt(0)
	buffer_gl1_inv
	buffer_gl0_inv
	v_cmp_eq_u64_e32 vcc_lo, v[8:9], v[10:11]
	s_or_b32 s5, vcc_lo, s5
	s_delay_alu instid0(SALU_CYCLE_1)
	s_and_not1_b32 exec_lo, exec_lo, s5
	s_cbranch_execnz .LBB3_109
; %bb.110:
	s_or_b32 exec_lo, exec_lo, s5
.LBB3_111:
	s_delay_alu instid0(SALU_CYCLE_1)
	s_or_b32 exec_lo, exec_lo, s4
.LBB3_112:
	s_delay_alu instid0(SALU_CYCLE_1)
	s_or_b32 exec_lo, exec_lo, s1
	v_mov_b32_e32 v7, 0
	v_readfirstlane_b32 s4, v8
	v_readfirstlane_b32 s5, v9
	s_mov_b32 s1, exec_lo
	s_clause 0x1
	global_load_b64 v[10:11], v7, s[2:3] offset:40
	global_load_b128 v[1:4], v7, s[2:3]
	s_waitcnt vmcnt(1)
	v_readfirstlane_b32 s6, v10
	v_readfirstlane_b32 s7, v11
	s_delay_alu instid0(VALU_DEP_1) | instskip(NEXT) | instid1(SALU_CYCLE_1)
	s_and_b64 s[6:7], s[4:5], s[6:7]
	s_mul_i32 s10, s7, 24
	s_mul_hi_u32 s11, s6, 24
	s_mul_i32 s12, s6, 24
	s_add_i32 s11, s11, s10
	s_waitcnt vmcnt(0)
	v_add_co_u32 v9, vcc_lo, v1, s12
	v_add_co_ci_u32_e32 v10, vcc_lo, s11, v2, vcc_lo
	s_and_saveexec_b32 s10, s0
	s_cbranch_execz .LBB3_114
; %bb.113:
	v_dual_mov_b32 v11, s1 :: v_dual_mov_b32 v12, v7
	v_dual_mov_b32 v13, 2 :: v_dual_mov_b32 v14, 1
	global_store_b128 v[9:10], v[11:14], off offset:8
.LBB3_114:
	s_or_b32 exec_lo, exec_lo, s10
	s_lshl_b64 s[6:7], s[6:7], 12
	s_mov_b32 s12, 0
	v_add_co_u32 v3, vcc_lo, v3, s6
	v_add_co_ci_u32_e32 v4, vcc_lo, s7, v4, vcc_lo
	s_mov_b32 s15, s12
	s_delay_alu instid0(VALU_DEP_2)
	v_add_co_u32 v11, vcc_lo, v3, v32
	s_mov_b32 s13, s12
	s_mov_b32 s14, s12
	v_and_or_b32 v5, 0xffffff1f, v5, 32
	v_mov_b32_e32 v8, v7
	v_readfirstlane_b32 s6, v3
	v_readfirstlane_b32 s7, v4
	v_dual_mov_b32 v16, s15 :: v_dual_mov_b32 v13, s12
	v_add_co_ci_u32_e32 v12, vcc_lo, 0, v4, vcc_lo
	v_dual_mov_b32 v15, s14 :: v_dual_mov_b32 v14, s13
	s_clause 0x3
	global_store_b128 v32, v[5:8], s[6:7]
	global_store_b128 v32, v[13:16], s[6:7] offset:16
	global_store_b128 v32, v[13:16], s[6:7] offset:32
	;; [unrolled: 1-line block ×3, first 2 shown]
	s_and_saveexec_b32 s1, s0
	s_cbranch_execz .LBB3_122
; %bb.115:
	v_dual_mov_b32 v7, 0 :: v_dual_mov_b32 v14, s5
	v_mov_b32_e32 v13, s4
	s_clause 0x1
	global_load_b64 v[15:16], v7, s[2:3] offset:32 glc
	global_load_b64 v[3:4], v7, s[2:3] offset:40
	s_waitcnt vmcnt(0)
	v_readfirstlane_b32 s6, v3
	v_readfirstlane_b32 s7, v4
	s_delay_alu instid0(VALU_DEP_1) | instskip(NEXT) | instid1(SALU_CYCLE_1)
	s_and_b64 s[6:7], s[6:7], s[4:5]
	s_mul_i32 s7, s7, 24
	s_mul_hi_u32 s10, s6, 24
	s_mul_i32 s6, s6, 24
	s_add_i32 s10, s10, s7
	v_add_co_u32 v5, vcc_lo, v1, s6
	v_add_co_ci_u32_e32 v6, vcc_lo, s10, v2, vcc_lo
	s_mov_b32 s6, exec_lo
	global_store_b64 v[5:6], v[15:16], off
	s_waitcnt_vscnt null, 0x0
	global_atomic_cmpswap_b64 v[3:4], v7, v[13:16], s[2:3] offset:32 glc
	s_waitcnt vmcnt(0)
	v_cmpx_ne_u64_e64 v[3:4], v[15:16]
	s_cbranch_execz .LBB3_118
; %bb.116:
	s_mov_b32 s7, 0
.LBB3_117:                              ; =>This Inner Loop Header: Depth=1
	v_dual_mov_b32 v1, s4 :: v_dual_mov_b32 v2, s5
	s_sleep 1
	global_store_b64 v[5:6], v[3:4], off
	s_waitcnt_vscnt null, 0x0
	global_atomic_cmpswap_b64 v[1:2], v7, v[1:4], s[2:3] offset:32 glc
	s_waitcnt vmcnt(0)
	v_cmp_eq_u64_e32 vcc_lo, v[1:2], v[3:4]
	v_dual_mov_b32 v4, v2 :: v_dual_mov_b32 v3, v1
	s_or_b32 s7, vcc_lo, s7
	s_delay_alu instid0(SALU_CYCLE_1)
	s_and_not1_b32 exec_lo, exec_lo, s7
	s_cbranch_execnz .LBB3_117
.LBB3_118:
	s_or_b32 exec_lo, exec_lo, s6
	v_mov_b32_e32 v4, 0
	s_mov_b32 s7, exec_lo
	s_mov_b32 s6, exec_lo
	v_mbcnt_lo_u32_b32 v3, s7, 0
	global_load_b64 v[1:2], v4, s[2:3] offset:16
	v_cmpx_eq_u32_e32 0, v3
	s_cbranch_execz .LBB3_120
; %bb.119:
	s_bcnt1_i32_b32 s7, s7
	s_delay_alu instid0(SALU_CYCLE_1)
	v_mov_b32_e32 v3, s7
	s_waitcnt vmcnt(0)
	global_atomic_add_u64 v[1:2], v[3:4], off offset:8
.LBB3_120:
	s_or_b32 exec_lo, exec_lo, s6
	s_waitcnt vmcnt(0)
	global_load_b64 v[3:4], v[1:2], off offset:16
	s_waitcnt vmcnt(0)
	v_cmp_eq_u64_e32 vcc_lo, 0, v[3:4]
	s_cbranch_vccnz .LBB3_122
; %bb.121:
	global_load_b32 v1, v[1:2], off offset:24
	s_waitcnt vmcnt(0)
	v_dual_mov_b32 v2, 0 :: v_dual_and_b32 v5, 0xffffff, v1
	s_waitcnt_vscnt null, 0x0
	global_store_b64 v[3:4], v[1:2], off
	v_readfirstlane_b32 m0, v5
	s_sendmsg sendmsg(MSG_INTERRUPT)
.LBB3_122:
	s_or_b32 exec_lo, exec_lo, s1
	s_branch .LBB3_126
	.p2align	6
.LBB3_123:                              ;   in Loop: Header=BB3_126 Depth=1
	s_or_b32 exec_lo, exec_lo, s1
	s_delay_alu instid0(VALU_DEP_1) | instskip(NEXT) | instid1(VALU_DEP_1)
	v_readfirstlane_b32 s1, v1
	s_cmp_eq_u32 s1, 0
	s_cbranch_scc1 .LBB3_125
; %bb.124:                              ;   in Loop: Header=BB3_126 Depth=1
	s_sleep 1
	s_cbranch_execnz .LBB3_126
	s_branch .LBB3_128
	.p2align	6
.LBB3_125:
	s_branch .LBB3_128
.LBB3_126:                              ; =>This Inner Loop Header: Depth=1
	v_mov_b32_e32 v1, 1
	s_and_saveexec_b32 s1, s0
	s_cbranch_execz .LBB3_123
; %bb.127:                              ;   in Loop: Header=BB3_126 Depth=1
	global_load_b32 v1, v[9:10], off offset:20 glc
	s_waitcnt vmcnt(0)
	buffer_gl1_inv
	buffer_gl0_inv
	v_and_b32_e32 v1, 1, v1
	s_branch .LBB3_123
.LBB3_128:
	global_load_b64 v[1:2], v[11:12], off
	s_and_saveexec_b32 s1, s0
	s_cbranch_execz .LBB3_132
; %bb.129:
	v_mov_b32_e32 v9, 0
	s_clause 0x2
	global_load_b64 v[5:6], v9, s[2:3] offset:40
	global_load_b64 v[10:11], v9, s[2:3] offset:24 glc
	global_load_b64 v[7:8], v9, s[2:3]
	s_waitcnt vmcnt(2)
	v_add_co_u32 v12, vcc_lo, v5, 1
	v_add_co_ci_u32_e32 v13, vcc_lo, 0, v6, vcc_lo
	s_delay_alu instid0(VALU_DEP_2) | instskip(NEXT) | instid1(VALU_DEP_2)
	v_add_co_u32 v3, vcc_lo, v12, s4
	v_add_co_ci_u32_e32 v4, vcc_lo, s5, v13, vcc_lo
	s_delay_alu instid0(VALU_DEP_1) | instskip(SKIP_1) | instid1(VALU_DEP_1)
	v_cmp_eq_u64_e32 vcc_lo, 0, v[3:4]
	v_dual_cndmask_b32 v4, v4, v13 :: v_dual_cndmask_b32 v3, v3, v12
	v_and_b32_e32 v6, v4, v6
	s_delay_alu instid0(VALU_DEP_2) | instskip(NEXT) | instid1(VALU_DEP_2)
	v_and_b32_e32 v5, v3, v5
	v_mul_lo_u32 v6, v6, 24
	s_delay_alu instid0(VALU_DEP_2) | instskip(SKIP_1) | instid1(VALU_DEP_2)
	v_mul_hi_u32 v12, v5, 24
	v_mul_lo_u32 v5, v5, 24
	v_add_nc_u32_e32 v6, v12, v6
	s_waitcnt vmcnt(0)
	s_delay_alu instid0(VALU_DEP_2) | instskip(SKIP_1) | instid1(VALU_DEP_3)
	v_add_co_u32 v7, vcc_lo, v7, v5
	v_mov_b32_e32 v5, v10
	v_add_co_ci_u32_e32 v8, vcc_lo, v8, v6, vcc_lo
	v_mov_b32_e32 v6, v11
	global_store_b64 v[7:8], v[10:11], off
	s_waitcnt_vscnt null, 0x0
	global_atomic_cmpswap_b64 v[5:6], v9, v[3:6], s[2:3] offset:24 glc
	s_waitcnt vmcnt(0)
	v_cmp_ne_u64_e32 vcc_lo, v[5:6], v[10:11]
	s_and_b32 exec_lo, exec_lo, vcc_lo
	s_cbranch_execz .LBB3_132
; %bb.130:
	s_mov_b32 s0, 0
.LBB3_131:                              ; =>This Inner Loop Header: Depth=1
	s_sleep 1
	global_store_b64 v[7:8], v[5:6], off
	s_waitcnt_vscnt null, 0x0
	global_atomic_cmpswap_b64 v[10:11], v9, v[3:6], s[2:3] offset:24 glc
	s_waitcnt vmcnt(0)
	v_cmp_eq_u64_e32 vcc_lo, v[10:11], v[5:6]
	v_dual_mov_b32 v5, v10 :: v_dual_mov_b32 v6, v11
	s_or_b32 s0, vcc_lo, s0
	s_delay_alu instid0(SALU_CYCLE_1)
	s_and_not1_b32 exec_lo, exec_lo, s0
	s_cbranch_execnz .LBB3_131
.LBB3_132:
	s_or_b32 exec_lo, exec_lo, s1
.LBB3_133:
	s_getpc_b64 s[0:1]
	s_add_u32 s0, s0, .str.1@rel32@lo+4
	s_addc_u32 s1, s1, .str.1@rel32@hi+12
	s_mov_b64 s[4:5], 0
	s_cmp_lg_u64 s[0:1], 0
	s_cselect_b32 s6, -1, 0
	s_cmp_eq_u64 s[0:1], 0
	s_cbranch_scc1 .LBB3_137
; %bb.134:
	s_waitcnt vmcnt(0)
	v_mov_b32_e32 v3, 0
	s_getpc_b64 s[0:1]
	s_add_u32 s0, s0, .str.1@rel32@lo+3
	s_addc_u32 s1, s1, .str.1@rel32@hi+11
.LBB3_135:                              ; =>This Inner Loop Header: Depth=1
	global_load_u8 v4, v3, s[0:1] offset:1
	s_add_u32 s4, s0, 1
	s_addc_u32 s5, s1, 0
	s_delay_alu instid0(SALU_CYCLE_1)
	s_mov_b64 s[0:1], s[4:5]
	s_waitcnt vmcnt(0)
	v_cmp_ne_u16_e32 vcc_lo, 0, v4
	s_cbranch_vccnz .LBB3_135
; %bb.136:
	s_getpc_b64 s[0:1]
	s_add_u32 s0, s0, .str.1@rel32@lo+4
	s_addc_u32 s1, s1, .str.1@rel32@hi+12
	s_sub_u32 s0, s4, s0
	s_subb_u32 s1, s5, s1
	s_add_u32 s4, s0, 1
	s_addc_u32 s5, s1, 0
.LBB3_137:
	s_and_b32 vcc_lo, exec_lo, s6
	s_cbranch_vccz .LBB3_215
; %bb.138:
	s_waitcnt vmcnt(0)
	v_dual_mov_b32 v7, 0 :: v_dual_and_b32 v34, 2, v1
	v_dual_mov_b32 v4, v2 :: v_dual_and_b32 v3, -3, v1
	v_dual_mov_b32 v8, 2 :: v_dual_mov_b32 v9, 1
	s_getpc_b64 s[6:7]
	s_add_u32 s6, s6, .str.1@rel32@lo+4
	s_addc_u32 s7, s7, .str.1@rel32@hi+12
	s_branch .LBB3_140
.LBB3_139:                              ;   in Loop: Header=BB3_140 Depth=1
	s_or_b32 exec_lo, exec_lo, s1
	s_sub_u32 s4, s4, s10
	s_subb_u32 s5, s5, s11
	s_add_u32 s6, s6, s10
	s_addc_u32 s7, s7, s11
	s_cmp_lg_u64 s[4:5], 0
	s_cbranch_scc0 .LBB3_216
.LBB3_140:                              ; =>This Loop Header: Depth=1
                                        ;     Child Loop BB3_149 Depth 2
                                        ;     Child Loop BB3_145 Depth 2
	;; [unrolled: 1-line block ×11, first 2 shown]
	v_cmp_lt_u64_e64 s0, s[4:5], 56
	v_cmp_gt_u64_e64 s1, s[4:5], 7
                                        ; implicit-def: $vgpr12_vgpr13
                                        ; implicit-def: $sgpr16
	s_delay_alu instid0(VALU_DEP_2) | instskip(SKIP_2) | instid1(VALU_DEP_1)
	s_and_b32 s0, s0, exec_lo
	s_cselect_b32 s11, s5, 0
	s_cselect_b32 s10, s4, 56
	s_and_b32 vcc_lo, exec_lo, s1
	s_mov_b32 s0, -1
	s_cbranch_vccz .LBB3_147
; %bb.141:                              ;   in Loop: Header=BB3_140 Depth=1
	s_and_not1_b32 vcc_lo, exec_lo, s0
	s_mov_b64 s[0:1], s[6:7]
	s_cbranch_vccz .LBB3_151
.LBB3_142:                              ;   in Loop: Header=BB3_140 Depth=1
	s_cmp_gt_u32 s16, 7
	s_cbranch_scc1 .LBB3_152
.LBB3_143:                              ;   in Loop: Header=BB3_140 Depth=1
	v_mov_b32_e32 v14, 0
	v_mov_b32_e32 v15, 0
	s_cmp_eq_u32 s16, 0
	s_cbranch_scc1 .LBB3_146
; %bb.144:                              ;   in Loop: Header=BB3_140 Depth=1
	s_mov_b64 s[12:13], 0
	s_mov_b64 s[14:15], 0
.LBB3_145:                              ;   Parent Loop BB3_140 Depth=1
                                        ; =>  This Inner Loop Header: Depth=2
	s_delay_alu instid0(SALU_CYCLE_1)
	s_add_u32 s18, s0, s14
	s_addc_u32 s19, s1, s15
	s_add_u32 s14, s14, 1
	global_load_u8 v5, v7, s[18:19]
	s_addc_u32 s15, s15, 0
	s_waitcnt vmcnt(0)
	v_and_b32_e32 v6, 0xffff, v5
	s_delay_alu instid0(VALU_DEP_1) | instskip(SKIP_3) | instid1(VALU_DEP_1)
	v_lshlrev_b64 v[5:6], s12, v[6:7]
	s_add_u32 s12, s12, 8
	s_addc_u32 s13, s13, 0
	s_cmp_lg_u32 s16, s14
	v_or_b32_e32 v14, v5, v14
	s_delay_alu instid0(VALU_DEP_2)
	v_or_b32_e32 v15, v6, v15
	s_cbranch_scc1 .LBB3_145
.LBB3_146:                              ;   in Loop: Header=BB3_140 Depth=1
	s_mov_b32 s17, 0
	s_cbranch_execz .LBB3_153
	s_branch .LBB3_154
.LBB3_147:                              ;   in Loop: Header=BB3_140 Depth=1
	v_mov_b32_e32 v12, 0
	v_mov_b32_e32 v13, 0
	s_cmp_eq_u64 s[4:5], 0
	s_mov_b64 s[0:1], 0
	s_cbranch_scc1 .LBB3_150
; %bb.148:                              ;   in Loop: Header=BB3_140 Depth=1
	v_mov_b32_e32 v12, 0
	v_mov_b32_e32 v13, 0
	s_lshl_b64 s[12:13], s[10:11], 3
	s_mov_b64 s[14:15], s[6:7]
.LBB3_149:                              ;   Parent Loop BB3_140 Depth=1
                                        ; =>  This Inner Loop Header: Depth=2
	global_load_u8 v5, v7, s[14:15]
	s_waitcnt vmcnt(0)
	v_and_b32_e32 v6, 0xffff, v5
	s_delay_alu instid0(VALU_DEP_1)
	v_lshlrev_b64 v[5:6], s0, v[6:7]
	s_add_u32 s0, s0, 8
	s_addc_u32 s1, s1, 0
	s_add_u32 s14, s14, 1
	s_addc_u32 s15, s15, 0
	s_cmp_lg_u32 s12, s0
	v_or_b32_e32 v12, v5, v12
	v_or_b32_e32 v13, v6, v13
	s_cbranch_scc1 .LBB3_149
.LBB3_150:                              ;   in Loop: Header=BB3_140 Depth=1
	s_mov_b32 s16, 0
	s_mov_b64 s[0:1], s[6:7]
	s_cbranch_execnz .LBB3_142
.LBB3_151:                              ;   in Loop: Header=BB3_140 Depth=1
	global_load_b64 v[12:13], v7, s[6:7]
	s_add_i32 s16, s10, -8
	s_add_u32 s0, s6, 8
	s_addc_u32 s1, s7, 0
	s_cmp_gt_u32 s16, 7
	s_cbranch_scc0 .LBB3_143
.LBB3_152:                              ;   in Loop: Header=BB3_140 Depth=1
                                        ; implicit-def: $vgpr14_vgpr15
                                        ; implicit-def: $sgpr17
.LBB3_153:                              ;   in Loop: Header=BB3_140 Depth=1
	global_load_b64 v[14:15], v7, s[0:1]
	s_add_i32 s17, s16, -8
	s_add_u32 s0, s0, 8
	s_addc_u32 s1, s1, 0
.LBB3_154:                              ;   in Loop: Header=BB3_140 Depth=1
	s_cmp_gt_u32 s17, 7
	s_cbranch_scc1 .LBB3_159
; %bb.155:                              ;   in Loop: Header=BB3_140 Depth=1
	v_mov_b32_e32 v16, 0
	v_mov_b32_e32 v17, 0
	s_cmp_eq_u32 s17, 0
	s_cbranch_scc1 .LBB3_158
; %bb.156:                              ;   in Loop: Header=BB3_140 Depth=1
	s_mov_b64 s[12:13], 0
	s_mov_b64 s[14:15], 0
.LBB3_157:                              ;   Parent Loop BB3_140 Depth=1
                                        ; =>  This Inner Loop Header: Depth=2
	s_delay_alu instid0(SALU_CYCLE_1)
	s_add_u32 s18, s0, s14
	s_addc_u32 s19, s1, s15
	s_add_u32 s14, s14, 1
	global_load_u8 v5, v7, s[18:19]
	s_addc_u32 s15, s15, 0
	s_waitcnt vmcnt(0)
	v_and_b32_e32 v6, 0xffff, v5
	s_delay_alu instid0(VALU_DEP_1) | instskip(SKIP_3) | instid1(VALU_DEP_1)
	v_lshlrev_b64 v[5:6], s12, v[6:7]
	s_add_u32 s12, s12, 8
	s_addc_u32 s13, s13, 0
	s_cmp_lg_u32 s17, s14
	v_or_b32_e32 v16, v5, v16
	s_delay_alu instid0(VALU_DEP_2)
	v_or_b32_e32 v17, v6, v17
	s_cbranch_scc1 .LBB3_157
.LBB3_158:                              ;   in Loop: Header=BB3_140 Depth=1
	s_mov_b32 s16, 0
	s_cbranch_execz .LBB3_160
	s_branch .LBB3_161
.LBB3_159:                              ;   in Loop: Header=BB3_140 Depth=1
                                        ; implicit-def: $sgpr16
.LBB3_160:                              ;   in Loop: Header=BB3_140 Depth=1
	global_load_b64 v[16:17], v7, s[0:1]
	s_add_i32 s16, s17, -8
	s_add_u32 s0, s0, 8
	s_addc_u32 s1, s1, 0
.LBB3_161:                              ;   in Loop: Header=BB3_140 Depth=1
	s_cmp_gt_u32 s16, 7
	s_cbranch_scc1 .LBB3_166
; %bb.162:                              ;   in Loop: Header=BB3_140 Depth=1
	v_mov_b32_e32 v18, 0
	v_mov_b32_e32 v19, 0
	s_cmp_eq_u32 s16, 0
	s_cbranch_scc1 .LBB3_165
; %bb.163:                              ;   in Loop: Header=BB3_140 Depth=1
	s_mov_b64 s[12:13], 0
	s_mov_b64 s[14:15], 0
.LBB3_164:                              ;   Parent Loop BB3_140 Depth=1
                                        ; =>  This Inner Loop Header: Depth=2
	s_delay_alu instid0(SALU_CYCLE_1)
	s_add_u32 s18, s0, s14
	s_addc_u32 s19, s1, s15
	s_add_u32 s14, s14, 1
	global_load_u8 v5, v7, s[18:19]
	s_addc_u32 s15, s15, 0
	s_waitcnt vmcnt(0)
	v_and_b32_e32 v6, 0xffff, v5
	s_delay_alu instid0(VALU_DEP_1) | instskip(SKIP_3) | instid1(VALU_DEP_1)
	v_lshlrev_b64 v[5:6], s12, v[6:7]
	s_add_u32 s12, s12, 8
	s_addc_u32 s13, s13, 0
	s_cmp_lg_u32 s16, s14
	v_or_b32_e32 v18, v5, v18
	s_delay_alu instid0(VALU_DEP_2)
	v_or_b32_e32 v19, v6, v19
	s_cbranch_scc1 .LBB3_164
.LBB3_165:                              ;   in Loop: Header=BB3_140 Depth=1
	s_mov_b32 s17, 0
	s_cbranch_execz .LBB3_167
	s_branch .LBB3_168
.LBB3_166:                              ;   in Loop: Header=BB3_140 Depth=1
                                        ; implicit-def: $vgpr18_vgpr19
                                        ; implicit-def: $sgpr17
.LBB3_167:                              ;   in Loop: Header=BB3_140 Depth=1
	global_load_b64 v[18:19], v7, s[0:1]
	s_add_i32 s17, s16, -8
	s_add_u32 s0, s0, 8
	s_addc_u32 s1, s1, 0
.LBB3_168:                              ;   in Loop: Header=BB3_140 Depth=1
	s_cmp_gt_u32 s17, 7
	s_cbranch_scc1 .LBB3_173
; %bb.169:                              ;   in Loop: Header=BB3_140 Depth=1
	v_mov_b32_e32 v20, 0
	v_mov_b32_e32 v21, 0
	s_cmp_eq_u32 s17, 0
	s_cbranch_scc1 .LBB3_172
; %bb.170:                              ;   in Loop: Header=BB3_140 Depth=1
	s_mov_b64 s[12:13], 0
	s_mov_b64 s[14:15], 0
.LBB3_171:                              ;   Parent Loop BB3_140 Depth=1
                                        ; =>  This Inner Loop Header: Depth=2
	s_delay_alu instid0(SALU_CYCLE_1)
	s_add_u32 s18, s0, s14
	s_addc_u32 s19, s1, s15
	s_add_u32 s14, s14, 1
	global_load_u8 v5, v7, s[18:19]
	s_addc_u32 s15, s15, 0
	s_waitcnt vmcnt(0)
	v_and_b32_e32 v6, 0xffff, v5
	s_delay_alu instid0(VALU_DEP_1) | instskip(SKIP_3) | instid1(VALU_DEP_1)
	v_lshlrev_b64 v[5:6], s12, v[6:7]
	s_add_u32 s12, s12, 8
	s_addc_u32 s13, s13, 0
	s_cmp_lg_u32 s17, s14
	v_or_b32_e32 v20, v5, v20
	s_delay_alu instid0(VALU_DEP_2)
	v_or_b32_e32 v21, v6, v21
	s_cbranch_scc1 .LBB3_171
.LBB3_172:                              ;   in Loop: Header=BB3_140 Depth=1
	s_mov_b32 s16, 0
	s_cbranch_execz .LBB3_174
	s_branch .LBB3_175
.LBB3_173:                              ;   in Loop: Header=BB3_140 Depth=1
                                        ; implicit-def: $sgpr16
.LBB3_174:                              ;   in Loop: Header=BB3_140 Depth=1
	global_load_b64 v[20:21], v7, s[0:1]
	s_add_i32 s16, s17, -8
	s_add_u32 s0, s0, 8
	s_addc_u32 s1, s1, 0
.LBB3_175:                              ;   in Loop: Header=BB3_140 Depth=1
	s_cmp_gt_u32 s16, 7
	s_cbranch_scc1 .LBB3_180
; %bb.176:                              ;   in Loop: Header=BB3_140 Depth=1
	v_mov_b32_e32 v22, 0
	v_mov_b32_e32 v23, 0
	s_cmp_eq_u32 s16, 0
	s_cbranch_scc1 .LBB3_179
; %bb.177:                              ;   in Loop: Header=BB3_140 Depth=1
	s_mov_b64 s[12:13], 0
	s_mov_b64 s[14:15], 0
.LBB3_178:                              ;   Parent Loop BB3_140 Depth=1
                                        ; =>  This Inner Loop Header: Depth=2
	s_delay_alu instid0(SALU_CYCLE_1)
	s_add_u32 s18, s0, s14
	s_addc_u32 s19, s1, s15
	s_add_u32 s14, s14, 1
	global_load_u8 v5, v7, s[18:19]
	s_addc_u32 s15, s15, 0
	s_waitcnt vmcnt(0)
	v_and_b32_e32 v6, 0xffff, v5
	s_delay_alu instid0(VALU_DEP_1) | instskip(SKIP_3) | instid1(VALU_DEP_1)
	v_lshlrev_b64 v[5:6], s12, v[6:7]
	s_add_u32 s12, s12, 8
	s_addc_u32 s13, s13, 0
	s_cmp_lg_u32 s16, s14
	v_or_b32_e32 v22, v5, v22
	s_delay_alu instid0(VALU_DEP_2)
	v_or_b32_e32 v23, v6, v23
	s_cbranch_scc1 .LBB3_178
.LBB3_179:                              ;   in Loop: Header=BB3_140 Depth=1
	s_mov_b32 s17, 0
	s_cbranch_execz .LBB3_181
	s_branch .LBB3_182
.LBB3_180:                              ;   in Loop: Header=BB3_140 Depth=1
                                        ; implicit-def: $vgpr22_vgpr23
                                        ; implicit-def: $sgpr17
.LBB3_181:                              ;   in Loop: Header=BB3_140 Depth=1
	global_load_b64 v[22:23], v7, s[0:1]
	s_add_i32 s17, s16, -8
	s_add_u32 s0, s0, 8
	s_addc_u32 s1, s1, 0
.LBB3_182:                              ;   in Loop: Header=BB3_140 Depth=1
	s_cmp_gt_u32 s17, 7
	s_cbranch_scc1 .LBB3_187
; %bb.183:                              ;   in Loop: Header=BB3_140 Depth=1
	v_mov_b32_e32 v24, 0
	v_mov_b32_e32 v25, 0
	s_cmp_eq_u32 s17, 0
	s_cbranch_scc1 .LBB3_186
; %bb.184:                              ;   in Loop: Header=BB3_140 Depth=1
	s_mov_b64 s[12:13], 0
	s_mov_b64 s[14:15], s[0:1]
.LBB3_185:                              ;   Parent Loop BB3_140 Depth=1
                                        ; =>  This Inner Loop Header: Depth=2
	global_load_u8 v5, v7, s[14:15]
	s_add_i32 s17, s17, -1
	s_waitcnt vmcnt(0)
	v_and_b32_e32 v6, 0xffff, v5
	s_delay_alu instid0(VALU_DEP_1)
	v_lshlrev_b64 v[5:6], s12, v[6:7]
	s_add_u32 s12, s12, 8
	s_addc_u32 s13, s13, 0
	s_add_u32 s14, s14, 1
	s_addc_u32 s15, s15, 0
	s_cmp_lg_u32 s17, 0
	v_or_b32_e32 v24, v5, v24
	v_or_b32_e32 v25, v6, v25
	s_cbranch_scc1 .LBB3_185
.LBB3_186:                              ;   in Loop: Header=BB3_140 Depth=1
	s_cbranch_execz .LBB3_188
	s_branch .LBB3_189
.LBB3_187:                              ;   in Loop: Header=BB3_140 Depth=1
.LBB3_188:                              ;   in Loop: Header=BB3_140 Depth=1
	global_load_b64 v[24:25], v7, s[0:1]
.LBB3_189:                              ;   in Loop: Header=BB3_140 Depth=1
	v_readfirstlane_b32 s0, v33
	s_waitcnt vmcnt(0)
	v_mov_b32_e32 v5, 0
	v_mov_b32_e32 v6, 0
	s_delay_alu instid0(VALU_DEP_3) | instskip(NEXT) | instid1(VALU_DEP_1)
	v_cmp_eq_u32_e64 s0, s0, v33
	s_and_saveexec_b32 s1, s0
	s_cbranch_execz .LBB3_195
; %bb.190:                              ;   in Loop: Header=BB3_140 Depth=1
	global_load_b64 v[28:29], v7, s[2:3] offset:24 glc
	s_waitcnt vmcnt(0)
	buffer_gl1_inv
	buffer_gl0_inv
	s_clause 0x1
	global_load_b64 v[5:6], v7, s[2:3] offset:40
	global_load_b64 v[10:11], v7, s[2:3]
	s_mov_b32 s12, exec_lo
	s_waitcnt vmcnt(1)
	v_and_b32_e32 v6, v6, v29
	v_and_b32_e32 v5, v5, v28
	s_delay_alu instid0(VALU_DEP_2) | instskip(NEXT) | instid1(VALU_DEP_2)
	v_mul_lo_u32 v6, v6, 24
	v_mul_hi_u32 v26, v5, 24
	v_mul_lo_u32 v5, v5, 24
	s_delay_alu instid0(VALU_DEP_2) | instskip(SKIP_1) | instid1(VALU_DEP_2)
	v_add_nc_u32_e32 v6, v26, v6
	s_waitcnt vmcnt(0)
	v_add_co_u32 v5, vcc_lo, v10, v5
	s_delay_alu instid0(VALU_DEP_2)
	v_add_co_ci_u32_e32 v6, vcc_lo, v11, v6, vcc_lo
	global_load_b64 v[26:27], v[5:6], off glc
	s_waitcnt vmcnt(0)
	global_atomic_cmpswap_b64 v[5:6], v7, v[26:29], s[2:3] offset:24 glc
	s_waitcnt vmcnt(0)
	buffer_gl1_inv
	buffer_gl0_inv
	v_cmpx_ne_u64_e64 v[5:6], v[28:29]
	s_cbranch_execz .LBB3_194
; %bb.191:                              ;   in Loop: Header=BB3_140 Depth=1
	s_mov_b32 s13, 0
	.p2align	6
.LBB3_192:                              ;   Parent Loop BB3_140 Depth=1
                                        ; =>  This Inner Loop Header: Depth=2
	s_sleep 1
	s_clause 0x1
	global_load_b64 v[10:11], v7, s[2:3] offset:40
	global_load_b64 v[26:27], v7, s[2:3]
	v_dual_mov_b32 v29, v6 :: v_dual_mov_b32 v28, v5
	s_waitcnt vmcnt(1)
	s_delay_alu instid0(VALU_DEP_1) | instskip(SKIP_1) | instid1(VALU_DEP_1)
	v_and_b32_e32 v10, v10, v28
	s_waitcnt vmcnt(0)
	v_mad_u64_u32 v[5:6], null, v10, 24, v[26:27]
	v_and_b32_e32 v26, v11, v29
	s_delay_alu instid0(VALU_DEP_1) | instskip(NEXT) | instid1(VALU_DEP_1)
	v_mad_u64_u32 v[10:11], null, v26, 24, v[6:7]
	v_mov_b32_e32 v6, v10
	global_load_b64 v[26:27], v[5:6], off glc
	s_waitcnt vmcnt(0)
	global_atomic_cmpswap_b64 v[5:6], v7, v[26:29], s[2:3] offset:24 glc
	s_waitcnt vmcnt(0)
	buffer_gl1_inv
	buffer_gl0_inv
	v_cmp_eq_u64_e32 vcc_lo, v[5:6], v[28:29]
	s_or_b32 s13, vcc_lo, s13
	s_delay_alu instid0(SALU_CYCLE_1)
	s_and_not1_b32 exec_lo, exec_lo, s13
	s_cbranch_execnz .LBB3_192
; %bb.193:                              ;   in Loop: Header=BB3_140 Depth=1
	s_or_b32 exec_lo, exec_lo, s13
.LBB3_194:                              ;   in Loop: Header=BB3_140 Depth=1
	s_delay_alu instid0(SALU_CYCLE_1)
	s_or_b32 exec_lo, exec_lo, s12
.LBB3_195:                              ;   in Loop: Header=BB3_140 Depth=1
	s_delay_alu instid0(SALU_CYCLE_1)
	s_or_b32 exec_lo, exec_lo, s1
	s_clause 0x1
	global_load_b64 v[10:11], v7, s[2:3] offset:40
	global_load_b128 v[26:29], v7, s[2:3]
	v_readfirstlane_b32 s12, v5
	v_readfirstlane_b32 s13, v6
	s_mov_b32 s1, exec_lo
	s_waitcnt vmcnt(1)
	v_readfirstlane_b32 s14, v10
	v_readfirstlane_b32 s15, v11
	s_delay_alu instid0(VALU_DEP_1) | instskip(NEXT) | instid1(SALU_CYCLE_1)
	s_and_b64 s[14:15], s[12:13], s[14:15]
	s_mul_i32 s16, s15, 24
	s_mul_hi_u32 s17, s14, 24
	s_mul_i32 s18, s14, 24
	s_add_i32 s17, s17, s16
	s_waitcnt vmcnt(0)
	v_add_co_u32 v30, vcc_lo, v26, s18
	v_add_co_ci_u32_e32 v31, vcc_lo, s17, v27, vcc_lo
	s_and_saveexec_b32 s16, s0
	s_cbranch_execz .LBB3_197
; %bb.196:                              ;   in Loop: Header=BB3_140 Depth=1
	v_mov_b32_e32 v6, s1
	global_store_b128 v[30:31], v[6:9], off offset:8
.LBB3_197:                              ;   in Loop: Header=BB3_140 Depth=1
	s_or_b32 exec_lo, exec_lo, s16
	s_lshl_b64 s[14:15], s[14:15], 12
	v_cmp_gt_u64_e64 vcc_lo, s[4:5], 56
	v_or_b32_e32 v6, v3, v34
	v_add_co_u32 v28, s1, v28, s14
	s_delay_alu instid0(VALU_DEP_1)
	v_add_co_ci_u32_e64 v29, s1, s15, v29, s1
	s_lshl_b32 s1, s10, 2
	v_or_b32_e32 v5, 0, v4
	v_cndmask_b32_e32 v3, v6, v3, vcc_lo
	s_add_i32 s1, s1, 28
	v_readfirstlane_b32 s14, v28
	s_and_b32 s1, s1, 0x1e0
	v_cndmask_b32_e32 v11, v5, v4, vcc_lo
	v_readfirstlane_b32 s15, v29
	v_and_or_b32 v10, 0xffffff1f, v3, s1
	s_clause 0x3
	global_store_b128 v32, v[10:13], s[14:15]
	global_store_b128 v32, v[14:17], s[14:15] offset:16
	global_store_b128 v32, v[18:21], s[14:15] offset:32
	;; [unrolled: 1-line block ×3, first 2 shown]
	s_and_saveexec_b32 s1, s0
	s_cbranch_execz .LBB3_205
; %bb.198:                              ;   in Loop: Header=BB3_140 Depth=1
	s_clause 0x1
	global_load_b64 v[14:15], v7, s[2:3] offset:32 glc
	global_load_b64 v[3:4], v7, s[2:3] offset:40
	v_dual_mov_b32 v12, s12 :: v_dual_mov_b32 v13, s13
	s_waitcnt vmcnt(0)
	v_readfirstlane_b32 s14, v3
	v_readfirstlane_b32 s15, v4
	s_delay_alu instid0(VALU_DEP_1) | instskip(NEXT) | instid1(SALU_CYCLE_1)
	s_and_b64 s[14:15], s[14:15], s[12:13]
	s_mul_i32 s15, s15, 24
	s_mul_hi_u32 s16, s14, 24
	s_mul_i32 s14, s14, 24
	s_add_i32 s16, s16, s15
	v_add_co_u32 v10, vcc_lo, v26, s14
	v_add_co_ci_u32_e32 v11, vcc_lo, s16, v27, vcc_lo
	s_mov_b32 s14, exec_lo
	global_store_b64 v[10:11], v[14:15], off
	s_waitcnt_vscnt null, 0x0
	global_atomic_cmpswap_b64 v[5:6], v7, v[12:15], s[2:3] offset:32 glc
	s_waitcnt vmcnt(0)
	v_cmpx_ne_u64_e64 v[5:6], v[14:15]
	s_cbranch_execz .LBB3_201
; %bb.199:                              ;   in Loop: Header=BB3_140 Depth=1
	s_mov_b32 s15, 0
.LBB3_200:                              ;   Parent Loop BB3_140 Depth=1
                                        ; =>  This Inner Loop Header: Depth=2
	v_dual_mov_b32 v3, s12 :: v_dual_mov_b32 v4, s13
	s_sleep 1
	global_store_b64 v[10:11], v[5:6], off
	s_waitcnt_vscnt null, 0x0
	global_atomic_cmpswap_b64 v[3:4], v7, v[3:6], s[2:3] offset:32 glc
	s_waitcnt vmcnt(0)
	v_cmp_eq_u64_e32 vcc_lo, v[3:4], v[5:6]
	v_dual_mov_b32 v6, v4 :: v_dual_mov_b32 v5, v3
	s_or_b32 s15, vcc_lo, s15
	s_delay_alu instid0(SALU_CYCLE_1)
	s_and_not1_b32 exec_lo, exec_lo, s15
	s_cbranch_execnz .LBB3_200
.LBB3_201:                              ;   in Loop: Header=BB3_140 Depth=1
	s_or_b32 exec_lo, exec_lo, s14
	global_load_b64 v[3:4], v7, s[2:3] offset:16
	s_mov_b32 s15, exec_lo
	s_mov_b32 s14, exec_lo
	v_mbcnt_lo_u32_b32 v5, s15, 0
	s_delay_alu instid0(VALU_DEP_1)
	v_cmpx_eq_u32_e32 0, v5
	s_cbranch_execz .LBB3_203
; %bb.202:                              ;   in Loop: Header=BB3_140 Depth=1
	s_bcnt1_i32_b32 s15, s15
	s_delay_alu instid0(SALU_CYCLE_1)
	v_mov_b32_e32 v6, s15
	s_waitcnt vmcnt(0)
	global_atomic_add_u64 v[3:4], v[6:7], off offset:8
.LBB3_203:                              ;   in Loop: Header=BB3_140 Depth=1
	s_or_b32 exec_lo, exec_lo, s14
	s_waitcnt vmcnt(0)
	global_load_b64 v[10:11], v[3:4], off offset:16
	s_waitcnt vmcnt(0)
	v_cmp_eq_u64_e32 vcc_lo, 0, v[10:11]
	s_cbranch_vccnz .LBB3_205
; %bb.204:                              ;   in Loop: Header=BB3_140 Depth=1
	global_load_b32 v6, v[3:4], off offset:24
	s_waitcnt vmcnt(0)
	v_and_b32_e32 v3, 0xffffff, v6
	s_waitcnt_vscnt null, 0x0
	global_store_b64 v[10:11], v[6:7], off
	v_readfirstlane_b32 m0, v3
	s_sendmsg sendmsg(MSG_INTERRUPT)
.LBB3_205:                              ;   in Loop: Header=BB3_140 Depth=1
	s_or_b32 exec_lo, exec_lo, s1
	v_add_co_u32 v3, vcc_lo, v28, v32
	v_add_co_ci_u32_e32 v4, vcc_lo, 0, v29, vcc_lo
	s_branch .LBB3_209
	.p2align	6
.LBB3_206:                              ;   in Loop: Header=BB3_209 Depth=2
	s_or_b32 exec_lo, exec_lo, s1
	s_delay_alu instid0(VALU_DEP_1) | instskip(NEXT) | instid1(VALU_DEP_1)
	v_readfirstlane_b32 s1, v5
	s_cmp_eq_u32 s1, 0
	s_cbranch_scc1 .LBB3_208
; %bb.207:                              ;   in Loop: Header=BB3_209 Depth=2
	s_sleep 1
	s_cbranch_execnz .LBB3_209
	s_branch .LBB3_211
	.p2align	6
.LBB3_208:                              ;   in Loop: Header=BB3_140 Depth=1
	s_branch .LBB3_211
.LBB3_209:                              ;   Parent Loop BB3_140 Depth=1
                                        ; =>  This Inner Loop Header: Depth=2
	v_mov_b32_e32 v5, 1
	s_and_saveexec_b32 s1, s0
	s_cbranch_execz .LBB3_206
; %bb.210:                              ;   in Loop: Header=BB3_209 Depth=2
	global_load_b32 v5, v[30:31], off offset:20 glc
	s_waitcnt vmcnt(0)
	buffer_gl1_inv
	buffer_gl0_inv
	v_and_b32_e32 v5, 1, v5
	s_branch .LBB3_206
.LBB3_211:                              ;   in Loop: Header=BB3_140 Depth=1
	global_load_b128 v[3:6], v[3:4], off
	s_and_saveexec_b32 s1, s0
	s_cbranch_execz .LBB3_139
; %bb.212:                              ;   in Loop: Header=BB3_140 Depth=1
	s_clause 0x2
	global_load_b64 v[5:6], v7, s[2:3] offset:40
	global_load_b64 v[14:15], v7, s[2:3] offset:24 glc
	global_load_b64 v[12:13], v7, s[2:3]
	s_waitcnt vmcnt(2)
	v_add_co_u32 v16, vcc_lo, v5, 1
	v_add_co_ci_u32_e32 v17, vcc_lo, 0, v6, vcc_lo
	s_delay_alu instid0(VALU_DEP_2) | instskip(NEXT) | instid1(VALU_DEP_2)
	v_add_co_u32 v10, vcc_lo, v16, s12
	v_add_co_ci_u32_e32 v11, vcc_lo, s13, v17, vcc_lo
	s_delay_alu instid0(VALU_DEP_1) | instskip(SKIP_1) | instid1(VALU_DEP_1)
	v_cmp_eq_u64_e32 vcc_lo, 0, v[10:11]
	v_dual_cndmask_b32 v11, v11, v17 :: v_dual_cndmask_b32 v10, v10, v16
	v_and_b32_e32 v6, v11, v6
	s_delay_alu instid0(VALU_DEP_2) | instskip(NEXT) | instid1(VALU_DEP_2)
	v_and_b32_e32 v5, v10, v5
	v_mul_lo_u32 v6, v6, 24
	s_delay_alu instid0(VALU_DEP_2) | instskip(SKIP_1) | instid1(VALU_DEP_2)
	v_mul_hi_u32 v16, v5, 24
	v_mul_lo_u32 v5, v5, 24
	v_add_nc_u32_e32 v6, v16, v6
	s_waitcnt vmcnt(0)
	s_delay_alu instid0(VALU_DEP_2) | instskip(SKIP_1) | instid1(VALU_DEP_3)
	v_add_co_u32 v5, vcc_lo, v12, v5
	v_mov_b32_e32 v12, v14
	v_add_co_ci_u32_e32 v6, vcc_lo, v13, v6, vcc_lo
	v_mov_b32_e32 v13, v15
	global_store_b64 v[5:6], v[14:15], off
	s_waitcnt_vscnt null, 0x0
	global_atomic_cmpswap_b64 v[12:13], v7, v[10:13], s[2:3] offset:24 glc
	s_waitcnt vmcnt(0)
	v_cmp_ne_u64_e32 vcc_lo, v[12:13], v[14:15]
	s_and_b32 exec_lo, exec_lo, vcc_lo
	s_cbranch_execz .LBB3_139
; %bb.213:                              ;   in Loop: Header=BB3_140 Depth=1
	s_mov_b32 s0, 0
.LBB3_214:                              ;   Parent Loop BB3_140 Depth=1
                                        ; =>  This Inner Loop Header: Depth=2
	s_sleep 1
	global_store_b64 v[5:6], v[12:13], off
	s_waitcnt_vscnt null, 0x0
	global_atomic_cmpswap_b64 v[14:15], v7, v[10:13], s[2:3] offset:24 glc
	s_waitcnt vmcnt(0)
	v_cmp_eq_u64_e32 vcc_lo, v[14:15], v[12:13]
	v_dual_mov_b32 v12, v14 :: v_dual_mov_b32 v13, v15
	s_or_b32 s0, vcc_lo, s0
	s_delay_alu instid0(SALU_CYCLE_1)
	s_and_not1_b32 exec_lo, exec_lo, s0
	s_cbranch_execnz .LBB3_214
	s_branch .LBB3_139
.LBB3_215:
                                        ; implicit-def: $vgpr3_vgpr4
	s_cbranch_execnz .LBB3_217
	s_branch .LBB3_244
.LBB3_216:
	s_branch .LBB3_244
.LBB3_217:
	v_readfirstlane_b32 s0, v33
	v_mov_b32_e32 v9, 0
	v_mov_b32_e32 v10, 0
	s_delay_alu instid0(VALU_DEP_3) | instskip(NEXT) | instid1(VALU_DEP_1)
	v_cmp_eq_u32_e64 s0, s0, v33
	s_and_saveexec_b32 s1, s0
	s_cbranch_execz .LBB3_223
; %bb.218:
	s_waitcnt vmcnt(0)
	v_mov_b32_e32 v3, 0
	s_mov_b32 s4, exec_lo
	global_load_b64 v[6:7], v3, s[2:3] offset:24 glc
	s_waitcnt vmcnt(0)
	buffer_gl1_inv
	buffer_gl0_inv
	s_clause 0x1
	global_load_b64 v[4:5], v3, s[2:3] offset:40
	global_load_b64 v[8:9], v3, s[2:3]
	s_waitcnt vmcnt(1)
	v_and_b32_e32 v4, v4, v6
	v_and_b32_e32 v5, v5, v7
	s_delay_alu instid0(VALU_DEP_2) | instskip(NEXT) | instid1(VALU_DEP_2)
	v_mul_hi_u32 v10, v4, 24
	v_mul_lo_u32 v5, v5, 24
	v_mul_lo_u32 v4, v4, 24
	s_delay_alu instid0(VALU_DEP_2) | instskip(SKIP_1) | instid1(VALU_DEP_2)
	v_add_nc_u32_e32 v5, v10, v5
	s_waitcnt vmcnt(0)
	v_add_co_u32 v4, vcc_lo, v8, v4
	s_delay_alu instid0(VALU_DEP_2)
	v_add_co_ci_u32_e32 v5, vcc_lo, v9, v5, vcc_lo
	global_load_b64 v[4:5], v[4:5], off glc
	s_waitcnt vmcnt(0)
	global_atomic_cmpswap_b64 v[9:10], v3, v[4:7], s[2:3] offset:24 glc
	s_waitcnt vmcnt(0)
	buffer_gl1_inv
	buffer_gl0_inv
	v_cmpx_ne_u64_e64 v[9:10], v[6:7]
	s_cbranch_execz .LBB3_222
; %bb.219:
	s_mov_b32 s5, 0
	.p2align	6
.LBB3_220:                              ; =>This Inner Loop Header: Depth=1
	s_sleep 1
	s_clause 0x1
	global_load_b64 v[4:5], v3, s[2:3] offset:40
	global_load_b64 v[11:12], v3, s[2:3]
	v_dual_mov_b32 v6, v9 :: v_dual_mov_b32 v7, v10
	s_waitcnt vmcnt(1)
	s_delay_alu instid0(VALU_DEP_1) | instskip(NEXT) | instid1(VALU_DEP_2)
	v_and_b32_e32 v4, v4, v6
	v_and_b32_e32 v5, v5, v7
	s_waitcnt vmcnt(0)
	s_delay_alu instid0(VALU_DEP_2) | instskip(NEXT) | instid1(VALU_DEP_1)
	v_mad_u64_u32 v[8:9], null, v4, 24, v[11:12]
	v_mov_b32_e32 v4, v9
	s_delay_alu instid0(VALU_DEP_1)
	v_mad_u64_u32 v[9:10], null, v5, 24, v[4:5]
	global_load_b64 v[4:5], v[8:9], off glc
	s_waitcnt vmcnt(0)
	global_atomic_cmpswap_b64 v[9:10], v3, v[4:7], s[2:3] offset:24 glc
	s_waitcnt vmcnt(0)
	buffer_gl1_inv
	buffer_gl0_inv
	v_cmp_eq_u64_e32 vcc_lo, v[9:10], v[6:7]
	s_or_b32 s5, vcc_lo, s5
	s_delay_alu instid0(SALU_CYCLE_1)
	s_and_not1_b32 exec_lo, exec_lo, s5
	s_cbranch_execnz .LBB3_220
; %bb.221:
	s_or_b32 exec_lo, exec_lo, s5
.LBB3_222:
	s_delay_alu instid0(SALU_CYCLE_1)
	s_or_b32 exec_lo, exec_lo, s4
.LBB3_223:
	s_delay_alu instid0(SALU_CYCLE_1)
	s_or_b32 exec_lo, exec_lo, s1
	s_waitcnt vmcnt(0)
	v_mov_b32_e32 v3, 0
	v_readfirstlane_b32 s4, v9
	v_readfirstlane_b32 s5, v10
	s_mov_b32 s1, exec_lo
	s_clause 0x1
	global_load_b64 v[11:12], v3, s[2:3] offset:40
	global_load_b128 v[5:8], v3, s[2:3]
	s_waitcnt vmcnt(1)
	v_readfirstlane_b32 s6, v11
	v_readfirstlane_b32 s7, v12
	s_delay_alu instid0(VALU_DEP_1) | instskip(NEXT) | instid1(SALU_CYCLE_1)
	s_and_b64 s[6:7], s[4:5], s[6:7]
	s_mul_i32 s10, s7, 24
	s_mul_hi_u32 s11, s6, 24
	s_mul_i32 s12, s6, 24
	s_add_i32 s11, s11, s10
	s_waitcnt vmcnt(0)
	v_add_co_u32 v9, vcc_lo, v5, s12
	v_add_co_ci_u32_e32 v10, vcc_lo, s11, v6, vcc_lo
	s_and_saveexec_b32 s10, s0
	s_cbranch_execz .LBB3_225
; %bb.224:
	v_dual_mov_b32 v11, s1 :: v_dual_mov_b32 v12, v3
	v_dual_mov_b32 v13, 2 :: v_dual_mov_b32 v14, 1
	global_store_b128 v[9:10], v[11:14], off offset:8
.LBB3_225:
	s_or_b32 exec_lo, exec_lo, s10
	s_lshl_b64 s[6:7], s[6:7], 12
	s_mov_b32 s12, 0
	v_add_co_u32 v7, vcc_lo, v7, s6
	v_add_co_ci_u32_e32 v8, vcc_lo, s7, v8, vcc_lo
	s_mov_b32 s13, s12
	s_delay_alu instid0(VALU_DEP_2)
	v_readfirstlane_b32 s6, v7
	v_add_co_u32 v7, vcc_lo, v7, v32
	s_mov_b32 s14, s12
	s_mov_b32 s15, s12
	v_and_or_b32 v1, 0xffffff1f, v1, 32
	v_dual_mov_b32 v4, v3 :: v_dual_mov_b32 v11, s12
	v_readfirstlane_b32 s7, v8
	v_add_co_ci_u32_e32 v8, vcc_lo, 0, v8, vcc_lo
	v_dual_mov_b32 v12, s13 :: v_dual_mov_b32 v13, s14
	v_mov_b32_e32 v14, s15
	s_clause 0x3
	global_store_b128 v32, v[1:4], s[6:7]
	global_store_b128 v32, v[11:14], s[6:7] offset:16
	global_store_b128 v32, v[11:14], s[6:7] offset:32
	;; [unrolled: 1-line block ×3, first 2 shown]
	s_and_saveexec_b32 s1, s0
	s_cbranch_execz .LBB3_233
; %bb.226:
	v_dual_mov_b32 v11, 0 :: v_dual_mov_b32 v12, s4
	v_mov_b32_e32 v13, s5
	s_clause 0x1
	global_load_b64 v[14:15], v11, s[2:3] offset:32 glc
	global_load_b64 v[1:2], v11, s[2:3] offset:40
	s_waitcnt vmcnt(0)
	v_readfirstlane_b32 s6, v1
	v_readfirstlane_b32 s7, v2
	s_delay_alu instid0(VALU_DEP_1) | instskip(NEXT) | instid1(SALU_CYCLE_1)
	s_and_b64 s[6:7], s[6:7], s[4:5]
	s_mul_i32 s7, s7, 24
	s_mul_hi_u32 s10, s6, 24
	s_mul_i32 s6, s6, 24
	s_add_i32 s10, s10, s7
	v_add_co_u32 v5, vcc_lo, v5, s6
	v_add_co_ci_u32_e32 v6, vcc_lo, s10, v6, vcc_lo
	s_mov_b32 s6, exec_lo
	global_store_b64 v[5:6], v[14:15], off
	s_waitcnt_vscnt null, 0x0
	global_atomic_cmpswap_b64 v[3:4], v11, v[12:15], s[2:3] offset:32 glc
	s_waitcnt vmcnt(0)
	v_cmpx_ne_u64_e64 v[3:4], v[14:15]
	s_cbranch_execz .LBB3_229
; %bb.227:
	s_mov_b32 s7, 0
.LBB3_228:                              ; =>This Inner Loop Header: Depth=1
	v_dual_mov_b32 v1, s4 :: v_dual_mov_b32 v2, s5
	s_sleep 1
	global_store_b64 v[5:6], v[3:4], off
	s_waitcnt_vscnt null, 0x0
	global_atomic_cmpswap_b64 v[1:2], v11, v[1:4], s[2:3] offset:32 glc
	s_waitcnt vmcnt(0)
	v_cmp_eq_u64_e32 vcc_lo, v[1:2], v[3:4]
	v_dual_mov_b32 v4, v2 :: v_dual_mov_b32 v3, v1
	s_or_b32 s7, vcc_lo, s7
	s_delay_alu instid0(SALU_CYCLE_1)
	s_and_not1_b32 exec_lo, exec_lo, s7
	s_cbranch_execnz .LBB3_228
.LBB3_229:
	s_or_b32 exec_lo, exec_lo, s6
	v_mov_b32_e32 v4, 0
	s_mov_b32 s7, exec_lo
	s_mov_b32 s6, exec_lo
	v_mbcnt_lo_u32_b32 v3, s7, 0
	global_load_b64 v[1:2], v4, s[2:3] offset:16
	v_cmpx_eq_u32_e32 0, v3
	s_cbranch_execz .LBB3_231
; %bb.230:
	s_bcnt1_i32_b32 s7, s7
	s_delay_alu instid0(SALU_CYCLE_1)
	v_mov_b32_e32 v3, s7
	s_waitcnt vmcnt(0)
	global_atomic_add_u64 v[1:2], v[3:4], off offset:8
.LBB3_231:
	s_or_b32 exec_lo, exec_lo, s6
	s_waitcnt vmcnt(0)
	global_load_b64 v[3:4], v[1:2], off offset:16
	s_waitcnt vmcnt(0)
	v_cmp_eq_u64_e32 vcc_lo, 0, v[3:4]
	s_cbranch_vccnz .LBB3_233
; %bb.232:
	global_load_b32 v1, v[1:2], off offset:24
	s_waitcnt vmcnt(0)
	v_dual_mov_b32 v2, 0 :: v_dual_and_b32 v5, 0xffffff, v1
	s_waitcnt_vscnt null, 0x0
	global_store_b64 v[3:4], v[1:2], off
	v_readfirstlane_b32 m0, v5
	s_sendmsg sendmsg(MSG_INTERRUPT)
.LBB3_233:
	s_or_b32 exec_lo, exec_lo, s1
	s_branch .LBB3_237
	.p2align	6
.LBB3_234:                              ;   in Loop: Header=BB3_237 Depth=1
	s_or_b32 exec_lo, exec_lo, s1
	s_delay_alu instid0(VALU_DEP_1) | instskip(NEXT) | instid1(VALU_DEP_1)
	v_readfirstlane_b32 s1, v1
	s_cmp_eq_u32 s1, 0
	s_cbranch_scc1 .LBB3_236
; %bb.235:                              ;   in Loop: Header=BB3_237 Depth=1
	s_sleep 1
	s_cbranch_execnz .LBB3_237
	s_branch .LBB3_239
	.p2align	6
.LBB3_236:
	s_branch .LBB3_239
.LBB3_237:                              ; =>This Inner Loop Header: Depth=1
	v_mov_b32_e32 v1, 1
	s_and_saveexec_b32 s1, s0
	s_cbranch_execz .LBB3_234
; %bb.238:                              ;   in Loop: Header=BB3_237 Depth=1
	global_load_b32 v1, v[9:10], off offset:20 glc
	s_waitcnt vmcnt(0)
	buffer_gl1_inv
	buffer_gl0_inv
	v_and_b32_e32 v1, 1, v1
	s_branch .LBB3_234
.LBB3_239:
	global_load_b64 v[3:4], v[7:8], off
	s_and_saveexec_b32 s1, s0
	s_cbranch_execz .LBB3_243
; %bb.240:
	v_mov_b32_e32 v9, 0
	s_clause 0x2
	global_load_b64 v[1:2], v9, s[2:3] offset:40
	global_load_b64 v[10:11], v9, s[2:3] offset:24 glc
	global_load_b64 v[7:8], v9, s[2:3]
	s_waitcnt vmcnt(2)
	v_add_co_u32 v12, vcc_lo, v1, 1
	v_add_co_ci_u32_e32 v13, vcc_lo, 0, v2, vcc_lo
	s_delay_alu instid0(VALU_DEP_2) | instskip(NEXT) | instid1(VALU_DEP_2)
	v_add_co_u32 v5, vcc_lo, v12, s4
	v_add_co_ci_u32_e32 v6, vcc_lo, s5, v13, vcc_lo
	s_delay_alu instid0(VALU_DEP_1) | instskip(SKIP_1) | instid1(VALU_DEP_1)
	v_cmp_eq_u64_e32 vcc_lo, 0, v[5:6]
	v_dual_cndmask_b32 v6, v6, v13 :: v_dual_cndmask_b32 v5, v5, v12
	v_and_b32_e32 v2, v6, v2
	s_delay_alu instid0(VALU_DEP_2) | instskip(NEXT) | instid1(VALU_DEP_2)
	v_and_b32_e32 v1, v5, v1
	v_mul_lo_u32 v2, v2, 24
	s_delay_alu instid0(VALU_DEP_2) | instskip(SKIP_1) | instid1(VALU_DEP_2)
	v_mul_hi_u32 v12, v1, 24
	v_mul_lo_u32 v1, v1, 24
	v_add_nc_u32_e32 v2, v12, v2
	s_waitcnt vmcnt(0)
	s_delay_alu instid0(VALU_DEP_2) | instskip(SKIP_1) | instid1(VALU_DEP_3)
	v_add_co_u32 v1, vcc_lo, v7, v1
	v_mov_b32_e32 v7, v10
	v_add_co_ci_u32_e32 v2, vcc_lo, v8, v2, vcc_lo
	v_mov_b32_e32 v8, v11
	global_store_b64 v[1:2], v[10:11], off
	s_waitcnt_vscnt null, 0x0
	global_atomic_cmpswap_b64 v[7:8], v9, v[5:8], s[2:3] offset:24 glc
	s_waitcnt vmcnt(0)
	v_cmp_ne_u64_e32 vcc_lo, v[7:8], v[10:11]
	s_and_b32 exec_lo, exec_lo, vcc_lo
	s_cbranch_execz .LBB3_243
; %bb.241:
	s_mov_b32 s0, 0
.LBB3_242:                              ; =>This Inner Loop Header: Depth=1
	s_sleep 1
	global_store_b64 v[1:2], v[7:8], off
	s_waitcnt_vscnt null, 0x0
	global_atomic_cmpswap_b64 v[10:11], v9, v[5:8], s[2:3] offset:24 glc
	s_waitcnt vmcnt(0)
	v_cmp_eq_u64_e32 vcc_lo, v[10:11], v[7:8]
	v_dual_mov_b32 v7, v10 :: v_dual_mov_b32 v8, v11
	s_or_b32 s0, vcc_lo, s0
	s_delay_alu instid0(SALU_CYCLE_1)
	s_and_not1_b32 exec_lo, exec_lo, s0
	s_cbranch_execnz .LBB3_242
.LBB3_243:
	s_or_b32 exec_lo, exec_lo, s1
.LBB3_244:
	v_readfirstlane_b32 s0, v33
	s_waitcnt vmcnt(0)
	v_mov_b32_e32 v1, 0
	v_mov_b32_e32 v2, 0
	s_delay_alu instid0(VALU_DEP_3) | instskip(NEXT) | instid1(VALU_DEP_1)
	v_cmp_eq_u32_e64 s0, s0, v33
	s_and_saveexec_b32 s1, s0
	s_cbranch_execz .LBB3_250
; %bb.245:
	v_mov_b32_e32 v5, 0
	s_mov_b32 s4, exec_lo
	global_load_b64 v[8:9], v5, s[2:3] offset:24 glc
	s_waitcnt vmcnt(0)
	buffer_gl1_inv
	buffer_gl0_inv
	s_clause 0x1
	global_load_b64 v[1:2], v5, s[2:3] offset:40
	global_load_b64 v[6:7], v5, s[2:3]
	s_waitcnt vmcnt(1)
	v_and_b32_e32 v2, v2, v9
	v_and_b32_e32 v1, v1, v8
	s_delay_alu instid0(VALU_DEP_2) | instskip(NEXT) | instid1(VALU_DEP_2)
	v_mul_lo_u32 v2, v2, 24
	v_mul_hi_u32 v10, v1, 24
	v_mul_lo_u32 v1, v1, 24
	s_delay_alu instid0(VALU_DEP_2) | instskip(SKIP_1) | instid1(VALU_DEP_2)
	v_add_nc_u32_e32 v2, v10, v2
	s_waitcnt vmcnt(0)
	v_add_co_u32 v1, vcc_lo, v6, v1
	s_delay_alu instid0(VALU_DEP_2)
	v_add_co_ci_u32_e32 v2, vcc_lo, v7, v2, vcc_lo
	global_load_b64 v[6:7], v[1:2], off glc
	s_waitcnt vmcnt(0)
	global_atomic_cmpswap_b64 v[1:2], v5, v[6:9], s[2:3] offset:24 glc
	s_waitcnt vmcnt(0)
	buffer_gl1_inv
	buffer_gl0_inv
	v_cmpx_ne_u64_e64 v[1:2], v[8:9]
	s_cbranch_execz .LBB3_249
; %bb.246:
	s_mov_b32 s5, 0
	.p2align	6
.LBB3_247:                              ; =>This Inner Loop Header: Depth=1
	s_sleep 1
	s_clause 0x1
	global_load_b64 v[6:7], v5, s[2:3] offset:40
	global_load_b64 v[10:11], v5, s[2:3]
	v_dual_mov_b32 v9, v2 :: v_dual_mov_b32 v8, v1
	s_waitcnt vmcnt(1)
	s_delay_alu instid0(VALU_DEP_1) | instskip(SKIP_1) | instid1(VALU_DEP_1)
	v_and_b32_e32 v6, v6, v8
	s_waitcnt vmcnt(0)
	v_mad_u64_u32 v[1:2], null, v6, 24, v[10:11]
	v_and_b32_e32 v10, v7, v9
	s_delay_alu instid0(VALU_DEP_1) | instskip(NEXT) | instid1(VALU_DEP_1)
	v_mad_u64_u32 v[6:7], null, v10, 24, v[2:3]
	v_mov_b32_e32 v2, v6
	global_load_b64 v[6:7], v[1:2], off glc
	s_waitcnt vmcnt(0)
	global_atomic_cmpswap_b64 v[1:2], v5, v[6:9], s[2:3] offset:24 glc
	s_waitcnt vmcnt(0)
	buffer_gl1_inv
	buffer_gl0_inv
	v_cmp_eq_u64_e32 vcc_lo, v[1:2], v[8:9]
	s_or_b32 s5, vcc_lo, s5
	s_delay_alu instid0(SALU_CYCLE_1)
	s_and_not1_b32 exec_lo, exec_lo, s5
	s_cbranch_execnz .LBB3_247
; %bb.248:
	s_or_b32 exec_lo, exec_lo, s5
.LBB3_249:
	s_delay_alu instid0(SALU_CYCLE_1)
	s_or_b32 exec_lo, exec_lo, s4
.LBB3_250:
	s_delay_alu instid0(SALU_CYCLE_1)
	s_or_b32 exec_lo, exec_lo, s1
	v_mov_b32_e32 v6, 0
	v_readfirstlane_b32 s4, v1
	v_readfirstlane_b32 s5, v2
	s_mov_b32 s1, exec_lo
	s_clause 0x1
	global_load_b64 v[11:12], v6, s[2:3] offset:40
	global_load_b128 v[7:10], v6, s[2:3]
	s_waitcnt vmcnt(1)
	v_readfirstlane_b32 s6, v11
	v_readfirstlane_b32 s7, v12
	s_delay_alu instid0(VALU_DEP_1) | instskip(NEXT) | instid1(SALU_CYCLE_1)
	s_and_b64 s[6:7], s[4:5], s[6:7]
	s_mul_i32 s10, s7, 24
	s_mul_hi_u32 s11, s6, 24
	s_mul_i32 s12, s6, 24
	s_add_i32 s11, s11, s10
	s_waitcnt vmcnt(0)
	v_add_co_u32 v11, vcc_lo, v7, s12
	v_add_co_ci_u32_e32 v12, vcc_lo, s11, v8, vcc_lo
	s_and_saveexec_b32 s10, s0
	s_cbranch_execz .LBB3_252
; %bb.251:
	v_dual_mov_b32 v5, s1 :: v_dual_mov_b32 v16, 1
	v_dual_mov_b32 v15, 2 :: v_dual_mov_b32 v14, v6
	s_delay_alu instid0(VALU_DEP_2)
	v_mov_b32_e32 v13, v5
	global_store_b128 v[11:12], v[13:16], off offset:8
.LBB3_252:
	s_or_b32 exec_lo, exec_lo, s10
	s_lshl_b64 s[6:7], s[6:7], 12
	s_mov_b32 s12, 0
	v_add_co_u32 v1, vcc_lo, v9, s6
	v_add_co_ci_u32_e32 v2, vcc_lo, s7, v10, vcc_lo
	s_mov_b32 s15, s12
	s_delay_alu instid0(VALU_DEP_2)
	v_add_co_u32 v9, vcc_lo, v1, v32
	s_mov_b32 s13, s12
	s_mov_b32 s14, s12
	v_and_or_b32 v3, 0xffffff1f, v3, 32
	v_dual_mov_b32 v5, v0 :: v_dual_mov_b32 v16, s15
	v_readfirstlane_b32 s6, v1
	v_readfirstlane_b32 s7, v2
	v_add_co_ci_u32_e32 v10, vcc_lo, 0, v2, vcc_lo
	v_dual_mov_b32 v15, s14 :: v_dual_mov_b32 v14, s13
	v_mov_b32_e32 v13, s12
	s_clause 0x3
	global_store_b128 v32, v[3:6], s[6:7]
	global_store_b128 v32, v[13:16], s[6:7] offset:16
	global_store_b128 v32, v[13:16], s[6:7] offset:32
	;; [unrolled: 1-line block ×3, first 2 shown]
	s_and_saveexec_b32 s1, s0
	s_cbranch_execz .LBB3_260
; %bb.253:
	v_dual_mov_b32 v6, 0 :: v_dual_mov_b32 v13, s4
	v_mov_b32_e32 v14, s5
	s_clause 0x1
	global_load_b64 v[15:16], v6, s[2:3] offset:32 glc
	global_load_b64 v[0:1], v6, s[2:3] offset:40
	s_waitcnt vmcnt(0)
	v_readfirstlane_b32 s6, v0
	v_readfirstlane_b32 s7, v1
	s_delay_alu instid0(VALU_DEP_1) | instskip(NEXT) | instid1(SALU_CYCLE_1)
	s_and_b64 s[6:7], s[6:7], s[4:5]
	s_mul_i32 s7, s7, 24
	s_mul_hi_u32 s10, s6, 24
	s_mul_i32 s6, s6, 24
	s_add_i32 s10, s10, s7
	v_add_co_u32 v4, vcc_lo, v7, s6
	v_add_co_ci_u32_e32 v5, vcc_lo, s10, v8, vcc_lo
	s_mov_b32 s6, exec_lo
	global_store_b64 v[4:5], v[15:16], off
	s_waitcnt_vscnt null, 0x0
	global_atomic_cmpswap_b64 v[2:3], v6, v[13:16], s[2:3] offset:32 glc
	s_waitcnt vmcnt(0)
	v_cmpx_ne_u64_e64 v[2:3], v[15:16]
	s_cbranch_execz .LBB3_256
; %bb.254:
	s_mov_b32 s7, 0
.LBB3_255:                              ; =>This Inner Loop Header: Depth=1
	v_dual_mov_b32 v0, s4 :: v_dual_mov_b32 v1, s5
	s_sleep 1
	global_store_b64 v[4:5], v[2:3], off
	s_waitcnt_vscnt null, 0x0
	global_atomic_cmpswap_b64 v[0:1], v6, v[0:3], s[2:3] offset:32 glc
	s_waitcnt vmcnt(0)
	v_cmp_eq_u64_e32 vcc_lo, v[0:1], v[2:3]
	v_dual_mov_b32 v3, v1 :: v_dual_mov_b32 v2, v0
	s_or_b32 s7, vcc_lo, s7
	s_delay_alu instid0(SALU_CYCLE_1)
	s_and_not1_b32 exec_lo, exec_lo, s7
	s_cbranch_execnz .LBB3_255
.LBB3_256:
	s_or_b32 exec_lo, exec_lo, s6
	v_mov_b32_e32 v3, 0
	s_mov_b32 s7, exec_lo
	s_mov_b32 s6, exec_lo
	v_mbcnt_lo_u32_b32 v2, s7, 0
	global_load_b64 v[0:1], v3, s[2:3] offset:16
	v_cmpx_eq_u32_e32 0, v2
	s_cbranch_execz .LBB3_258
; %bb.257:
	s_bcnt1_i32_b32 s7, s7
	s_delay_alu instid0(SALU_CYCLE_1)
	v_mov_b32_e32 v2, s7
	s_waitcnt vmcnt(0)
	global_atomic_add_u64 v[0:1], v[2:3], off offset:8
.LBB3_258:
	s_or_b32 exec_lo, exec_lo, s6
	s_waitcnt vmcnt(0)
	global_load_b64 v[2:3], v[0:1], off offset:16
	s_waitcnt vmcnt(0)
	v_cmp_eq_u64_e32 vcc_lo, 0, v[2:3]
	s_cbranch_vccnz .LBB3_260
; %bb.259:
	global_load_b32 v0, v[0:1], off offset:24
	s_waitcnt vmcnt(0)
	v_dual_mov_b32 v1, 0 :: v_dual_and_b32 v4, 0xffffff, v0
	s_waitcnt_vscnt null, 0x0
	global_store_b64 v[2:3], v[0:1], off
	v_readfirstlane_b32 m0, v4
	s_sendmsg sendmsg(MSG_INTERRUPT)
.LBB3_260:
	s_or_b32 exec_lo, exec_lo, s1
	s_branch .LBB3_264
	.p2align	6
.LBB3_261:                              ;   in Loop: Header=BB3_264 Depth=1
	s_or_b32 exec_lo, exec_lo, s1
	s_delay_alu instid0(VALU_DEP_1) | instskip(NEXT) | instid1(VALU_DEP_1)
	v_readfirstlane_b32 s1, v0
	s_cmp_eq_u32 s1, 0
	s_cbranch_scc1 .LBB3_263
; %bb.262:                              ;   in Loop: Header=BB3_264 Depth=1
	s_sleep 1
	s_cbranch_execnz .LBB3_264
	s_branch .LBB3_266
	.p2align	6
.LBB3_263:
	s_branch .LBB3_266
.LBB3_264:                              ; =>This Inner Loop Header: Depth=1
	v_mov_b32_e32 v0, 1
	s_and_saveexec_b32 s1, s0
	s_cbranch_execz .LBB3_261
; %bb.265:                              ;   in Loop: Header=BB3_264 Depth=1
	global_load_b32 v0, v[11:12], off offset:20 glc
	s_waitcnt vmcnt(0)
	buffer_gl1_inv
	buffer_gl0_inv
	v_and_b32_e32 v0, 1, v0
	s_branch .LBB3_261
.LBB3_266:
	global_load_b64 v[0:1], v[9:10], off
	s_and_saveexec_b32 s1, s0
	s_cbranch_execz .LBB3_270
; %bb.267:
	v_mov_b32_e32 v8, 0
	s_clause 0x2
	global_load_b64 v[4:5], v8, s[2:3] offset:40
	global_load_b64 v[9:10], v8, s[2:3] offset:24 glc
	global_load_b64 v[6:7], v8, s[2:3]
	s_waitcnt vmcnt(2)
	v_add_co_u32 v11, vcc_lo, v4, 1
	v_add_co_ci_u32_e32 v12, vcc_lo, 0, v5, vcc_lo
	s_delay_alu instid0(VALU_DEP_2) | instskip(NEXT) | instid1(VALU_DEP_2)
	v_add_co_u32 v2, vcc_lo, v11, s4
	v_add_co_ci_u32_e32 v3, vcc_lo, s5, v12, vcc_lo
	s_delay_alu instid0(VALU_DEP_1) | instskip(SKIP_1) | instid1(VALU_DEP_1)
	v_cmp_eq_u64_e32 vcc_lo, 0, v[2:3]
	v_dual_cndmask_b32 v3, v3, v12 :: v_dual_cndmask_b32 v2, v2, v11
	v_and_b32_e32 v5, v3, v5
	s_delay_alu instid0(VALU_DEP_2) | instskip(NEXT) | instid1(VALU_DEP_2)
	v_and_b32_e32 v4, v2, v4
	v_mul_lo_u32 v5, v5, 24
	s_delay_alu instid0(VALU_DEP_2) | instskip(SKIP_1) | instid1(VALU_DEP_2)
	v_mul_hi_u32 v11, v4, 24
	v_mul_lo_u32 v4, v4, 24
	v_add_nc_u32_e32 v5, v11, v5
	s_waitcnt vmcnt(0)
	s_delay_alu instid0(VALU_DEP_2) | instskip(SKIP_1) | instid1(VALU_DEP_3)
	v_add_co_u32 v6, vcc_lo, v6, v4
	v_mov_b32_e32 v4, v9
	v_add_co_ci_u32_e32 v7, vcc_lo, v7, v5, vcc_lo
	v_mov_b32_e32 v5, v10
	global_store_b64 v[6:7], v[9:10], off
	s_waitcnt_vscnt null, 0x0
	global_atomic_cmpswap_b64 v[4:5], v8, v[2:5], s[2:3] offset:24 glc
	s_waitcnt vmcnt(0)
	v_cmp_ne_u64_e32 vcc_lo, v[4:5], v[9:10]
	s_and_b32 exec_lo, exec_lo, vcc_lo
	s_cbranch_execz .LBB3_270
; %bb.268:
	s_mov_b32 s0, 0
.LBB3_269:                              ; =>This Inner Loop Header: Depth=1
	s_sleep 1
	global_store_b64 v[6:7], v[4:5], off
	s_waitcnt_vscnt null, 0x0
	global_atomic_cmpswap_b64 v[9:10], v8, v[2:5], s[2:3] offset:24 glc
	s_waitcnt vmcnt(0)
	v_cmp_eq_u64_e32 vcc_lo, v[9:10], v[4:5]
	v_dual_mov_b32 v4, v9 :: v_dual_mov_b32 v5, v10
	s_or_b32 s0, vcc_lo, s0
	s_delay_alu instid0(SALU_CYCLE_1)
	s_and_not1_b32 exec_lo, exec_lo, s0
	s_cbranch_execnz .LBB3_269
.LBB3_270:
	s_or_b32 exec_lo, exec_lo, s1
	s_getpc_b64 s[0:1]
	s_add_u32 s0, s0, __FUNCTION__._ZL18flash_attn_ext_f16ILi64ELi64ELi16ELi4ELb1ELb0EEvPKcS1_S1_S1_S1_PKiPfP15HIP_vector_typeIfLj2EEffffjfiS5_IjLj3EEiiiiiiiiiiiliiliiiiil@rel32@lo+4
	s_addc_u32 s1, s1, __FUNCTION__._ZL18flash_attn_ext_f16ILi64ELi64ELi16ELi4ELb1ELb0EEvPKcS1_S1_S1_S1_PKiPfP15HIP_vector_typeIfLj2EEffffjfiS5_IjLj3EEiiiiiiiiiiiliiliiiiil@rel32@hi+12
	s_delay_alu instid0(SALU_CYCLE_1) | instskip(SKIP_3) | instid1(SALU_CYCLE_1)
	v_dual_mov_b32 v2, s0 :: v_dual_mov_b32 v3, s1
	s_cmp_lg_u64 s[0:1], 0
	s_mov_b64 s[16:17], s[8:9]
	s_cselect_b32 s4, 19, 0
	v_dual_mov_b32 v5, 0 :: v_dual_mov_b32 v4, s4
	s_getpc_b64 s[2:3]
	s_add_u32 s2, s2, __ockl_printf_append_string_n@rel32@lo+4
	s_addc_u32 s3, s3, __ockl_printf_append_string_n@rel32@hi+12
	s_delay_alu instid0(SALU_CYCLE_1)
	s_swappc_b64 s[30:31], s[2:3]
	v_dual_mov_b32 v2, 0x514 :: v_dual_mov_b32 v3, 0
	v_mov_b32_e32 v4, 1
	s_mov_b64 s[8:9], s[16:17]
	s_getpc_b64 s[0:1]
	s_add_u32 s0, s0, __ockl_printf_append_args@rel32@lo+4
	s_addc_u32 s1, s1, __ockl_printf_append_args@rel32@hi+12
	s_delay_alu instid0(SALU_CYCLE_1)
	s_swappc_b64 s[30:31], s[0:1]
	s_trap 2
	s_sendmsg_rtn_b32 s0, sendmsg(MSG_RTN_GET_DOORBELL)
	s_mov_b32 ttmp2, m0
	s_waitcnt lgkmcnt(0)
	s_and_b32 s0, s0, 0x3ff
	s_delay_alu instid0(SALU_CYCLE_1) | instskip(NEXT) | instid1(SALU_CYCLE_1)
	s_bitset1_b32 s0, 10
	s_mov_b32 m0, s0
	s_sendmsg sendmsg(MSG_INTERRUPT)
	s_mov_b32 m0, ttmp2
.LBB3_271:                              ; =>This Inner Loop Header: Depth=1
	s_sethalt 5
	s_branch .LBB3_271
.Lfunc_end3:
	.size	_ZL14no_device_codePKciS0_iS0_, .Lfunc_end3-_ZL14no_device_codePKciS0_iS0_
                                        ; -- End function
	.section	.AMDGPU.csdata,"",@progbits
; Function info:
; codeLenInByte = 10540
; NumSgprs: 36
; NumVgprs: 37
; ScratchSize: 16
; MemoryBound: 0
	.section	.text._ZL18flash_attn_ext_f16ILi64ELi64ELi16ELi4ELb1ELb0EEvPKcS1_S1_S1_S1_PKiPfP15HIP_vector_typeIfLj2EEffffjfiS5_IjLj3EEiiiiiiiiiiiliiliiiiil,"axG",@progbits,_ZL18flash_attn_ext_f16ILi64ELi64ELi16ELi4ELb1ELb0EEvPKcS1_S1_S1_S1_PKiPfP15HIP_vector_typeIfLj2EEffffjfiS5_IjLj3EEiiiiiiiiiiiliiliiiiil,comdat
	.globl	_ZL18flash_attn_ext_f16ILi64ELi64ELi16ELi4ELb1ELb0EEvPKcS1_S1_S1_S1_PKiPfP15HIP_vector_typeIfLj2EEffffjfiS5_IjLj3EEiiiiiiiiiiiliiliiiiil ; -- Begin function _ZL18flash_attn_ext_f16ILi64ELi64ELi16ELi4ELb1ELb0EEvPKcS1_S1_S1_S1_PKiPfP15HIP_vector_typeIfLj2EEffffjfiS5_IjLj3EEiiiiiiiiiiiliiliiiiil
	.p2align	8
	.type	_ZL18flash_attn_ext_f16ILi64ELi64ELi16ELi4ELb1ELb0EEvPKcS1_S1_S1_S1_PKiPfP15HIP_vector_typeIfLj2EEffffjfiS5_IjLj3EEiiiiiiiiiiiliiliiiiil,@function
_ZL18flash_attn_ext_f16ILi64ELi64ELi16ELi4ELb1ELb0EEvPKcS1_S1_S1_S1_PKiPfP15HIP_vector_typeIfLj2EEffffjfiS5_IjLj3EEiiiiiiiiiiiliiliiiiil: ; @_ZL18flash_attn_ext_f16ILi64ELi64ELi16ELi4ELb1ELb0EEvPKcS1_S1_S1_S1_PKiPfP15HIP_vector_typeIfLj2EEffffjfiS5_IjLj3EEiiiiiiiiiiiliiliiiiil
; %bb.0:
	v_mov_b32_e32 v0, 0x6cc
	s_add_u32 s8, s0, 0xd0
	s_addc_u32 s9, s1, 0
	s_mov_b32 s32, 0
	s_getpc_b64 s[0:1]
	s_add_u32 s0, s0, _ZL14no_device_codePKciS0_iS0_@rel32@lo+4
	s_addc_u32 s1, s1, _ZL14no_device_codePKciS0_iS0_@rel32@hi+12
	s_delay_alu instid0(SALU_CYCLE_1)
	s_swappc_b64 s[30:31], s[0:1]
	.section	.rodata,"a",@progbits
	.p2align	6, 0x0
	.amdhsa_kernel _ZL18flash_attn_ext_f16ILi64ELi64ELi16ELi4ELb1ELb0EEvPKcS1_S1_S1_S1_PKiPfP15HIP_vector_typeIfLj2EEffffjfiS5_IjLj3EEiiiiiiiiiiiliiliiiiil
		.amdhsa_group_segment_fixed_size 0
		.amdhsa_private_segment_fixed_size 16
		.amdhsa_kernarg_size 464
		.amdhsa_user_sgpr_count 15
		.amdhsa_user_sgpr_dispatch_ptr 0
		.amdhsa_user_sgpr_queue_ptr 0
		.amdhsa_user_sgpr_kernarg_segment_ptr 1
		.amdhsa_user_sgpr_dispatch_id 0
		.amdhsa_user_sgpr_private_segment_size 0
		.amdhsa_wavefront_size32 1
		.amdhsa_uses_dynamic_stack 0
		.amdhsa_enable_private_segment 1
		.amdhsa_system_sgpr_workgroup_id_x 1
		.amdhsa_system_sgpr_workgroup_id_y 0
		.amdhsa_system_sgpr_workgroup_id_z 0
		.amdhsa_system_sgpr_workgroup_info 0
		.amdhsa_system_vgpr_workitem_id 0
		.amdhsa_next_free_vgpr 37
		.amdhsa_next_free_sgpr 34
		.amdhsa_reserve_vcc 1
		.amdhsa_float_round_mode_32 0
		.amdhsa_float_round_mode_16_64 0
		.amdhsa_float_denorm_mode_32 3
		.amdhsa_float_denorm_mode_16_64 3
		.amdhsa_dx10_clamp 1
		.amdhsa_ieee_mode 1
		.amdhsa_fp16_overflow 0
		.amdhsa_workgroup_processor_mode 1
		.amdhsa_memory_ordered 1
		.amdhsa_forward_progress 0
		.amdhsa_shared_vgpr_count 0
		.amdhsa_exception_fp_ieee_invalid_op 0
		.amdhsa_exception_fp_denorm_src 0
		.amdhsa_exception_fp_ieee_div_zero 0
		.amdhsa_exception_fp_ieee_overflow 0
		.amdhsa_exception_fp_ieee_underflow 0
		.amdhsa_exception_fp_ieee_inexact 0
		.amdhsa_exception_int_div_zero 0
	.end_amdhsa_kernel
	.section	.text._ZL18flash_attn_ext_f16ILi64ELi64ELi16ELi4ELb1ELb0EEvPKcS1_S1_S1_S1_PKiPfP15HIP_vector_typeIfLj2EEffffjfiS5_IjLj3EEiiiiiiiiiiiliiliiiiil,"axG",@progbits,_ZL18flash_attn_ext_f16ILi64ELi64ELi16ELi4ELb1ELb0EEvPKcS1_S1_S1_S1_PKiPfP15HIP_vector_typeIfLj2EEffffjfiS5_IjLj3EEiiiiiiiiiiiliiliiiiil,comdat
.Lfunc_end4:
	.size	_ZL18flash_attn_ext_f16ILi64ELi64ELi16ELi4ELb1ELb0EEvPKcS1_S1_S1_S1_PKiPfP15HIP_vector_typeIfLj2EEffffjfiS5_IjLj3EEiiiiiiiiiiiliiliiiiil, .Lfunc_end4-_ZL18flash_attn_ext_f16ILi64ELi64ELi16ELi4ELb1ELb0EEvPKcS1_S1_S1_S1_PKiPfP15HIP_vector_typeIfLj2EEffffjfiS5_IjLj3EEiiiiiiiiiiiliiliiiiil
                                        ; -- End function
	.section	.AMDGPU.csdata,"",@progbits
; Kernel info:
; codeLenInByte = 52
; NumSgprs: 36
; NumVgprs: 37
; ScratchSize: 16
; MemoryBound: 0
; FloatMode: 240
; IeeeMode: 1
; LDSByteSize: 0 bytes/workgroup (compile time only)
; SGPRBlocks: 4
; VGPRBlocks: 4
; NumSGPRsForWavesPerEU: 36
; NumVGPRsForWavesPerEU: 37
; Occupancy: 16
; WaveLimiterHint : 1
; COMPUTE_PGM_RSRC2:SCRATCH_EN: 1
; COMPUTE_PGM_RSRC2:USER_SGPR: 15
; COMPUTE_PGM_RSRC2:TRAP_HANDLER: 0
; COMPUTE_PGM_RSRC2:TGID_X_EN: 1
; COMPUTE_PGM_RSRC2:TGID_Y_EN: 0
; COMPUTE_PGM_RSRC2:TGID_Z_EN: 0
; COMPUTE_PGM_RSRC2:TIDIG_COMP_CNT: 0
	.section	.text._ZL25flash_attn_mask_to_KV_maxILi16EEvPK7__half2Piiii,"axG",@progbits,_ZL25flash_attn_mask_to_KV_maxILi16EEvPK7__half2Piiii,comdat
	.globl	_ZL25flash_attn_mask_to_KV_maxILi16EEvPK7__half2Piiii ; -- Begin function _ZL25flash_attn_mask_to_KV_maxILi16EEvPK7__half2Piiii
	.p2align	8
	.type	_ZL25flash_attn_mask_to_KV_maxILi16EEvPK7__half2Piiii,@function
_ZL25flash_attn_mask_to_KV_maxILi16EEvPK7__half2Piiii: ; @_ZL25flash_attn_mask_to_KV_maxILi16EEvPK7__half2Piiii
; %bb.0:
	s_load_b128 s[4:7], s[0:1], 0x0
	s_mov_b32 s2, exec_lo
	v_cmpx_gt_u32_e32 32, v0
	s_cbranch_execz .LBB5_2
; %bb.1:
	v_dual_mov_b32 v2, 1 :: v_dual_lshlrev_b32 v1, 2, v0
	ds_store_b32 v1, v2
.LBB5_2:
	s_or_b32 exec_lo, exec_lo, s2
	s_clause 0x1
	s_load_b128 s[8:11], s[0:1], 0x10
	s_load_b32 s1, s[0:1], 0x20
	v_dual_mov_b32 v2, 0 :: v_dual_and_b32 v1, 31, v0
	v_lshrrev_b32_e32 v5, 3, v0
	s_waitcnt lgkmcnt(0)
	s_barrier
	s_delay_alu instid0(VALU_DEP_2) | instskip(SKIP_4) | instid1(SALU_CYCLE_1)
	v_lshlrev_b32_e32 v6, 2, v1
	buffer_gl0_inv
	s_mul_i32 s0, s14, s9
	s_mul_i32 s2, s15, s10
	s_lshl_b32 s0, s0, 4
	s_add_i32 s2, s2, s0
	v_cmp_eq_u32_e64 s0, 0, v1
	s_ashr_i32 s3, s2, 31
	s_delay_alu instid0(SALU_CYCLE_1) | instskip(NEXT) | instid1(SALU_CYCLE_1)
	s_lshl_b64 s[10:11], s[2:3], 2
	s_add_u32 s3, s4, s10
	s_addc_u32 s4, s5, s11
	s_lshl_b32 s5, s8, 8
	s_branch .LBB5_4
.LBB5_3:                                ;   in Loop: Header=BB5_4 Depth=1
	s_or_b32 exec_lo, exec_lo, s10
	s_waitcnt lgkmcnt(0)
	s_barrier
	buffer_gl0_inv
	ds_load_b32 v1, v6
	s_waitcnt lgkmcnt(0)
	s_barrier
	buffer_gl0_inv
	;;#ASMSTART
	;;#ASMEND
	v_cmp_ne_u32_e32 vcc_lo, 0, v1
	s_cmp_lg_u32 vcc_lo, exec_lo
	s_cselect_b32 s8, -1, 0
	s_delay_alu instid0(SALU_CYCLE_1)
	s_and_b32 vcc_lo, exec_lo, s8
	s_cbranch_vccnz .LBB5_68
.LBB5_4:                                ; =>This Inner Loop Header: Depth=1
	s_mov_b32 s2, s5
	s_addk_i32 s5, 0xff00
	s_delay_alu instid0(SALU_CYCLE_1)
	s_cmp_lt_i32 s5, 0
	s_cbranch_scc1 .LBB5_67
; %bb.5:                                ;   in Loop: Header=BB5_4 Depth=1
	s_lshr_b32 s8, s5, 1
	s_mov_b32 s10, 0
	v_add_nc_u32_e32 v1, s8, v0
	s_delay_alu instid0(VALU_DEP_1) | instskip(NEXT) | instid1(VALU_DEP_1)
	v_lshlrev_b64 v[3:4], 2, v[1:2]
	v_add_co_u32 v3, vcc_lo, s3, v3
	s_delay_alu instid0(VALU_DEP_2) | instskip(SKIP_4) | instid1(VALU_DEP_2)
	v_add_co_ci_u32_e32 v4, vcc_lo, s4, v4, vcc_lo
	global_load_b32 v3, v[3:4], off
	s_waitcnt vmcnt(0)
	v_lshrrev_b32_e32 v4, 16, v3
	v_cmp_class_f16_e64 s8, v3, 0x204
	v_and_b32_e32 v4, 0x7fff, v4
	s_delay_alu instid0(VALU_DEP_1) | instskip(NEXT) | instid1(VALU_DEP_3)
	v_cmp_eq_f16_e32 vcc_lo, 0x7c00, v4
	s_and_b32 s11, s8, vcc_lo
	s_delay_alu instid0(SALU_CYCLE_1)
	s_and_saveexec_b32 s8, s11
	s_cbranch_execz .LBB5_65
; %bb.6:                                ;   in Loop: Header=BB5_4 Depth=1
	v_add_nc_u32_e32 v3, s9, v1
	s_mov_b32 s11, 0
	s_delay_alu instid0(VALU_DEP_1) | instskip(NEXT) | instid1(VALU_DEP_1)
	v_ashrrev_i32_e32 v4, 31, v3
	v_lshlrev_b64 v[7:8], 2, v[3:4]
	s_delay_alu instid0(VALU_DEP_1) | instskip(NEXT) | instid1(VALU_DEP_2)
	v_add_co_u32 v7, vcc_lo, s3, v7
	v_add_co_ci_u32_e32 v8, vcc_lo, s4, v8, vcc_lo
	global_load_b32 v1, v[7:8], off
	s_waitcnt vmcnt(0)
	v_cmp_class_f16_e64 s12, v1, 0x204
	s_delay_alu instid0(VALU_DEP_1)
	s_and_saveexec_b32 s10, s12
	s_cbranch_execz .LBB5_64
; %bb.7:                                ;   in Loop: Header=BB5_4 Depth=1
	v_lshrrev_b32_e32 v1, 16, v1
	s_mov_b32 s12, 0
	s_delay_alu instid0(VALU_DEP_1) | instskip(NEXT) | instid1(VALU_DEP_1)
	v_cmp_class_f16_e64 s13, v1, 0x204
	s_and_saveexec_b32 s11, s13
	s_cbranch_execz .LBB5_63
; %bb.8:                                ;   in Loop: Header=BB5_4 Depth=1
	v_add_nc_u32_e32 v3, s9, v3
	s_mov_b32 s13, 0
	s_delay_alu instid0(VALU_DEP_1) | instskip(NEXT) | instid1(VALU_DEP_1)
	v_ashrrev_i32_e32 v4, 31, v3
	v_lshlrev_b64 v[7:8], 2, v[3:4]
	s_delay_alu instid0(VALU_DEP_1) | instskip(NEXT) | instid1(VALU_DEP_2)
	v_add_co_u32 v7, vcc_lo, s3, v7
	v_add_co_ci_u32_e32 v8, vcc_lo, s4, v8, vcc_lo
	global_load_b32 v1, v[7:8], off
	s_waitcnt vmcnt(0)
	v_cmp_class_f16_e64 s16, v1, 0x204
	s_delay_alu instid0(VALU_DEP_1)
	s_and_saveexec_b32 s12, s16
	s_cbranch_execz .LBB5_62
; %bb.9:                                ;   in Loop: Header=BB5_4 Depth=1
	v_lshrrev_b32_e32 v1, 16, v1
	s_mov_b32 s16, 0
	s_delay_alu instid0(VALU_DEP_1) | instskip(NEXT) | instid1(VALU_DEP_1)
	v_cmp_class_f16_e64 s17, v1, 0x204
	s_and_saveexec_b32 s13, s17
	s_cbranch_execz .LBB5_61
; %bb.10:                               ;   in Loop: Header=BB5_4 Depth=1
	v_add_nc_u32_e32 v3, s9, v3
	s_mov_b32 s17, 0
	s_delay_alu instid0(VALU_DEP_1) | instskip(NEXT) | instid1(VALU_DEP_1)
	v_ashrrev_i32_e32 v4, 31, v3
	v_lshlrev_b64 v[7:8], 2, v[3:4]
	s_delay_alu instid0(VALU_DEP_1) | instskip(NEXT) | instid1(VALU_DEP_2)
	v_add_co_u32 v7, vcc_lo, s3, v7
	v_add_co_ci_u32_e32 v8, vcc_lo, s4, v8, vcc_lo
	global_load_b32 v1, v[7:8], off
	s_waitcnt vmcnt(0)
	v_cmp_class_f16_e64 s18, v1, 0x204
	s_delay_alu instid0(VALU_DEP_1)
	s_and_saveexec_b32 s16, s18
	s_cbranch_execz .LBB5_60
; %bb.11:                               ;   in Loop: Header=BB5_4 Depth=1
	v_lshrrev_b32_e32 v1, 16, v1
	s_mov_b32 s18, 0
	s_delay_alu instid0(VALU_DEP_1) | instskip(NEXT) | instid1(VALU_DEP_1)
	v_cmp_class_f16_e64 s19, v1, 0x204
	s_and_saveexec_b32 s17, s19
	s_cbranch_execz .LBB5_59
; %bb.12:                               ;   in Loop: Header=BB5_4 Depth=1
	v_add_nc_u32_e32 v3, s9, v3
	s_mov_b32 s19, 0
	s_delay_alu instid0(VALU_DEP_1) | instskip(NEXT) | instid1(VALU_DEP_1)
	v_ashrrev_i32_e32 v4, 31, v3
	v_lshlrev_b64 v[7:8], 2, v[3:4]
	s_delay_alu instid0(VALU_DEP_1) | instskip(NEXT) | instid1(VALU_DEP_2)
	v_add_co_u32 v7, vcc_lo, s3, v7
	v_add_co_ci_u32_e32 v8, vcc_lo, s4, v8, vcc_lo
	global_load_b32 v1, v[7:8], off
	s_waitcnt vmcnt(0)
	v_cmp_class_f16_e64 s20, v1, 0x204
	s_delay_alu instid0(VALU_DEP_1)
	s_and_saveexec_b32 s18, s20
	s_cbranch_execz .LBB5_58
; %bb.13:                               ;   in Loop: Header=BB5_4 Depth=1
	;; [unrolled: 22-line block ×12, first 2 shown]
	v_lshrrev_b32_e32 v1, 16, v1
	s_mov_b32 s41, 0
	s_delay_alu instid0(VALU_DEP_1) | instskip(NEXT) | instid1(VALU_DEP_1)
	v_cmp_class_f16_e64 s42, v1, 0x204
	s_and_saveexec_b32 s40, s42
	s_cbranch_execz .LBB5_37
; %bb.34:                               ;   in Loop: Header=BB5_4 Depth=1
	v_add_nc_u32_e32 v3, s9, v3
	s_delay_alu instid0(VALU_DEP_1) | instskip(NEXT) | instid1(VALU_DEP_1)
	v_ashrrev_i32_e32 v4, 31, v3
	v_lshlrev_b64 v[3:4], 2, v[3:4]
	s_delay_alu instid0(VALU_DEP_1) | instskip(NEXT) | instid1(VALU_DEP_2)
	v_add_co_u32 v3, vcc_lo, s3, v3
	v_add_co_ci_u32_e32 v4, vcc_lo, s4, v4, vcc_lo
	global_load_b32 v1, v[3:4], off
	s_waitcnt vmcnt(0)
	v_cmp_class_f16_e64 s43, v1, 0x204
	s_delay_alu instid0(VALU_DEP_1)
	s_and_saveexec_b32 s42, s43
; %bb.35:                               ;   in Loop: Header=BB5_4 Depth=1
	v_lshrrev_b32_e32 v1, 16, v1
	s_delay_alu instid0(VALU_DEP_1) | instskip(NEXT) | instid1(VALU_DEP_1)
	v_cmp_class_f16_e64 s41, v1, 0x204
	s_and_b32 s41, s41, exec_lo
; %bb.36:                               ;   in Loop: Header=BB5_4 Depth=1
	s_or_b32 exec_lo, exec_lo, s42
	s_delay_alu instid0(SALU_CYCLE_1)
	s_and_b32 s41, s41, exec_lo
.LBB5_37:                               ;   in Loop: Header=BB5_4 Depth=1
	s_or_b32 exec_lo, exec_lo, s40
	s_delay_alu instid0(SALU_CYCLE_1)
	s_and_b32 s40, s41, exec_lo
.LBB5_38:                               ;   in Loop: Header=BB5_4 Depth=1
	s_or_b32 exec_lo, exec_lo, s39
	s_delay_alu instid0(SALU_CYCLE_1)
	s_and_b32 s39, s40, exec_lo
.LBB5_39:                               ;   in Loop: Header=BB5_4 Depth=1
	s_or_b32 exec_lo, exec_lo, s38
	s_delay_alu instid0(SALU_CYCLE_1)
	s_and_b32 s38, s39, exec_lo
.LBB5_40:                               ;   in Loop: Header=BB5_4 Depth=1
	s_or_b32 exec_lo, exec_lo, s37
	s_delay_alu instid0(SALU_CYCLE_1)
	s_and_b32 s37, s38, exec_lo
.LBB5_41:                               ;   in Loop: Header=BB5_4 Depth=1
	s_or_b32 exec_lo, exec_lo, s36
	s_delay_alu instid0(SALU_CYCLE_1)
	s_and_b32 s36, s37, exec_lo
.LBB5_42:                               ;   in Loop: Header=BB5_4 Depth=1
	s_or_b32 exec_lo, exec_lo, s35
	s_delay_alu instid0(SALU_CYCLE_1)
	s_and_b32 s35, s36, exec_lo
.LBB5_43:                               ;   in Loop: Header=BB5_4 Depth=1
	s_or_b32 exec_lo, exec_lo, s34
	s_delay_alu instid0(SALU_CYCLE_1)
	s_and_b32 s34, s35, exec_lo
.LBB5_44:                               ;   in Loop: Header=BB5_4 Depth=1
	s_or_b32 exec_lo, exec_lo, s33
	s_delay_alu instid0(SALU_CYCLE_1)
	s_and_b32 s33, s34, exec_lo
.LBB5_45:                               ;   in Loop: Header=BB5_4 Depth=1
	s_or_b32 exec_lo, exec_lo, s31
	s_delay_alu instid0(SALU_CYCLE_1)
	s_and_b32 s31, s33, exec_lo
.LBB5_46:                               ;   in Loop: Header=BB5_4 Depth=1
	s_or_b32 exec_lo, exec_lo, s30
	s_delay_alu instid0(SALU_CYCLE_1)
	s_and_b32 s30, s31, exec_lo
.LBB5_47:                               ;   in Loop: Header=BB5_4 Depth=1
	s_or_b32 exec_lo, exec_lo, s29
	s_delay_alu instid0(SALU_CYCLE_1)
	s_and_b32 s29, s30, exec_lo
.LBB5_48:                               ;   in Loop: Header=BB5_4 Depth=1
	s_or_b32 exec_lo, exec_lo, s28
	s_delay_alu instid0(SALU_CYCLE_1)
	s_and_b32 s28, s29, exec_lo
.LBB5_49:                               ;   in Loop: Header=BB5_4 Depth=1
	s_or_b32 exec_lo, exec_lo, s27
	s_delay_alu instid0(SALU_CYCLE_1)
	s_and_b32 s27, s28, exec_lo
.LBB5_50:                               ;   in Loop: Header=BB5_4 Depth=1
	s_or_b32 exec_lo, exec_lo, s26
	s_delay_alu instid0(SALU_CYCLE_1)
	s_and_b32 s26, s27, exec_lo
.LBB5_51:                               ;   in Loop: Header=BB5_4 Depth=1
	s_or_b32 exec_lo, exec_lo, s25
	s_delay_alu instid0(SALU_CYCLE_1)
	s_and_b32 s25, s26, exec_lo
.LBB5_52:                               ;   in Loop: Header=BB5_4 Depth=1
	s_or_b32 exec_lo, exec_lo, s24
	s_delay_alu instid0(SALU_CYCLE_1)
	s_and_b32 s24, s25, exec_lo
.LBB5_53:                               ;   in Loop: Header=BB5_4 Depth=1
	s_or_b32 exec_lo, exec_lo, s23
	s_delay_alu instid0(SALU_CYCLE_1)
	s_and_b32 s23, s24, exec_lo
.LBB5_54:                               ;   in Loop: Header=BB5_4 Depth=1
	s_or_b32 exec_lo, exec_lo, s22
	s_delay_alu instid0(SALU_CYCLE_1)
	s_and_b32 s22, s23, exec_lo
.LBB5_55:                               ;   in Loop: Header=BB5_4 Depth=1
	s_or_b32 exec_lo, exec_lo, s21
	s_delay_alu instid0(SALU_CYCLE_1)
	s_and_b32 s21, s22, exec_lo
.LBB5_56:                               ;   in Loop: Header=BB5_4 Depth=1
	s_or_b32 exec_lo, exec_lo, s20
	s_delay_alu instid0(SALU_CYCLE_1)
	s_and_b32 s20, s21, exec_lo
.LBB5_57:                               ;   in Loop: Header=BB5_4 Depth=1
	s_or_b32 exec_lo, exec_lo, s19
	s_delay_alu instid0(SALU_CYCLE_1)
	s_and_b32 s19, s20, exec_lo
.LBB5_58:                               ;   in Loop: Header=BB5_4 Depth=1
	s_or_b32 exec_lo, exec_lo, s18
	s_delay_alu instid0(SALU_CYCLE_1)
	s_and_b32 s18, s19, exec_lo
.LBB5_59:                               ;   in Loop: Header=BB5_4 Depth=1
	s_or_b32 exec_lo, exec_lo, s17
	s_delay_alu instid0(SALU_CYCLE_1)
	s_and_b32 s17, s18, exec_lo
.LBB5_60:                               ;   in Loop: Header=BB5_4 Depth=1
	s_or_b32 exec_lo, exec_lo, s16
	s_delay_alu instid0(SALU_CYCLE_1)
	s_and_b32 s16, s17, exec_lo
.LBB5_61:                               ;   in Loop: Header=BB5_4 Depth=1
	s_or_b32 exec_lo, exec_lo, s13
	s_delay_alu instid0(SALU_CYCLE_1)
	s_and_b32 s13, s16, exec_lo
.LBB5_62:                               ;   in Loop: Header=BB5_4 Depth=1
	s_or_b32 exec_lo, exec_lo, s12
	s_delay_alu instid0(SALU_CYCLE_1)
	s_and_b32 s12, s13, exec_lo
.LBB5_63:                               ;   in Loop: Header=BB5_4 Depth=1
	s_or_b32 exec_lo, exec_lo, s11
	s_delay_alu instid0(SALU_CYCLE_1)
	s_and_b32 s11, s12, exec_lo
.LBB5_64:                               ;   in Loop: Header=BB5_4 Depth=1
	s_or_b32 exec_lo, exec_lo, s10
	s_delay_alu instid0(SALU_CYCLE_1)
	s_and_b32 s10, s11, exec_lo
.LBB5_65:                               ;   in Loop: Header=BB5_4 Depth=1
	s_or_b32 exec_lo, exec_lo, s8
	v_cndmask_b32_e64 v1, 0, 1, s10
	;;#ASMSTART
	;;#ASMEND
	s_delay_alu instid0(VALU_DEP_1)
	v_cmp_ne_u32_e32 vcc_lo, 0, v1
	s_mov_b32 s8, exec_lo
	s_and_saveexec_b32 s10, s0
	s_cbranch_execz .LBB5_3
; %bb.66:                               ;   in Loop: Header=BB5_4 Depth=1
	s_cmp_eq_u32 vcc_lo, s8
	s_cselect_b32 s8, -1, 0
	s_delay_alu instid0(SALU_CYCLE_1)
	v_cndmask_b32_e64 v1, 0, 1, s8
	ds_store_b32 v5, v1
	s_branch .LBB5_3
.LBB5_67:                               ;   in Loop: Header=BB5_4 Depth=1
                                        ; implicit-def: $sgpr5
	s_cbranch_execz .LBB5_4
.LBB5_68:
	s_mov_b32 s0, exec_lo
	v_cmpx_eq_u32_e32 0, v0
	s_cbranch_execz .LBB5_70
; %bb.69:
	s_mul_i32 s0, s1, s15
	v_dual_mov_b32 v0, 0 :: v_dual_mov_b32 v1, s2
	s_add_i32 s0, s0, s14
	s_delay_alu instid0(SALU_CYCLE_1) | instskip(NEXT) | instid1(SALU_CYCLE_1)
	s_ashr_i32 s1, s0, 31
	s_lshl_b64 s[0:1], s[0:1], 2
	s_delay_alu instid0(SALU_CYCLE_1)
	s_add_u32 s0, s6, s0
	s_addc_u32 s1, s7, s1
	global_store_b32 v0, v1, s[0:1]
.LBB5_70:
	s_nop 0
	s_sendmsg sendmsg(MSG_DEALLOC_VGPRS)
	s_endpgm
	.section	.rodata,"a",@progbits
	.p2align	6, 0x0
	.amdhsa_kernel _ZL25flash_attn_mask_to_KV_maxILi16EEvPK7__half2Piiii
		.amdhsa_group_segment_fixed_size 128
		.amdhsa_private_segment_fixed_size 0
		.amdhsa_kernarg_size 288
		.amdhsa_user_sgpr_count 14
		.amdhsa_user_sgpr_dispatch_ptr 0
		.amdhsa_user_sgpr_queue_ptr 0
		.amdhsa_user_sgpr_kernarg_segment_ptr 1
		.amdhsa_user_sgpr_dispatch_id 0
		.amdhsa_user_sgpr_private_segment_size 0
		.amdhsa_wavefront_size32 1
		.amdhsa_uses_dynamic_stack 0
		.amdhsa_enable_private_segment 0
		.amdhsa_system_sgpr_workgroup_id_x 1
		.amdhsa_system_sgpr_workgroup_id_y 1
		.amdhsa_system_sgpr_workgroup_id_z 0
		.amdhsa_system_sgpr_workgroup_info 0
		.amdhsa_system_vgpr_workitem_id 0
		.amdhsa_next_free_vgpr 9
		.amdhsa_next_free_sgpr 44
		.amdhsa_reserve_vcc 1
		.amdhsa_float_round_mode_32 0
		.amdhsa_float_round_mode_16_64 0
		.amdhsa_float_denorm_mode_32 3
		.amdhsa_float_denorm_mode_16_64 3
		.amdhsa_dx10_clamp 1
		.amdhsa_ieee_mode 1
		.amdhsa_fp16_overflow 0
		.amdhsa_workgroup_processor_mode 1
		.amdhsa_memory_ordered 1
		.amdhsa_forward_progress 0
		.amdhsa_shared_vgpr_count 0
		.amdhsa_exception_fp_ieee_invalid_op 0
		.amdhsa_exception_fp_denorm_src 0
		.amdhsa_exception_fp_ieee_div_zero 0
		.amdhsa_exception_fp_ieee_overflow 0
		.amdhsa_exception_fp_ieee_underflow 0
		.amdhsa_exception_fp_ieee_inexact 0
		.amdhsa_exception_int_div_zero 0
	.end_amdhsa_kernel
	.section	.text._ZL25flash_attn_mask_to_KV_maxILi16EEvPK7__half2Piiii,"axG",@progbits,_ZL25flash_attn_mask_to_KV_maxILi16EEvPK7__half2Piiii,comdat
.Lfunc_end5:
	.size	_ZL25flash_attn_mask_to_KV_maxILi16EEvPK7__half2Piiii, .Lfunc_end5-_ZL25flash_attn_mask_to_KV_maxILi16EEvPK7__half2Piiii
                                        ; -- End function
	.section	.AMDGPU.csdata,"",@progbits
; Kernel info:
; codeLenInByte = 2432
; NumSgprs: 46
; NumVgprs: 9
; ScratchSize: 0
; MemoryBound: 0
; FloatMode: 240
; IeeeMode: 1
; LDSByteSize: 128 bytes/workgroup (compile time only)
; SGPRBlocks: 5
; VGPRBlocks: 1
; NumSGPRsForWavesPerEU: 46
; NumVGPRsForWavesPerEU: 9
; Occupancy: 16
; WaveLimiterHint : 0
; COMPUTE_PGM_RSRC2:SCRATCH_EN: 0
; COMPUTE_PGM_RSRC2:USER_SGPR: 14
; COMPUTE_PGM_RSRC2:TRAP_HANDLER: 0
; COMPUTE_PGM_RSRC2:TGID_X_EN: 1
; COMPUTE_PGM_RSRC2:TGID_Y_EN: 1
; COMPUTE_PGM_RSRC2:TGID_Z_EN: 0
; COMPUTE_PGM_RSRC2:TIDIG_COMP_CNT: 0
	.section	.text._ZL33flash_attn_stream_k_fixup_uniformILi64ELi16ELi4EEvPfPK15HIP_vector_typeIfLj2EEiiiiiiS1_IjLj3EES5_S5_,"axG",@progbits,_ZL33flash_attn_stream_k_fixup_uniformILi64ELi16ELi4EEvPfPK15HIP_vector_typeIfLj2EEiiiiiiS1_IjLj3EES5_S5_,comdat
	.globl	_ZL33flash_attn_stream_k_fixup_uniformILi64ELi16ELi4EEvPfPK15HIP_vector_typeIfLj2EEiiiiiiS1_IjLj3EES5_S5_ ; -- Begin function _ZL33flash_attn_stream_k_fixup_uniformILi64ELi16ELi4EEvPfPK15HIP_vector_typeIfLj2EEiiiiiiS1_IjLj3EES5_S5_
	.p2align	8
	.type	_ZL33flash_attn_stream_k_fixup_uniformILi64ELi16ELi4EEvPfPK15HIP_vector_typeIfLj2EEiiiiiiS1_IjLj3EES5_S5_,@function
_ZL33flash_attn_stream_k_fixup_uniformILi64ELi16ELi4EEvPfPK15HIP_vector_typeIfLj2EEiiiiiiS1_IjLj3EES5_S5_: ; @_ZL33flash_attn_stream_k_fixup_uniformILi64ELi16ELi4EEvPfPK15HIP_vector_typeIfLj2EEiiiiiiS1_IjLj3EES5_S5_
; %bb.0:
	s_clause 0x1
	s_load_b256 s[4:11], s[0:1], 0x1c
	s_load_b128 s[16:19], s[0:1], 0x3c
	s_waitcnt lgkmcnt(0)
	s_mul_hi_u32 s2, s7, s13
	s_delay_alu instid0(SALU_CYCLE_1) | instskip(NEXT) | instid1(SALU_CYCLE_1)
	s_add_i32 s2, s13, s2
	s_lshr_b32 s2, s2, s8
	s_delay_alu instid0(SALU_CYCLE_1) | instskip(SKIP_2) | instid1(SALU_CYCLE_1)
	s_mul_i32 s3, s2, s9
	s_load_b64 s[8:9], s[0:1], 0x10
	s_sub_i32 s7, s13, s3
	s_mul_hi_u32 s3, s7, s10
	s_delay_alu instid0(SALU_CYCLE_1) | instskip(NEXT) | instid1(SALU_CYCLE_1)
	s_add_i32 s3, s7, s3
	s_lshr_b32 s3, s3, s11
	s_delay_alu instid0(SALU_CYCLE_1) | instskip(NEXT) | instid1(SALU_CYCLE_1)
	s_mul_i32 s10, s3, s16
	s_sub_i32 s7, s7, s10
	s_delay_alu instid0(SALU_CYCLE_1) | instskip(NEXT) | instid1(SALU_CYCLE_1)
	s_mul_hi_u32 s10, s7, s17
	s_add_i32 s10, s7, s10
	s_delay_alu instid0(SALU_CYCLE_1) | instskip(NEXT) | instid1(SALU_CYCLE_1)
	s_lshr_b32 s10, s10, s18
	s_mul_i32 s11, s10, s19
	s_lshl_b32 s10, s10, 2
	s_sub_i32 s7, s7, s11
	s_delay_alu instid0(SALU_CYCLE_1) | instskip(NEXT) | instid1(SALU_CYCLE_1)
	s_lshl_b32 s11, s7, 4
	s_add_i32 s11, s11, s14
	s_waitcnt lgkmcnt(0)
	s_cmp_lt_i32 s11, s8
	s_cselect_b32 s11, -1, 0
	s_add_i32 s12, s10, s15
	s_delay_alu instid0(SALU_CYCLE_1) | instskip(SKIP_1) | instid1(SALU_CYCLE_1)
	s_cmp_lt_i32 s12, s5
	s_cselect_b32 s12, -1, 0
	s_and_b32 s11, s11, s12
	s_delay_alu instid0(SALU_CYCLE_1)
	s_and_not1_b32 vcc_lo, exec_lo, s11
	s_cbranch_vccnz .LBB6_6
; %bb.1:
	s_mul_i32 s2, s2, s8
	s_mul_i32 s5, s3, s5
	s_add_i32 s2, s2, s14
	s_mul_i32 s7, s9, s7
	s_mul_i32 s2, s2, s9
	s_lshl_b32 s7, s7, 10
	s_add_i32 s8, s2, s15
	s_load_b128 s[0:3], s[0:1], 0x0
	s_add_i32 s5, s8, s5
	s_lshl_b32 s9, s14, 2
	s_add_i32 s5, s5, s10
	s_delay_alu instid0(SALU_CYCLE_1) | instskip(NEXT) | instid1(SALU_CYCLE_1)
	s_lshl_b32 s5, s5, 6
	s_add_i32 s7, s7, s5
	s_mul_i32 s5, s13, s6
	v_or_b32_e32 v1, s7, v0
	s_add_i32 s10, s5, s6
	s_delay_alu instid0(VALU_DEP_1) | instskip(NEXT) | instid1(VALU_DEP_1)
	v_ashrrev_i32_e32 v2, 31, v1
	v_lshlrev_b64 v[1:2], 2, v[1:2]
	s_waitcnt lgkmcnt(0)
	s_delay_alu instid0(VALU_DEP_1) | instskip(NEXT) | instid1(VALU_DEP_2)
	v_add_co_u32 v1, vcc_lo, s0, v1
	v_add_co_ci_u32_e32 v2, vcc_lo, s1, v2, vcc_lo
	s_add_i32 s0, s9, s15
	s_lshl_b32 s1, s10, 6
	s_delay_alu instid0(SALU_CYCLE_1) | instskip(SKIP_2) | instid1(SALU_CYCLE_1)
	s_add_i32 s0, s0, s1
	global_load_b32 v5, v[1:2], off
	s_sub_i32 s0, s0, 64
	s_ashr_i32 s1, s0, 31
	s_delay_alu instid0(SALU_CYCLE_1) | instskip(NEXT) | instid1(SALU_CYCLE_1)
	s_lshl_b64 s[0:1], s[0:1], 3
	s_add_u32 s0, s2, s0
	s_addc_u32 s1, s3, s1
	s_add_i32 s7, s10, -2
	s_load_b32 s11, s[0:1], 0x4
	s_cmp_lt_i32 s7, s5
	s_cbranch_scc1 .LBB6_4
; %bb.2:
	s_lshl_b32 s16, s4, 8
	s_load_b32 s12, s[0:1], 0x0
	s_ashr_i32 s17, s16, 31
	s_delay_alu instid0(SALU_CYCLE_1) | instskip(NEXT) | instid1(SALU_CYCLE_1)
	s_lshl_b64 s[0:1], s[16:17], 2
	s_add_u32 s7, s2, s0
	s_addc_u32 s8, s3, s1
	s_add_i32 s13, s13, 1
	s_lshl_b32 s0, s14, 8
	s_lshl_b32 s1, s15, 6
	s_mul_i32 s6, s6, s13
	s_add_i32 s0, s1, s0
	s_lshl_b32 s1, s6, 12
	s_delay_alu instid0(SALU_CYCLE_1)
	s_add_i32 s0, s0, s1
	s_lshl_b32 s1, s6, 6
	v_or_b32_e32 v0, s0, v0
	s_lshl_b32 s0, s4, 6
	s_add_i32 s1, s15, s1
	s_waitcnt lgkmcnt(0)
	v_mov_b32_e32 v6, s11
	s_add_i32 s0, s1, s0
	v_dual_mov_b32 v0, s12 :: v_dual_add_nc_u32 v3, 0xffffe000, v0
	s_add_i32 s0, s0, s9
	s_add_i32 s4, s10, -1
	s_addk_i32 s0, 0xff80
.LBB6_3:                                ; =>This Inner Loop Header: Depth=1
	s_delay_alu instid0(VALU_DEP_1) | instskip(SKIP_1) | instid1(SALU_CYCLE_1)
	v_ashrrev_i32_e32 v4, 31, v3
	s_ashr_i32 s1, s0, 31
	s_lshl_b64 s[10:11], s[0:1], 3
	s_delay_alu instid0(SALU_CYCLE_1) | instskip(NEXT) | instid1(VALU_DEP_1)
	s_add_u32 s10, s2, s10
	v_lshlrev_b64 v[7:8], 2, v[3:4]
	s_addc_u32 s11, s3, s11
	s_add_i32 s4, s4, -1
	s_sub_i32 s0, s0, 64
	s_cmp_le_i32 s4, s5
	s_load_b64 s[10:11], s[10:11], 0x0
	v_add_co_u32 v7, vcc_lo, s7, v7
	v_add_co_ci_u32_e32 v8, vcc_lo, s8, v8, vcc_lo
	global_load_b32 v4, v[7:8], off
	v_max_f32_e32 v7, v0, v0
	s_waitcnt lgkmcnt(0)
	v_max_f32_e64 v8, s10, s10
	s_delay_alu instid0(VALU_DEP_1) | instskip(NEXT) | instid1(VALU_DEP_1)
	v_max_f32_e32 v7, v7, v8
	v_sub_f32_e32 v8, s10, v7
	s_delay_alu instid0(VALU_DEP_1) | instskip(NEXT) | instid1(VALU_DEP_1)
	v_dual_sub_f32 v0, v0, v7 :: v_dual_mul_f32 v9, 0x3fb8aa3b, v8
	v_fma_f32 v10, 0x3fb8aa3b, v8, -v9
	v_rndne_f32_e32 v11, v9
	s_delay_alu instid0(VALU_DEP_3) | instskip(NEXT) | instid1(VALU_DEP_2)
	v_mul_f32_e32 v12, 0x3fb8aa3b, v0
	v_dual_fmac_f32 v10, 0x32a5705f, v8 :: v_dual_sub_f32 v9, v9, v11
	v_cvt_i32_f32_e32 v11, v11
	s_delay_alu instid0(VALU_DEP_3) | instskip(SKIP_1) | instid1(VALU_DEP_4)
	v_fma_f32 v13, 0x3fb8aa3b, v0, -v12
	v_rndne_f32_e32 v14, v12
	v_add_f32_e32 v9, v9, v10
	v_cmp_ngt_f32_e32 vcc_lo, 0xc2ce8ed0, v8
	s_delay_alu instid0(VALU_DEP_3) | instskip(NEXT) | instid1(VALU_DEP_3)
	v_sub_f32_e32 v10, v12, v14
	v_exp_f32_e32 v9, v9
	s_waitcnt_depctr 0xfff
	v_ldexp_f32 v9, v9, v11
	v_cvt_i32_f32_e32 v11, v14
	s_delay_alu instid0(VALU_DEP_2) | instskip(SKIP_1) | instid1(VALU_DEP_2)
	v_cndmask_b32_e32 v9, 0, v9, vcc_lo
	v_cmp_nlt_f32_e32 vcc_lo, 0x42b17218, v8
	v_cndmask_b32_e32 v9, 0x7f800000, v9, vcc_lo
	v_cmp_ngt_f32_e32 vcc_lo, 0xc2ce8ed0, v0
	v_fmac_f32_e32 v13, 0x32a5705f, v0
	s_delay_alu instid0(VALU_DEP_1) | instskip(NEXT) | instid1(VALU_DEP_1)
	v_add_f32_e32 v10, v10, v13
	v_exp_f32_e32 v10, v10
	s_waitcnt_depctr 0xfff
	v_ldexp_f32 v10, v10, v11
	s_delay_alu instid0(VALU_DEP_1)
	v_dual_mov_b32 v11, v6 :: v_dual_cndmask_b32 v10, 0, v10
	v_cmp_le_f32_e32 vcc_lo, 0xc1a00000, v8
	s_waitcnt vmcnt(1)
	v_dual_cndmask_b32 v8, 0, v9 :: v_dual_mov_b32 v9, v5
	v_cmp_nlt_f32_e32 vcc_lo, 0x42b17218, v0
	v_cndmask_b32_e32 v5, 0x7f800000, v10, vcc_lo
	s_delay_alu instid0(VALU_DEP_3) | instskip(SKIP_2) | instid1(VALU_DEP_3)
	v_mul_f32_e32 v10, s11, v8
	v_cmp_le_f32_e32 vcc_lo, 0xc1a00000, v0
	v_mov_b32_e32 v0, v7
	v_mov_b32_e32 v6, v10
	s_waitcnt vmcnt(0)
	v_dual_cndmask_b32 v12, 0, v5 :: v_dual_mul_f32 v5, v4, v8
	s_delay_alu instid0(VALU_DEP_1) | instskip(NEXT) | instid1(VALU_DEP_2)
	v_dual_fmac_f32 v6, v11, v12 :: v_dual_add_nc_u32 v3, 0xfffff000, v3
	v_fmac_f32_e32 v5, v9, v12
	s_cbranch_scc0 .LBB6_3
	s_branch .LBB6_5
.LBB6_4:
	s_waitcnt lgkmcnt(0)
	v_mov_b32_e32 v6, s11
.LBB6_5:
	s_waitcnt vmcnt(0)
	s_delay_alu instid0(VALU_DEP_1) | instskip(NEXT) | instid1(VALU_DEP_1)
	v_div_scale_f32 v0, null, v6, v6, v5
	v_rcp_f32_e32 v3, v0
	s_waitcnt_depctr 0xfff
	v_fma_f32 v4, -v0, v3, 1.0
	s_delay_alu instid0(VALU_DEP_1) | instskip(SKIP_1) | instid1(VALU_DEP_1)
	v_fmac_f32_e32 v3, v4, v3
	v_div_scale_f32 v4, vcc_lo, v5, v6, v5
	v_mul_f32_e32 v7, v4, v3
	s_delay_alu instid0(VALU_DEP_1) | instskip(NEXT) | instid1(VALU_DEP_1)
	v_fma_f32 v8, -v0, v7, v4
	v_fmac_f32_e32 v7, v8, v3
	s_delay_alu instid0(VALU_DEP_1) | instskip(NEXT) | instid1(VALU_DEP_1)
	v_fma_f32 v0, -v0, v7, v4
	v_div_fmas_f32 v0, v0, v3, v7
	s_delay_alu instid0(VALU_DEP_1)
	v_div_fixup_f32 v0, v0, v6, v5
	global_store_b32 v[1:2], v0, off
.LBB6_6:
	s_nop 0
	s_sendmsg sendmsg(MSG_DEALLOC_VGPRS)
	s_endpgm
	.section	.rodata,"a",@progbits
	.p2align	6, 0x0
	.amdhsa_kernel _ZL33flash_attn_stream_k_fixup_uniformILi64ELi16ELi4EEvPfPK15HIP_vector_typeIfLj2EEiiiiiiS1_IjLj3EES5_S5_
		.amdhsa_group_segment_fixed_size 0
		.amdhsa_private_segment_fixed_size 0
		.amdhsa_kernarg_size 76
		.amdhsa_user_sgpr_count 13
		.amdhsa_user_sgpr_dispatch_ptr 0
		.amdhsa_user_sgpr_queue_ptr 0
		.amdhsa_user_sgpr_kernarg_segment_ptr 1
		.amdhsa_user_sgpr_dispatch_id 0
		.amdhsa_user_sgpr_private_segment_size 0
		.amdhsa_wavefront_size32 1
		.amdhsa_uses_dynamic_stack 0
		.amdhsa_enable_private_segment 0
		.amdhsa_system_sgpr_workgroup_id_x 1
		.amdhsa_system_sgpr_workgroup_id_y 1
		.amdhsa_system_sgpr_workgroup_id_z 1
		.amdhsa_system_sgpr_workgroup_info 0
		.amdhsa_system_vgpr_workitem_id 0
		.amdhsa_next_free_vgpr 15
		.amdhsa_next_free_sgpr 20
		.amdhsa_reserve_vcc 1
		.amdhsa_float_round_mode_32 0
		.amdhsa_float_round_mode_16_64 0
		.amdhsa_float_denorm_mode_32 3
		.amdhsa_float_denorm_mode_16_64 3
		.amdhsa_dx10_clamp 1
		.amdhsa_ieee_mode 1
		.amdhsa_fp16_overflow 0
		.amdhsa_workgroup_processor_mode 1
		.amdhsa_memory_ordered 1
		.amdhsa_forward_progress 0
		.amdhsa_shared_vgpr_count 0
		.amdhsa_exception_fp_ieee_invalid_op 0
		.amdhsa_exception_fp_denorm_src 0
		.amdhsa_exception_fp_ieee_div_zero 0
		.amdhsa_exception_fp_ieee_overflow 0
		.amdhsa_exception_fp_ieee_underflow 0
		.amdhsa_exception_fp_ieee_inexact 0
		.amdhsa_exception_int_div_zero 0
	.end_amdhsa_kernel
	.section	.text._ZL33flash_attn_stream_k_fixup_uniformILi64ELi16ELi4EEvPfPK15HIP_vector_typeIfLj2EEiiiiiiS1_IjLj3EES5_S5_,"axG",@progbits,_ZL33flash_attn_stream_k_fixup_uniformILi64ELi16ELi4EEvPfPK15HIP_vector_typeIfLj2EEiiiiiiS1_IjLj3EES5_S5_,comdat
.Lfunc_end6:
	.size	_ZL33flash_attn_stream_k_fixup_uniformILi64ELi16ELi4EEvPfPK15HIP_vector_typeIfLj2EEiiiiiiS1_IjLj3EES5_S5_, .Lfunc_end6-_ZL33flash_attn_stream_k_fixup_uniformILi64ELi16ELi4EEvPfPK15HIP_vector_typeIfLj2EEiiiiiiS1_IjLj3EES5_S5_
                                        ; -- End function
	.section	.AMDGPU.csdata,"",@progbits
; Kernel info:
; codeLenInByte = 996
; NumSgprs: 22
; NumVgprs: 15
; ScratchSize: 0
; MemoryBound: 0
; FloatMode: 240
; IeeeMode: 1
; LDSByteSize: 0 bytes/workgroup (compile time only)
; SGPRBlocks: 2
; VGPRBlocks: 1
; NumSGPRsForWavesPerEU: 22
; NumVGPRsForWavesPerEU: 15
; Occupancy: 16
; WaveLimiterHint : 0
; COMPUTE_PGM_RSRC2:SCRATCH_EN: 0
; COMPUTE_PGM_RSRC2:USER_SGPR: 13
; COMPUTE_PGM_RSRC2:TRAP_HANDLER: 0
; COMPUTE_PGM_RSRC2:TGID_X_EN: 1
; COMPUTE_PGM_RSRC2:TGID_Y_EN: 1
; COMPUTE_PGM_RSRC2:TGID_Z_EN: 1
; COMPUTE_PGM_RSRC2:TIDIG_COMP_CNT: 0
	.section	.text._ZL33flash_attn_stream_k_fixup_generalILi64ELi16ELi4EEvPfPK15HIP_vector_typeIfLj2EEiiiiS1_IjLj3EES5_S5_S5_,"axG",@progbits,_ZL33flash_attn_stream_k_fixup_generalILi64ELi16ELi4EEvPfPK15HIP_vector_typeIfLj2EEiiiiS1_IjLj3EES5_S5_S5_,comdat
	.globl	_ZL33flash_attn_stream_k_fixup_generalILi64ELi16ELi4EEvPfPK15HIP_vector_typeIfLj2EEiiiiS1_IjLj3EES5_S5_S5_ ; -- Begin function _ZL33flash_attn_stream_k_fixup_generalILi64ELi16ELi4EEvPfPK15HIP_vector_typeIfLj2EEiiiiS1_IjLj3EES5_S5_S5_
	.p2align	8
	.type	_ZL33flash_attn_stream_k_fixup_generalILi64ELi16ELi4EEvPfPK15HIP_vector_typeIfLj2EEiiiiS1_IjLj3EES5_S5_S5_,@function
_ZL33flash_attn_stream_k_fixup_generalILi64ELi16ELi4EEvPfPK15HIP_vector_typeIfLj2EEiiiiS1_IjLj3EES5_S5_S5_: ; @_ZL33flash_attn_stream_k_fixup_generalILi64ELi16ELi4EEvPfPK15HIP_vector_typeIfLj2EEiiiiS1_IjLj3EES5_S5_S5_
; %bb.0:
	s_clause 0x1
	s_load_b128 s[4:7], s[0:1], 0x10
	s_load_b32 s20, s[0:1], 0x50
	s_mov_b32 s2, 0
	s_waitcnt lgkmcnt(0)
	s_mul_hi_i32 s3, s7, s13
	s_mul_i32 s12, s7, s13
	s_cmp_lg_u64 s[2:3], 0
	s_cbranch_scc0 .LBB7_21
; %bb.1:
	v_cvt_f32_ubyte0_e32 v1, 0
	v_cvt_f32_u32_e32 v2, s20
	s_sub_u32 s10, 0, s20
	s_subb_u32 s11, 0, 0
	s_delay_alu instid0(VALU_DEP_1) | instskip(NEXT) | instid1(VALU_DEP_1)
	v_fmamk_f32 v1, v1, 0x4f800000, v2
	v_rcp_f32_e32 v1, v1
	s_waitcnt_depctr 0xfff
	v_mul_f32_e32 v1, 0x5f7ffffc, v1
	s_delay_alu instid0(VALU_DEP_1) | instskip(NEXT) | instid1(VALU_DEP_1)
	v_mul_f32_e32 v2, 0x2f800000, v1
	v_trunc_f32_e32 v2, v2
	s_delay_alu instid0(VALU_DEP_1) | instskip(SKIP_1) | instid1(VALU_DEP_2)
	v_fmamk_f32 v1, v2, 0xcf800000, v1
	v_cvt_u32_f32_e32 v2, v2
	v_cvt_u32_f32_e32 v1, v1
	s_delay_alu instid0(VALU_DEP_2) | instskip(NEXT) | instid1(VALU_DEP_2)
	v_readfirstlane_b32 s8, v2
	v_readfirstlane_b32 s9, v1
	s_delay_alu instid0(VALU_DEP_2) | instskip(NEXT) | instid1(VALU_DEP_1)
	s_mul_i32 s16, s10, s8
	s_mul_hi_u32 s18, s10, s9
	s_mul_i32 s17, s11, s9
	s_add_i32 s16, s18, s16
	s_mul_i32 s19, s10, s9
	s_add_i32 s16, s16, s17
	s_mul_hi_u32 s18, s9, s19
	s_mul_hi_u32 s21, s8, s19
	s_mul_i32 s17, s8, s19
	s_mul_hi_u32 s19, s9, s16
	s_mul_i32 s9, s9, s16
	s_mul_hi_u32 s22, s8, s16
	s_add_u32 s9, s18, s9
	s_addc_u32 s18, 0, s19
	s_add_u32 s9, s9, s17
	s_mul_i32 s16, s8, s16
	s_addc_u32 s9, s18, s21
	s_addc_u32 s17, s22, 0
	s_add_u32 s9, s9, s16
	s_addc_u32 s16, 0, s17
	v_add_co_u32 v1, s9, v1, s9
	s_delay_alu instid0(VALU_DEP_1) | instskip(SKIP_1) | instid1(VALU_DEP_1)
	s_cmp_lg_u32 s9, 0
	s_addc_u32 s8, s8, s16
	v_readfirstlane_b32 s9, v1
	s_mul_i32 s16, s10, s8
	s_delay_alu instid0(VALU_DEP_1)
	s_mul_hi_u32 s17, s10, s9
	s_mul_i32 s11, s11, s9
	s_add_i32 s16, s17, s16
	s_mul_i32 s10, s10, s9
	s_add_i32 s16, s16, s11
	s_mul_hi_u32 s17, s8, s10
	s_mul_i32 s18, s8, s10
	s_mul_hi_u32 s10, s9, s10
	s_mul_hi_u32 s19, s9, s16
	s_mul_i32 s9, s9, s16
	s_mul_hi_u32 s11, s8, s16
	s_add_u32 s9, s10, s9
	s_addc_u32 s10, 0, s19
	s_add_u32 s9, s9, s18
	s_mul_i32 s16, s8, s16
	s_addc_u32 s9, s10, s17
	s_addc_u32 s10, s11, 0
	s_add_u32 s9, s9, s16
	s_addc_u32 s10, 0, s10
	v_add_co_u32 v1, s9, v1, s9
	s_delay_alu instid0(VALU_DEP_1) | instskip(SKIP_2) | instid1(SALU_CYCLE_1)
	s_cmp_lg_u32 s9, 0
	s_addc_u32 s16, s8, s10
	s_ashr_i32 s8, s3, 31
	s_add_u32 s10, s12, s8
	s_addc_u32 s11, s3, s8
	v_readfirstlane_b32 s3, v1
	s_mov_b32 s9, s8
	s_delay_alu instid0(SALU_CYCLE_1) | instskip(NEXT) | instid1(SALU_CYCLE_1)
	s_xor_b64 s[10:11], s[10:11], s[8:9]
	s_mul_i32 s18, s10, s16
	s_delay_alu instid0(VALU_DEP_1)
	s_mul_hi_u32 s19, s10, s3
	s_mul_hi_u32 s17, s10, s16
	;; [unrolled: 1-line block ×3, first 2 shown]
	s_mul_i32 s3, s11, s3
	s_add_u32 s18, s19, s18
	s_addc_u32 s17, 0, s17
	s_mul_hi_u32 s21, s11, s16
	s_add_u32 s3, s18, s3
	s_mul_i32 s16, s11, s16
	s_addc_u32 s3, s17, s22
	s_addc_u32 s17, s21, 0
	s_add_u32 s3, s3, s16
	s_addc_u32 s16, 0, s17
	s_mul_i32 s18, s20, s3
	s_add_u32 s17, s3, 1
	v_sub_co_u32 v1, s10, s10, s18
	s_mul_hi_u32 s18, s20, s3
	s_addc_u32 s19, s16, 0
	s_mul_i32 s21, s20, s16
	s_delay_alu instid0(VALU_DEP_1)
	v_sub_co_u32 v2, s22, v1, s20
	s_add_u32 s23, s3, 2
	s_addc_u32 s24, s16, 0
	s_add_i32 s18, s18, s21
	s_cmp_lg_u32 s10, 0
	v_readfirstlane_b32 s10, v2
	s_subb_u32 s11, s11, s18
	s_cmp_lg_u32 s22, 0
	s_subb_u32 s18, s11, 0
	s_delay_alu instid0(VALU_DEP_1) | instskip(SKIP_4) | instid1(SALU_CYCLE_1)
	s_cmp_ge_u32 s10, s20
	s_cselect_b32 s10, -1, 0
	s_cmp_eq_u32 s18, 0
	v_readfirstlane_b32 s18, v1
	s_cselect_b32 s10, s10, -1
	s_cmp_lg_u32 s10, 0
	s_cselect_b32 s10, s23, s17
	s_cselect_b32 s17, s24, s19
	s_cmp_ge_u32 s18, s20
	s_cselect_b32 s18, -1, 0
	s_cmp_eq_u32 s11, 0
	s_cselect_b32 s11, s18, -1
	s_delay_alu instid0(SALU_CYCLE_1) | instskip(SKIP_2) | instid1(SALU_CYCLE_1)
	s_cmp_lg_u32 s11, 0
	s_cselect_b32 s11, s17, s16
	s_cselect_b32 s10, s10, s3
	s_xor_b64 s[10:11], s[10:11], s[8:9]
	s_delay_alu instid0(SALU_CYCLE_1)
	s_sub_u32 s16, s10, s8
	s_load_b128 s[8:11], s[0:1], 0x44
	s_and_not1_b32 vcc_lo, exec_lo, s2
	s_cbranch_vccnz .LBB7_3
.LBB7_2:
	v_cvt_f32_u32_e32 v1, s20
	s_sub_i32 s3, 0, s20
	s_delay_alu instid0(VALU_DEP_1) | instskip(SKIP_2) | instid1(VALU_DEP_1)
	v_rcp_iflag_f32_e32 v1, v1
	s_waitcnt_depctr 0xfff
	v_mul_f32_e32 v1, 0x4f7ffffe, v1
	v_cvt_u32_f32_e32 v1, v1
	s_delay_alu instid0(VALU_DEP_1) | instskip(NEXT) | instid1(VALU_DEP_1)
	v_readfirstlane_b32 s2, v1
	s_mul_i32 s3, s3, s2
	s_delay_alu instid0(SALU_CYCLE_1) | instskip(NEXT) | instid1(SALU_CYCLE_1)
	s_mul_hi_u32 s3, s2, s3
	s_add_i32 s2, s2, s3
	s_delay_alu instid0(SALU_CYCLE_1) | instskip(NEXT) | instid1(SALU_CYCLE_1)
	s_mul_hi_u32 s2, s12, s2
	s_mul_i32 s3, s2, s20
	s_waitcnt lgkmcnt(0)
	s_add_i32 s11, s2, 1
	s_sub_i32 s3, s12, s3
	s_delay_alu instid0(SALU_CYCLE_1)
	s_sub_i32 s12, s3, s20
	s_cmp_ge_u32 s3, s20
	s_cselect_b32 s2, s11, s2
	s_cselect_b32 s3, s12, s3
	s_add_i32 s11, s2, 1
	s_cmp_ge_u32 s3, s20
	s_cselect_b32 s16, s11, s2
.LBB7_3:
	s_waitcnt lgkmcnt(0)
	s_add_i32 s11, s13, 1
	s_mov_b32 s2, 0
	s_mul_hi_i32 s3, s7, s11
	s_mul_i32 s11, s7, s11
	s_cmp_lg_u64 s[2:3], 0
	s_cbranch_scc0 .LBB7_22
; %bb.4:
	v_cvt_f32_ubyte0_e32 v1, 0
	v_cvt_f32_u32_e32 v2, s20
	s_sub_u32 s18, 0, s20
	s_subb_u32 s19, 0, 0
	s_delay_alu instid0(VALU_DEP_1) | instskip(NEXT) | instid1(VALU_DEP_1)
	v_fmamk_f32 v1, v1, 0x4f800000, v2
	v_rcp_f32_e32 v1, v1
	s_waitcnt_depctr 0xfff
	v_mul_f32_e32 v1, 0x5f7ffffc, v1
	s_delay_alu instid0(VALU_DEP_1) | instskip(NEXT) | instid1(VALU_DEP_1)
	v_mul_f32_e32 v2, 0x2f800000, v1
	v_trunc_f32_e32 v2, v2
	s_delay_alu instid0(VALU_DEP_1) | instskip(SKIP_1) | instid1(VALU_DEP_2)
	v_fmamk_f32 v1, v2, 0xcf800000, v1
	v_cvt_u32_f32_e32 v2, v2
	v_cvt_u32_f32_e32 v1, v1
	s_delay_alu instid0(VALU_DEP_2) | instskip(NEXT) | instid1(VALU_DEP_2)
	v_readfirstlane_b32 s12, v2
	v_readfirstlane_b32 s17, v1
	s_delay_alu instid0(VALU_DEP_2) | instskip(NEXT) | instid1(VALU_DEP_1)
	s_mul_i32 s21, s18, s12
	s_mul_hi_u32 s23, s18, s17
	s_mul_i32 s22, s19, s17
	s_add_i32 s21, s23, s21
	s_mul_i32 s24, s18, s17
	s_add_i32 s21, s21, s22
	s_mul_hi_u32 s23, s17, s24
	s_mul_hi_u32 s25, s12, s24
	s_mul_i32 s22, s12, s24
	s_mul_hi_u32 s24, s17, s21
	s_mul_i32 s17, s17, s21
	s_mul_hi_u32 s26, s12, s21
	s_add_u32 s17, s23, s17
	s_addc_u32 s23, 0, s24
	s_add_u32 s17, s17, s22
	s_mul_i32 s21, s12, s21
	s_addc_u32 s17, s23, s25
	s_addc_u32 s22, s26, 0
	s_add_u32 s17, s17, s21
	s_addc_u32 s21, 0, s22
	v_add_co_u32 v1, s17, v1, s17
	s_delay_alu instid0(VALU_DEP_1) | instskip(SKIP_1) | instid1(VALU_DEP_1)
	s_cmp_lg_u32 s17, 0
	s_addc_u32 s12, s12, s21
	v_readfirstlane_b32 s17, v1
	s_mul_i32 s21, s18, s12
	s_delay_alu instid0(VALU_DEP_1)
	s_mul_hi_u32 s22, s18, s17
	s_mul_i32 s19, s19, s17
	s_add_i32 s21, s22, s21
	s_mul_i32 s18, s18, s17
	s_add_i32 s21, s21, s19
	s_mul_hi_u32 s22, s12, s18
	s_mul_i32 s23, s12, s18
	s_mul_hi_u32 s18, s17, s18
	s_mul_hi_u32 s24, s17, s21
	s_mul_i32 s17, s17, s21
	s_mul_hi_u32 s19, s12, s21
	s_add_u32 s17, s18, s17
	s_addc_u32 s18, 0, s24
	s_add_u32 s17, s17, s23
	s_mul_i32 s21, s12, s21
	s_addc_u32 s17, s18, s22
	s_addc_u32 s18, s19, 0
	s_add_u32 s17, s17, s21
	s_addc_u32 s18, 0, s18
	v_add_co_u32 v1, s17, v1, s17
	s_delay_alu instid0(VALU_DEP_1) | instskip(SKIP_2) | instid1(SALU_CYCLE_1)
	s_cmp_lg_u32 s17, 0
	s_addc_u32 s12, s12, s18
	s_ashr_i32 s18, s3, 31
	s_add_u32 s22, s11, s18
	s_addc_u32 s23, s3, s18
	v_readfirstlane_b32 s3, v1
	s_mov_b32 s19, s18
	s_delay_alu instid0(SALU_CYCLE_1) | instskip(NEXT) | instid1(SALU_CYCLE_1)
	s_xor_b64 s[22:23], s[22:23], s[18:19]
	s_mul_i32 s21, s22, s12
	s_delay_alu instid0(VALU_DEP_1)
	s_mul_hi_u32 s24, s22, s3
	s_mul_hi_u32 s17, s22, s12
	;; [unrolled: 1-line block ×3, first 2 shown]
	s_mul_i32 s3, s23, s3
	s_add_u32 s21, s24, s21
	s_addc_u32 s17, 0, s17
	s_mul_hi_u32 s25, s23, s12
	s_add_u32 s3, s21, s3
	s_mul_i32 s12, s23, s12
	s_addc_u32 s3, s17, s26
	s_addc_u32 s17, s25, 0
	s_add_u32 s3, s3, s12
	s_addc_u32 s12, 0, s17
	s_mul_i32 s21, s20, s3
	s_add_u32 s17, s3, 1
	v_sub_co_u32 v1, s21, s22, s21
	s_mul_hi_u32 s22, s20, s3
	s_addc_u32 s24, s12, 0
	s_mul_i32 s25, s20, s12
	s_delay_alu instid0(VALU_DEP_1)
	v_sub_co_u32 v2, s26, v1, s20
	s_add_u32 s27, s3, 2
	s_addc_u32 s28, s12, 0
	s_add_i32 s22, s22, s25
	s_cmp_lg_u32 s21, 0
	v_readfirstlane_b32 s21, v2
	s_subb_u32 s22, s23, s22
	s_cmp_lg_u32 s26, 0
	s_subb_u32 s23, s22, 0
	s_delay_alu instid0(VALU_DEP_1) | instskip(SKIP_4) | instid1(SALU_CYCLE_1)
	s_cmp_ge_u32 s21, s20
	s_cselect_b32 s21, -1, 0
	s_cmp_eq_u32 s23, 0
	v_readfirstlane_b32 s23, v1
	s_cselect_b32 s21, s21, -1
	s_cmp_lg_u32 s21, 0
	s_cselect_b32 s17, s27, s17
	s_cselect_b32 s21, s28, s24
	s_cmp_ge_u32 s23, s20
	s_cselect_b32 s23, -1, 0
	s_cmp_eq_u32 s22, 0
	s_cselect_b32 s22, s23, -1
	s_delay_alu instid0(SALU_CYCLE_1) | instskip(SKIP_2) | instid1(SALU_CYCLE_1)
	s_cmp_lg_u32 s22, 0
	s_cselect_b32 s23, s21, s12
	s_cselect_b32 s22, s17, s3
	s_xor_b64 s[22:23], s[22:23], s[18:19]
	s_delay_alu instid0(SALU_CYCLE_1)
	s_sub_u32 s18, s22, s18
	s_and_not1_b32 vcc_lo, exec_lo, s2
	s_cbranch_vccnz .LBB7_6
.LBB7_5:
	v_cvt_f32_u32_e32 v1, s20
	s_sub_i32 s3, 0, s20
	s_delay_alu instid0(VALU_DEP_1) | instskip(SKIP_2) | instid1(VALU_DEP_1)
	v_rcp_iflag_f32_e32 v1, v1
	s_waitcnt_depctr 0xfff
	v_mul_f32_e32 v1, 0x4f7ffffe, v1
	v_cvt_u32_f32_e32 v1, v1
	s_delay_alu instid0(VALU_DEP_1) | instskip(NEXT) | instid1(VALU_DEP_1)
	v_readfirstlane_b32 s2, v1
	s_mul_i32 s3, s3, s2
	s_delay_alu instid0(SALU_CYCLE_1) | instskip(NEXT) | instid1(SALU_CYCLE_1)
	s_mul_hi_u32 s3, s2, s3
	s_add_i32 s2, s2, s3
	s_delay_alu instid0(SALU_CYCLE_1) | instskip(NEXT) | instid1(SALU_CYCLE_1)
	s_mul_hi_u32 s2, s11, s2
	s_mul_i32 s3, s2, s20
	s_delay_alu instid0(SALU_CYCLE_1)
	s_sub_i32 s3, s11, s3
	s_add_i32 s11, s2, 1
	s_sub_i32 s12, s3, s20
	s_cmp_ge_u32 s3, s20
	s_cselect_b32 s2, s11, s2
	s_cselect_b32 s3, s12, s3
	s_add_i32 s11, s2, 1
	s_cmp_ge_u32 s3, s20
	s_cselect_b32 s18, s11, s2
.LBB7_6:
	s_delay_alu instid0(SALU_CYCLE_1) | instskip(SKIP_3) | instid1(SALU_CYCLE_1)
	s_cmp_eq_u32 s16, s18
	s_mul_hi_u32 s2, s16, s8
	s_cselect_b32 s3, -1, 0
	s_add_i32 s2, s2, s16
	s_lshr_b32 s11, s2, s9
	s_delay_alu instid0(SALU_CYCLE_1) | instskip(NEXT) | instid1(SALU_CYCLE_1)
	s_mul_i32 s2, s11, s10
	s_cmp_eq_u32 s2, s16
	s_mul_hi_u32 s2, s18, s8
	s_cselect_b32 s12, -1, 0
	s_add_i32 s2, s2, s18
	s_delay_alu instid0(SALU_CYCLE_1) | instskip(NEXT) | instid1(SALU_CYCLE_1)
	s_lshr_b32 s2, s2, s9
	s_cmp_eq_u32 s11, s2
	s_mul_i32 s2, s2, s10
	s_cselect_b32 s17, -1, 0
	s_cmp_lg_u32 s2, s18
	s_cselect_b32 s2, -1, 0
	s_or_b32 s3, s3, s12
	s_and_b32 s2, s17, s2
	s_delay_alu instid0(SALU_CYCLE_1) | instskip(NEXT) | instid1(SALU_CYCLE_1)
	s_or_b32 s2, s3, s2
	s_and_b32 vcc_lo, exec_lo, s2
	s_cbranch_vccnz .LBB7_24
; %bb.7:
	s_load_b256 s[24:31], s[0:1], 0x20
	s_waitcnt lgkmcnt(0)
	s_mul_hi_u32 s2, s16, s24
	s_delay_alu instid0(SALU_CYCLE_1) | instskip(NEXT) | instid1(SALU_CYCLE_1)
	s_add_i32 s2, s2, s16
	s_lshr_b32 s17, s2, s25
	s_load_b32 s2, s[0:1], 0x40
	s_mul_i32 s3, s17, s26
	s_delay_alu instid0(SALU_CYCLE_1) | instskip(NEXT) | instid1(SALU_CYCLE_1)
	s_sub_i32 s3, s16, s3
	s_mul_hi_u32 s12, s3, s27
	s_delay_alu instid0(SALU_CYCLE_1) | instskip(NEXT) | instid1(SALU_CYCLE_1)
	s_add_i32 s12, s3, s12
	s_lshr_b32 s21, s12, s28
	s_delay_alu instid0(SALU_CYCLE_1) | instskip(NEXT) | instid1(SALU_CYCLE_1)
	s_mul_i32 s12, s21, s29
	s_sub_i32 s3, s3, s12
	s_delay_alu instid0(SALU_CYCLE_1) | instskip(NEXT) | instid1(SALU_CYCLE_1)
	s_mul_hi_u32 s12, s3, s30
	s_add_i32 s12, s3, s12
	s_delay_alu instid0(SALU_CYCLE_1)
	s_lshr_b32 s12, s12, s31
	s_waitcnt lgkmcnt(0)
	s_mul_i32 s2, s12, s2
	s_lshl_b32 s23, s12, 2
	s_sub_i32 s2, s3, s2
	s_mov_b32 s12, 0
	s_mul_hi_u32 s3, s2, s8
	s_delay_alu instid0(SALU_CYCLE_1) | instskip(NEXT) | instid1(SALU_CYCLE_1)
	s_add_i32 s2, s2, s3
	s_lshr_b32 s22, s2, s9
	s_delay_alu instid0(SALU_CYCLE_1) | instskip(NEXT) | instid1(SALU_CYCLE_1)
	s_lshl_b32 s2, s22, 4
	s_add_i32 s2, s2, s14
	s_delay_alu instid0(SALU_CYCLE_1) | instskip(SKIP_2) | instid1(SALU_CYCLE_1)
	s_cmp_lt_i32 s2, s4
	s_cselect_b32 s2, -1, 0
	s_add_i32 s3, s23, s15
	s_cmp_lt_i32 s3, s6
	s_cselect_b32 s3, -1, 0
	s_delay_alu instid0(SALU_CYCLE_1) | instskip(NEXT) | instid1(SALU_CYCLE_1)
	s_and_b32 s2, s2, s3
	s_and_not1_b32 vcc_lo, exec_lo, s2
	s_cbranch_vccnz .LBB7_24
; %bb.8:
	s_load_b128 s[0:3], s[0:1], 0x0
	s_lshl_b32 s18, s20, 8
	s_mov_b32 s19, s12
	s_lshl_b32 s24, s14, 2
	s_lshl_b64 s[18:19], s[18:19], 2
	s_mul_i32 s4, s17, s4
	s_add_i32 s17, s24, s15
	s_mul_i32 s21, s21, s6
	v_cvt_f32_ubyte0_e32 v4, 0
	v_cvt_f32_u32_e32 v5, s20
	s_waitcnt lgkmcnt(0)
	s_add_u32 s18, s2, s18
	s_addc_u32 s19, s3, s19
	s_add_i32 s4, s4, s14
	s_delay_alu instid0(SALU_CYCLE_1) | instskip(SKIP_4) | instid1(SALU_CYCLE_1)
	s_mul_i32 s4, s4, s5
	s_mul_i32 s5, s5, s22
	s_add_i32 s4, s4, s15
	s_lshl_b32 s5, s5, 10
	s_add_i32 s4, s4, s21
	s_add_i32 s4, s4, s23
	s_delay_alu instid0(SALU_CYCLE_1) | instskip(NEXT) | instid1(SALU_CYCLE_1)
	s_lshl_b32 s4, s4, 6
	s_add_i32 s5, s5, s4
	s_delay_alu instid0(SALU_CYCLE_1) | instskip(SKIP_1) | instid1(VALU_DEP_2)
	v_or_b32_e32 v1, s5, v0
	v_lshl_or_b32 v0, s17, 6, v0
	v_ashrrev_i32_e32 v2, 31, v1
	s_delay_alu instid0(VALU_DEP_1) | instskip(NEXT) | instid1(VALU_DEP_1)
	v_lshlrev_b64 v[1:2], 2, v[1:2]
	v_add_co_u32 v1, vcc_lo, s0, v1
	s_delay_alu instid0(VALU_DEP_2) | instskip(SKIP_1) | instid1(SALU_CYCLE_1)
	v_add_co_ci_u32_e32 v2, vcc_lo, s1, v2, vcc_lo
	s_lshl_b32 s0, s13, 6
	s_add_i32 s0, s17, s0
	global_load_b32 v3, v[1:2], off
	s_ashr_i32 s1, s0, 31
	s_delay_alu instid0(SALU_CYCLE_1) | instskip(NEXT) | instid1(SALU_CYCLE_1)
	s_lshl_b64 s[0:1], s[0:1], 3
	s_add_u32 s0, s2, s0
	s_addc_u32 s1, s3, s1
	s_add_i32 s14, s13, -1
	s_load_b64 s[0:1], s[0:1], 0x0
	v_fmac_f32_e32 v5, 0x4f800000, v4
	s_sub_i32 s6, 0, s20
	s_waitcnt lgkmcnt(0)
	v_mov_b32_e32 v8, s0
	s_delay_alu instid0(VALU_DEP_2) | instskip(SKIP_2) | instid1(VALU_DEP_2)
	v_rcp_f32_e32 v4, v5
	v_cvt_f32_u32_e32 v5, s20
	v_mov_b32_e32 v7, s1
	v_rcp_iflag_f32_e32 v5, v5
	s_waitcnt_depctr 0xfff
	v_mul_f32_e32 v4, 0x5f7ffffc, v4
	s_delay_alu instid0(VALU_DEP_1) | instskip(SKIP_1) | instid1(VALU_DEP_2)
	v_mul_f32_e32 v6, 0x2f800000, v4
	v_mul_f32_e32 v9, 0x4f7ffffe, v5
	v_trunc_f32_e32 v6, v6
	s_delay_alu instid0(VALU_DEP_1) | instskip(SKIP_1) | instid1(VALU_DEP_4)
	v_fmac_f32_e32 v4, 0xcf800000, v6
	v_cvt_u32_f32_e32 v5, v6
	v_cvt_u32_f32_e32 v6, v9
	s_delay_alu instid0(VALU_DEP_3)
	v_cvt_u32_f32_e32 v4, v4
.LBB7_9:                                ; =>This Inner Loop Header: Depth=1
	s_mul_hi_i32 s13, s14, s7
	s_mul_i32 s4, s14, s7
	s_cmp_lg_u64 s[12:13], 0
	s_mov_b32 s5, -1
                                        ; implicit-def: $sgpr0_sgpr1
	s_cbranch_scc0 .LBB7_11
; %bb.10:                               ;   in Loop: Header=BB7_9 Depth=1
	v_readfirstlane_b32 s0, v4
	v_readfirstlane_b32 s1, v5
	s_sub_u32 s5, 0, s20
	s_subb_u32 s15, 0, 0
	s_delay_alu instid0(VALU_DEP_2) | instskip(NEXT) | instid1(VALU_DEP_1)
	s_mul_hi_u32 s21, s5, s0
	s_mul_i32 s22, s5, s1
	s_mul_i32 s23, s15, s0
	s_add_i32 s21, s21, s22
	s_mul_i32 s22, s5, s0
	s_add_i32 s21, s21, s23
	s_mul_hi_u32 s23, s0, s22
	s_mul_i32 s24, s0, s21
	s_mul_hi_u32 s0, s0, s21
	s_add_u32 s23, s23, s24
	s_mul_i32 s25, s1, s22
	s_addc_u32 s0, 0, s0
	s_mul_hi_u32 s22, s1, s22
	s_mul_hi_u32 s24, s1, s21
	s_add_u32 s23, s23, s25
	s_addc_u32 s0, s0, s22
	s_mul_i32 s21, s1, s21
	s_addc_u32 s22, s24, 0
	s_add_u32 s0, s0, s21
	s_addc_u32 s21, 0, s22
	v_add_co_u32 v9, s0, v4, s0
	s_delay_alu instid0(VALU_DEP_1) | instskip(SKIP_1) | instid1(VALU_DEP_1)
	s_cmp_lg_u32 s0, 0
	s_addc_u32 s1, s1, s21
	v_readfirstlane_b32 s0, v9
	s_mul_i32 s21, s5, s1
	s_delay_alu instid0(VALU_DEP_1)
	s_mul_hi_u32 s22, s5, s0
	s_mul_i32 s15, s15, s0
	s_add_i32 s21, s22, s21
	s_mul_i32 s5, s5, s0
	s_add_i32 s21, s21, s15
	s_mul_hi_u32 s15, s1, s5
	s_mul_i32 s23, s1, s5
	s_mul_i32 s24, s0, s21
	s_mul_hi_u32 s5, s0, s5
	s_mul_hi_u32 s0, s0, s21
	s_add_u32 s5, s5, s24
	s_addc_u32 s0, 0, s0
	s_mul_hi_u32 s22, s1, s21
	s_add_u32 s5, s5, s23
	s_addc_u32 s0, s0, s15
	s_mul_i32 s5, s1, s21
	s_addc_u32 s15, s22, 0
	s_add_u32 s0, s0, s5
	s_addc_u32 s5, 0, s15
	v_add_co_u32 v9, s0, v9, s0
	s_delay_alu instid0(VALU_DEP_1) | instskip(SKIP_2) | instid1(SALU_CYCLE_1)
	s_cmp_lg_u32 s0, 0
	s_addc_u32 s5, s1, s5
	s_ashr_i32 s0, s13, 31
	s_add_u32 s22, s4, s0
	s_addc_u32 s23, s13, s0
	v_readfirstlane_b32 s13, v9
	s_mov_b32 s1, s0
	s_delay_alu instid0(SALU_CYCLE_1) | instskip(NEXT) | instid1(SALU_CYCLE_1)
	s_xor_b64 s[22:23], s[22:23], s[0:1]
	s_mul_i32 s15, s22, s5
	s_delay_alu instid0(VALU_DEP_1)
	s_mul_hi_u32 s21, s22, s13
	s_mul_hi_u32 s24, s22, s5
	s_add_u32 s15, s21, s15
	s_mul_i32 s25, s23, s13
	s_addc_u32 s21, 0, s24
	s_mul_hi_u32 s13, s23, s13
	s_mul_hi_u32 s24, s23, s5
	s_add_u32 s15, s15, s25
	s_addc_u32 s13, s21, s13
	s_mul_i32 s5, s23, s5
	s_addc_u32 s15, s24, 0
	s_add_u32 s5, s13, s5
	s_addc_u32 s13, 0, s15
	s_mul_i32 s21, s20, s5
	s_add_u32 s15, s5, 1
	v_sub_co_u32 v9, s21, s22, s21
	s_addc_u32 s22, s13, 0
	s_mul_i32 s25, s20, s13
	s_mul_hi_u32 s27, s20, s5
	s_delay_alu instid0(VALU_DEP_1)
	v_sub_co_u32 v10, s26, v9, s20
	s_add_u32 s24, s5, 2
	s_addc_u32 s28, s13, 0
	s_add_i32 s27, s27, s25
	s_cmp_lg_u32 s21, 0
	v_readfirstlane_b32 s21, v10
	s_subb_u32 s23, s23, s27
	s_cmp_lg_u32 s26, 0
	s_subb_u32 s25, s23, 0
	s_delay_alu instid0(VALU_DEP_1) | instskip(SKIP_4) | instid1(SALU_CYCLE_1)
	s_cmp_ge_u32 s21, s20
	s_cselect_b32 s21, -1, 0
	s_cmp_eq_u32 s25, 0
	v_readfirstlane_b32 s25, v9
	s_cselect_b32 s21, s21, -1
	s_cmp_lg_u32 s21, 0
	s_cselect_b32 s15, s24, s15
	s_cselect_b32 s21, s28, s22
	s_cmp_ge_u32 s25, s20
	s_cselect_b32 s22, -1, 0
	s_cmp_eq_u32 s23, 0
	s_cselect_b32 s22, s22, -1
	s_delay_alu instid0(SALU_CYCLE_1) | instskip(SKIP_4) | instid1(SALU_CYCLE_1)
	s_cmp_lg_u32 s22, 0
	s_cselect_b32 s23, s21, s13
	s_cselect_b32 s22, s15, s5
	s_mov_b32 s5, 0
	s_xor_b64 s[22:23], s[22:23], s[0:1]
	s_sub_u32 s0, s22, s0
.LBB7_11:                               ;   in Loop: Header=BB7_9 Depth=1
	s_and_not1_b32 vcc_lo, exec_lo, s5
	s_cbranch_vccnz .LBB7_13
; %bb.12:                               ;   in Loop: Header=BB7_9 Depth=1
	v_readfirstlane_b32 s0, v6
	s_delay_alu instid0(VALU_DEP_1) | instskip(NEXT) | instid1(SALU_CYCLE_1)
	s_mul_i32 s1, s6, s0
	s_mul_hi_u32 s1, s0, s1
	s_delay_alu instid0(SALU_CYCLE_1) | instskip(NEXT) | instid1(SALU_CYCLE_1)
	s_add_i32 s0, s0, s1
	s_mul_hi_u32 s0, s4, s0
	s_delay_alu instid0(SALU_CYCLE_1) | instskip(NEXT) | instid1(SALU_CYCLE_1)
	s_mul_i32 s1, s0, s20
	s_sub_i32 s1, s4, s1
	s_add_i32 s4, s0, 1
	s_sub_i32 s5, s1, s20
	s_cmp_ge_u32 s1, s20
	s_cselect_b32 s0, s4, s0
	s_cselect_b32 s1, s5, s1
	s_add_i32 s4, s0, 1
	s_cmp_ge_u32 s1, s20
	s_cselect_b32 s0, s4, s0
.LBB7_13:                               ;   in Loop: Header=BB7_9 Depth=1
	s_delay_alu instid0(SALU_CYCLE_1)
	s_cmp_lg_u32 s16, s0
	s_cbranch_scc0 .LBB7_17
; %bb.14:                               ;   in Loop: Header=BB7_9 Depth=1
	s_add_i32 s1, s14, s20
	s_mov_b32 s5, s12
	s_lshl_b32 s1, s1, 6
	s_mov_b32 s15, s16
	s_add_i32 s4, s1, s17
	s_mul_hi_u32 s1, s0, s8
	s_lshl_b64 s[4:5], s[4:5], 3
	s_delay_alu instid0(SALU_CYCLE_1) | instskip(SKIP_2) | instid1(SALU_CYCLE_1)
	s_add_u32 s4, s2, s4
	s_addc_u32 s5, s3, s5
	s_add_i32 s1, s1, s0
	s_lshr_b32 s1, s1, s9
	s_delay_alu instid0(SALU_CYCLE_1) | instskip(NEXT) | instid1(SALU_CYCLE_1)
	s_mul_i32 s13, s1, s10
	s_cmp_eq_u32 s13, s0
	s_cselect_b32 s13, -1, 0
	s_cmp_lt_u32 s1, s11
	s_cselect_b32 s1, -1, 0
	s_delay_alu instid0(SALU_CYCLE_1)
	s_or_b32 s1, s1, s13
	s_mov_b32 s13, -1
	s_and_b32 vcc_lo, exec_lo, s1
	s_mov_b32 s1, s14
	s_cbranch_vccnz .LBB7_16
; %bb.15:                               ;   in Loop: Header=BB7_9 Depth=1
	s_add_i32 s1, s14, -1
	s_mov_b32 s13, 0
	s_mov_b32 s15, s0
.LBB7_16:                               ;   in Loop: Header=BB7_9 Depth=1
	v_lshl_add_u32 v9, s14, 12, v0
	s_load_b64 s[4:5], s[4:5], 0x0
	s_delay_alu instid0(VALU_DEP_1) | instskip(NEXT) | instid1(VALU_DEP_1)
	v_ashrrev_i32_e32 v10, 31, v9
	v_lshlrev_b64 v[9:10], 2, v[9:10]
	s_delay_alu instid0(VALU_DEP_1) | instskip(NEXT) | instid1(VALU_DEP_2)
	v_add_co_u32 v9, vcc_lo, s18, v9
	v_add_co_ci_u32_e32 v10, vcc_lo, s19, v10, vcc_lo
	s_waitcnt lgkmcnt(0)
	v_max_f32_e64 v11, s4, s4
	global_load_b32 v10, v[9:10], off
	v_max_f32_e32 v9, v8, v8
	s_delay_alu instid0(VALU_DEP_1) | instskip(NEXT) | instid1(VALU_DEP_1)
	v_max_f32_e32 v9, v9, v11
	v_sub_f32_e32 v12, v8, v9
	s_delay_alu instid0(VALU_DEP_1) | instskip(NEXT) | instid1(VALU_DEP_1)
	v_dual_mul_f32 v14, 0x3fb8aa3b, v12 :: v_dual_sub_f32 v11, s4, v9
	v_rndne_f32_e32 v18, v14
	s_delay_alu instid0(VALU_DEP_2) | instskip(SKIP_2) | instid1(VALU_DEP_4)
	v_mul_f32_e32 v13, 0x3fb8aa3b, v11
	v_fma_f32 v17, 0x3fb8aa3b, v12, -v14
	v_cmp_ngt_f32_e32 vcc_lo, 0xc2ce8ed0, v11
	v_sub_f32_e32 v14, v14, v18
	s_delay_alu instid0(VALU_DEP_4) | instskip(SKIP_2) | instid1(VALU_DEP_3)
	v_fma_f32 v15, 0x3fb8aa3b, v11, -v13
	v_rndne_f32_e32 v16, v13
	v_fmac_f32_e32 v17, 0x32a5705f, v12
	v_fmac_f32_e32 v15, 0x32a5705f, v11
	s_delay_alu instid0(VALU_DEP_2) | instskip(NEXT) | instid1(VALU_DEP_1)
	v_dual_sub_f32 v13, v13, v16 :: v_dual_add_f32 v14, v14, v17
	v_add_f32_e32 v13, v13, v15
	s_delay_alu instid0(VALU_DEP_2) | instskip(SKIP_2) | instid1(VALU_DEP_3)
	v_exp_f32_e32 v14, v14
	v_cvt_i32_f32_e32 v15, v16
	v_cvt_i32_f32_e32 v16, v18
	v_exp_f32_e32 v13, v13
	s_waitcnt_depctr 0xfff
	v_ldexp_f32 v14, v14, v16
	v_ldexp_f32 v13, v13, v15
	s_delay_alu instid0(VALU_DEP_1) | instskip(SKIP_1) | instid1(VALU_DEP_4)
	v_cndmask_b32_e32 v13, 0, v13, vcc_lo
	v_cmp_ngt_f32_e32 vcc_lo, 0xc2ce8ed0, v12
	v_cndmask_b32_e32 v14, 0, v14, vcc_lo
	v_cmp_nlt_f32_e32 vcc_lo, 0x42b17218, v11
	s_delay_alu instid0(VALU_DEP_4) | instskip(SKIP_1) | instid1(VALU_DEP_4)
	v_cndmask_b32_e32 v13, 0x7f800000, v13, vcc_lo
	v_cmp_nlt_f32_e32 vcc_lo, 0x42b17218, v12
	v_cndmask_b32_e32 v14, 0x7f800000, v14, vcc_lo
	v_cmp_le_f32_e32 vcc_lo, 0xc1a00000, v11
	s_delay_alu instid0(VALU_DEP_4) | instskip(SKIP_1) | instid1(VALU_DEP_4)
	v_cndmask_b32_e32 v11, 0, v13, vcc_lo
	v_cmp_le_f32_e32 vcc_lo, 0xc1a00000, v12
	v_cndmask_b32_e32 v12, 0, v14, vcc_lo
	s_waitcnt vmcnt(0)
	s_delay_alu instid0(VALU_DEP_3) | instskip(NEXT) | instid1(VALU_DEP_1)
	v_mul_f32_e32 v10, v10, v11
	v_dual_mul_f32 v11, s5, v11 :: v_dual_fmac_f32 v10, v3, v12
	s_delay_alu instid0(VALU_DEP_1)
	v_fmac_f32_e32 v11, v7, v12
	s_cbranch_execz .LBB7_18
	s_branch .LBB7_19
.LBB7_17:                               ;   in Loop: Header=BB7_9 Depth=1
                                        ; implicit-def: $sgpr13
                                        ; implicit-def: $vgpr10
                                        ; implicit-def: $vgpr9
                                        ; implicit-def: $vgpr11
                                        ; implicit-def: $sgpr1
                                        ; implicit-def: $sgpr15
.LBB7_18:                               ;   in Loop: Header=BB7_9 Depth=1
	v_mov_b32_e32 v11, v7
	s_waitcnt vmcnt(0)
	v_dual_mov_b32 v9, v8 :: v_dual_mov_b32 v10, v3
	s_add_i32 s1, s14, -1
	s_mov_b32 s13, 0
	s_mov_b32 s15, s16
.LBB7_19:                               ;   in Loop: Header=BB7_9 Depth=1
	s_and_not1_b32 vcc_lo, exec_lo, s13
	s_cbranch_vccz .LBB7_23
; %bb.20:                               ;   in Loop: Header=BB7_9 Depth=1
	v_dual_mov_b32 v7, v11 :: v_dual_mov_b32 v8, v9
	s_waitcnt vmcnt(0)
	v_mov_b32_e32 v3, v10
	s_mov_b32 s16, s15
	s_mov_b32 s14, s1
	s_branch .LBB7_9
.LBB7_21:
                                        ; implicit-def: $sgpr16_sgpr17
	s_load_b128 s[8:11], s[0:1], 0x44
	s_branch .LBB7_2
.LBB7_22:
                                        ; implicit-def: $sgpr18_sgpr19
	s_branch .LBB7_5
.LBB7_23:
	v_div_scale_f32 v0, null, v11, v11, v10
	s_waitcnt vmcnt(0)
	s_delay_alu instid0(VALU_DEP_1) | instskip(SKIP_2) | instid1(VALU_DEP_1)
	v_rcp_f32_e32 v3, v0
	s_waitcnt_depctr 0xfff
	v_fma_f32 v4, -v0, v3, 1.0
	v_fmac_f32_e32 v3, v4, v3
	v_div_scale_f32 v4, vcc_lo, v10, v11, v10
	s_delay_alu instid0(VALU_DEP_1) | instskip(NEXT) | instid1(VALU_DEP_1)
	v_mul_f32_e32 v5, v4, v3
	v_fma_f32 v6, -v0, v5, v4
	s_delay_alu instid0(VALU_DEP_1) | instskip(NEXT) | instid1(VALU_DEP_1)
	v_fmac_f32_e32 v5, v6, v3
	v_fma_f32 v0, -v0, v5, v4
	s_delay_alu instid0(VALU_DEP_1) | instskip(NEXT) | instid1(VALU_DEP_1)
	v_div_fmas_f32 v0, v0, v3, v5
	v_div_fixup_f32 v0, v0, v11, v10
	global_store_b32 v[1:2], v0, off
.LBB7_24:
	s_nop 0
	s_sendmsg sendmsg(MSG_DEALLOC_VGPRS)
	s_endpgm
	.section	.rodata,"a",@progbits
	.p2align	6, 0x0
	.amdhsa_kernel _ZL33flash_attn_stream_k_fixup_generalILi64ELi16ELi4EEvPfPK15HIP_vector_typeIfLj2EEiiiiS1_IjLj3EES5_S5_S5_
		.amdhsa_group_segment_fixed_size 0
		.amdhsa_private_segment_fixed_size 0
		.amdhsa_kernarg_size 336
		.amdhsa_user_sgpr_count 13
		.amdhsa_user_sgpr_dispatch_ptr 0
		.amdhsa_user_sgpr_queue_ptr 0
		.amdhsa_user_sgpr_kernarg_segment_ptr 1
		.amdhsa_user_sgpr_dispatch_id 0
		.amdhsa_user_sgpr_private_segment_size 0
		.amdhsa_wavefront_size32 1
		.amdhsa_uses_dynamic_stack 0
		.amdhsa_enable_private_segment 0
		.amdhsa_system_sgpr_workgroup_id_x 1
		.amdhsa_system_sgpr_workgroup_id_y 1
		.amdhsa_system_sgpr_workgroup_id_z 1
		.amdhsa_system_sgpr_workgroup_info 0
		.amdhsa_system_vgpr_workitem_id 0
		.amdhsa_next_free_vgpr 19
		.amdhsa_next_free_sgpr 32
		.amdhsa_reserve_vcc 1
		.amdhsa_float_round_mode_32 0
		.amdhsa_float_round_mode_16_64 0
		.amdhsa_float_denorm_mode_32 3
		.amdhsa_float_denorm_mode_16_64 3
		.amdhsa_dx10_clamp 1
		.amdhsa_ieee_mode 1
		.amdhsa_fp16_overflow 0
		.amdhsa_workgroup_processor_mode 1
		.amdhsa_memory_ordered 1
		.amdhsa_forward_progress 0
		.amdhsa_shared_vgpr_count 0
		.amdhsa_exception_fp_ieee_invalid_op 0
		.amdhsa_exception_fp_denorm_src 0
		.amdhsa_exception_fp_ieee_div_zero 0
		.amdhsa_exception_fp_ieee_overflow 0
		.amdhsa_exception_fp_ieee_underflow 0
		.amdhsa_exception_fp_ieee_inexact 0
		.amdhsa_exception_int_div_zero 0
	.end_amdhsa_kernel
	.section	.text._ZL33flash_attn_stream_k_fixup_generalILi64ELi16ELi4EEvPfPK15HIP_vector_typeIfLj2EEiiiiS1_IjLj3EES5_S5_S5_,"axG",@progbits,_ZL33flash_attn_stream_k_fixup_generalILi64ELi16ELi4EEvPfPK15HIP_vector_typeIfLj2EEiiiiS1_IjLj3EES5_S5_S5_,comdat
.Lfunc_end7:
	.size	_ZL33flash_attn_stream_k_fixup_generalILi64ELi16ELi4EEvPfPK15HIP_vector_typeIfLj2EEiiiiS1_IjLj3EES5_S5_S5_, .Lfunc_end7-_ZL33flash_attn_stream_k_fixup_generalILi64ELi16ELi4EEvPfPK15HIP_vector_typeIfLj2EEiiiiS1_IjLj3EES5_S5_S5_
                                        ; -- End function
	.section	.AMDGPU.csdata,"",@progbits
; Kernel info:
; codeLenInByte = 3224
; NumSgprs: 34
; NumVgprs: 19
; ScratchSize: 0
; MemoryBound: 0
; FloatMode: 240
; IeeeMode: 1
; LDSByteSize: 0 bytes/workgroup (compile time only)
; SGPRBlocks: 4
; VGPRBlocks: 2
; NumSGPRsForWavesPerEU: 34
; NumVGPRsForWavesPerEU: 19
; Occupancy: 16
; WaveLimiterHint : 0
; COMPUTE_PGM_RSRC2:SCRATCH_EN: 0
; COMPUTE_PGM_RSRC2:USER_SGPR: 13
; COMPUTE_PGM_RSRC2:TRAP_HANDLER: 0
; COMPUTE_PGM_RSRC2:TGID_X_EN: 1
; COMPUTE_PGM_RSRC2:TGID_Y_EN: 1
; COMPUTE_PGM_RSRC2:TGID_Z_EN: 1
; COMPUTE_PGM_RSRC2:TIDIG_COMP_CNT: 0
	.section	.text._ZL26flash_attn_combine_resultsILi64EEvPKfPK15HIP_vector_typeIfLj2EEPfi,"axG",@progbits,_ZL26flash_attn_combine_resultsILi64EEvPKfPK15HIP_vector_typeIfLj2EEPfi,comdat
	.globl	_ZL26flash_attn_combine_resultsILi64EEvPKfPK15HIP_vector_typeIfLj2EEPfi ; -- Begin function _ZL26flash_attn_combine_resultsILi64EEvPKfPK15HIP_vector_typeIfLj2EEPfi
	.p2align	8
	.type	_ZL26flash_attn_combine_resultsILi64EEvPKfPK15HIP_vector_typeIfLj2EEPfi,@function
_ZL26flash_attn_combine_resultsILi64EEvPKfPK15HIP_vector_typeIfLj2EEPfi: ; @_ZL26flash_attn_combine_resultsILi64EEvPKfPK15HIP_vector_typeIfLj2EEPfi
; %bb.0:
	s_clause 0x3
	s_load_b64 s[2:3], s[0:1], 0x20
	s_load_b32 s11, s[0:1], 0x18
	s_load_b128 s[4:7], s[0:1], 0x0
	s_load_b64 s[8:9], s[0:1], 0x10
	v_lshlrev_b32_e32 v5, 2, v0
	s_mov_b32 s12, exec_lo
	s_waitcnt lgkmcnt(0)
	s_mul_i32 s0, s2, s15
	s_lshl_b32 s1, s11, 1
	s_add_i32 s0, s0, s13
	s_delay_alu instid0(SALU_CYCLE_1) | instskip(NEXT) | instid1(SALU_CYCLE_1)
	s_mul_i32 s10, s0, s3
	s_add_i32 s10, s10, s14
	s_delay_alu instid0(SALU_CYCLE_1)
	s_mul_i32 s2, s10, s11
	v_cmpx_gt_i32_e64 s1, v0
	s_cbranch_execz .LBB8_3
; %bb.1:
	s_ashr_i32 s3, s2, 31
	v_dual_mov_b32 v4, v0 :: v_dual_add_nc_u32 v3, 0, v5
	s_lshl_b64 s[14:15], s[2:3], 3
	s_delay_alu instid0(SALU_CYCLE_1) | instskip(SKIP_2) | instid1(VALU_DEP_1)
	s_add_u32 s0, s6, s14
	s_addc_u32 s3, s7, s15
	v_add_co_u32 v1, s0, s0, v5
	v_add_co_ci_u32_e64 v2, null, s3, 0, s0
	s_mov_b32 s3, 0
.LBB8_2:                                ; =>This Inner Loop Header: Depth=1
	global_load_b32 v6, v[1:2], off
	v_add_nc_u32_e32 v4, 64, v4
	v_add_co_u32 v1, vcc_lo, 0x100, v1
	v_add_co_ci_u32_e32 v2, vcc_lo, 0, v2, vcc_lo
	s_delay_alu instid0(VALU_DEP_3) | instskip(NEXT) | instid1(VALU_DEP_1)
	v_cmp_le_i32_e64 s0, s1, v4
	s_or_b32 s3, s0, s3
	s_waitcnt vmcnt(0)
	ds_store_b32 v3, v6
	v_add_nc_u32_e32 v3, 0x100, v3
	s_and_not1_b32 exec_lo, exec_lo, s3
	s_cbranch_execnz .LBB8_2
.LBB8_3:
	s_or_b32 exec_lo, exec_lo, s12
	v_mov_b32_e32 v1, 0
	s_waitcnt lgkmcnt(0)
	s_barrier
	buffer_gl0_inv
	s_cmp_lt_i32 s11, 2
	ds_load_b32 v6, v1
	s_cbranch_scc1 .LBB8_11
; %bb.4:
	s_add_i32 s1, s11, -2
	s_add_i32 s0, s11, -1
	s_cmp_lt_u32 s1, 7
	s_cbranch_scc1 .LBB8_8
; %bb.5:
	s_mov_b32 s3, 0
	s_add_i32 s1, 0, 8
	s_and_b32 s6, s0, -8
	.p2align	6
.LBB8_6:                                ; =>This Inner Loop Header: Depth=1
	v_mov_b32_e32 v9, s1
	s_mov_b32 s7, s3
	s_add_i32 s3, s3, 8
	s_add_i32 s1, s1, 64
	s_cmp_eq_u32 s6, s3
	ds_load_2addr_b32 v[1:2], v9 offset1:2
	ds_load_2addr_b32 v[3:4], v9 offset0:4 offset1:6
	ds_load_2addr_b32 v[7:8], v9 offset0:8 offset1:10
	;; [unrolled: 1-line block ×3, first 2 shown]
	s_waitcnt lgkmcnt(3)
	v_max3_f32 v1, v6, v1, v2
	s_waitcnt lgkmcnt(2)
	s_delay_alu instid0(VALU_DEP_1) | instskip(SKIP_1) | instid1(VALU_DEP_1)
	v_max3_f32 v1, v1, v3, v4
	s_waitcnt lgkmcnt(1)
	v_max3_f32 v1, v1, v7, v8
	s_waitcnt lgkmcnt(0)
	s_delay_alu instid0(VALU_DEP_1)
	v_max3_f32 v6, v1, v9, v10
	s_cbranch_scc0 .LBB8_6
; %bb.7:
	s_add_i32 s1, s7, 9
	s_and_b32 s0, s0, 7
	s_delay_alu instid0(SALU_CYCLE_1)
	s_cmp_eq_u32 s0, 0
	s_cbranch_scc0 .LBB8_9
	s_branch .LBB8_11
.LBB8_8:
	s_mov_b32 s1, 1
	s_and_b32 s0, s0, 7
	s_delay_alu instid0(SALU_CYCLE_1)
	s_cmp_eq_u32 s0, 0
	s_cbranch_scc1 .LBB8_11
.LBB8_9:
	s_lshl_b32 s1, s1, 3
	s_delay_alu instid0(SALU_CYCLE_1)
	s_add_i32 s1, s1, 0
.LBB8_10:                               ; =>This Inner Loop Header: Depth=1
	s_waitcnt lgkmcnt(0)
	s_delay_alu instid0(VALU_DEP_1)
	v_dual_mov_b32 v1, s1 :: v_dual_max_f32 v2, v6, v6
	s_add_i32 s0, s0, -1
	s_add_i32 s1, s1, 8
	s_cmp_lg_u32 s0, 0
	ds_load_b32 v1, v1
	s_waitcnt lgkmcnt(0)
	v_max_f32_e32 v1, v1, v1
	s_delay_alu instid0(VALU_DEP_1)
	v_max_f32_e32 v6, v2, v1
	s_cbranch_scc1 .LBB8_10
.LBB8_11:
	s_cmp_lt_i32 s11, 1
	s_cbranch_scc1 .LBB8_16
; %bb.12:
	s_lshl_b32 s0, s2, 6
	v_mov_b32_e32 v7, 0
	s_ashr_i32 s1, s0, 31
	s_mov_b32 s13, 0
	s_lshl_b64 s[0:1], s[0:1], 2
	s_delay_alu instid0(SALU_CYCLE_1)
	s_add_u32 s6, s4, s0
	s_addc_u32 s7, s5, s1
	s_cmp_lt_u32 s11, 8
	s_cbranch_scc1 .LBB8_17
; %bb.13:
	v_or_b32_e32 v1, 0x1c0, v0
	v_dual_mov_b32 v4, 0 :: v_dual_mov_b32 v7, 0
	v_mov_b32_e32 v8, 0
	s_and_b32 s12, s11, 0x7ffffff8
	s_mov_b32 s14, 0
.LBB8_14:                               ; =>This Inner Loop Header: Depth=1
	s_delay_alu instid0(VALU_DEP_2) | instskip(SKIP_3) | instid1(VALU_DEP_2)
	v_dual_mov_b32 v2, v4 :: v_dual_add_nc_u32 v3, 0xfffffe40, v1
	v_mov_b32_e32 v21, s13
	s_add_i32 s14, s14, 8
	s_add_i32 s13, s13, 64
	v_lshlrev_b64 v[9:10], 2, v[3:4]
	v_add_nc_u32_e32 v3, 0xfffffe80, v1
	v_lshlrev_b64 v[11:12], 2, v[1:2]
	s_cmp_eq_u32 s12, s14
	s_delay_alu instid0(VALU_DEP_2) | instskip(NEXT) | instid1(VALU_DEP_4)
	v_lshlrev_b64 v[13:14], 2, v[3:4]
	v_add_co_u32 v9, vcc_lo, s6, v9
	v_add_co_ci_u32_e32 v10, vcc_lo, s7, v10, vcc_lo
	v_add_nc_u32_e32 v3, 0xfffffec0, v1
	s_delay_alu instid0(VALU_DEP_4)
	v_add_co_u32 v13, vcc_lo, s6, v13
	global_load_b32 v25, v[9:10], off
	v_add_co_ci_u32_e32 v14, vcc_lo, s7, v14, vcc_lo
	v_lshlrev_b64 v[15:16], 2, v[3:4]
	v_add_nc_u32_e32 v3, 0xffffff00, v1
	global_load_b32 v26, v[13:14], off
	v_lshlrev_b64 v[9:10], 2, v[3:4]
	v_add_nc_u32_e32 v3, 0xffffff40, v1
	v_add_co_u32 v13, vcc_lo, s6, v15
	v_add_co_ci_u32_e32 v14, vcc_lo, s7, v16, vcc_lo
	s_delay_alu instid0(VALU_DEP_4) | instskip(NEXT) | instid1(VALU_DEP_4)
	v_add_co_u32 v9, vcc_lo, s6, v9
	v_lshlrev_b64 v[15:16], 2, v[3:4]
	v_add_nc_u32_e32 v3, 0xffffff80, v1
	v_add_co_ci_u32_e32 v10, vcc_lo, s7, v10, vcc_lo
	s_clause 0x1
	global_load_b32 v27, v[13:14], off
	global_load_b32 v28, v[9:10], off
	v_lshlrev_b64 v[13:14], 2, v[3:4]
	v_subrev_nc_u32_e32 v3, 64, v1
	v_add_co_u32 v9, vcc_lo, s6, v15
	v_add_co_ci_u32_e32 v10, vcc_lo, s7, v16, vcc_lo
	s_delay_alu instid0(VALU_DEP_4) | instskip(NEXT) | instid1(VALU_DEP_4)
	v_add_co_u32 v13, vcc_lo, s6, v13
	v_lshlrev_b64 v[2:3], 2, v[3:4]
	v_add_co_ci_u32_e32 v14, vcc_lo, s7, v14, vcc_lo
	s_clause 0x1
	global_load_b32 v29, v[9:10], off
	global_load_b32 v30, v[13:14], off
	v_add_co_u32 v2, vcc_lo, s6, v2
	v_add_co_ci_u32_e32 v3, vcc_lo, s7, v3, vcc_lo
	v_add_co_u32 v9, vcc_lo, s6, v11
	v_add_co_ci_u32_e32 v10, vcc_lo, s7, v12, vcc_lo
	s_clause 0x1
	global_load_b32 v2, v[2:3], off
	global_load_b32 v3, v[9:10], off
	ds_load_2addr_b64 v[9:12], v21 offset1:1
	ds_load_2addr_b64 v[13:16], v21 offset0:2 offset1:3
	ds_load_2addr_b64 v[17:20], v21 offset0:4 offset1:5
	;; [unrolled: 1-line block ×3, first 2 shown]
	v_add_nc_u32_e32 v1, 0x200, v1
	s_waitcnt lgkmcnt(1)
	v_sub_f32_e32 v19, v19, v6
	v_sub_f32_e32 v11, v11, v6
	s_waitcnt lgkmcnt(0)
	v_sub_f32_e32 v23, v23, v6
	s_delay_alu instid0(VALU_DEP_3) | instskip(NEXT) | instid1(VALU_DEP_3)
	v_dual_sub_f32 v13, v13, v6 :: v_dual_mul_f32 v36, 0x3fb8aa3b, v19
	v_mul_f32_e32 v32, 0x3fb8aa3b, v11
	s_delay_alu instid0(VALU_DEP_2) | instskip(SKIP_1) | instid1(VALU_DEP_4)
	v_dual_mul_f32 v38, 0x3fb8aa3b, v23 :: v_dual_mul_f32 v33, 0x3fb8aa3b, v13
	v_cmp_ngt_f32_e32 vcc_lo, 0xc2ce8ed0, v13
	v_fma_f32 v49, 0x3fb8aa3b, v19, -v36
	s_delay_alu instid0(VALU_DEP_4) | instskip(SKIP_4) | instid1(VALU_DEP_4)
	v_fma_f32 v41, 0x3fb8aa3b, v11, -v32
	v_rndne_f32_e32 v42, v32
	v_fma_f32 v43, 0x3fb8aa3b, v13, -v33
	v_rndne_f32_e32 v44, v33
	v_rndne_f32_e32 v54, v38
	v_dual_fmac_f32 v41, 0x32a5705f, v11 :: v_dual_sub_f32 v32, v32, v42
	v_sub_f32_e32 v15, v15, v6
	v_fmac_f32_e32 v43, 0x32a5705f, v13
	v_sub_f32_e32 v33, v33, v44
	v_cvt_i32_f32_e32 v42, v42
	v_dual_add_f32 v32, v32, v41 :: v_dual_sub_f32 v9, v9, v6
	v_mul_f32_e32 v34, 0x3fb8aa3b, v15
	s_delay_alu instid0(VALU_DEP_4) | instskip(SKIP_1) | instid1(VALU_DEP_4)
	v_add_f32_e32 v33, v33, v43
	v_cvt_i32_f32_e32 v44, v44
	v_exp_f32_e32 v32, v32
	v_mul_f32_e32 v31, 0x3fb8aa3b, v9
	v_fma_f32 v45, 0x3fb8aa3b, v15, -v34
	v_rndne_f32_e32 v46, v34
	v_exp_f32_e32 v33, v33
	v_cmp_ngt_f32_e64 s5, 0xc2ce8ed0, v9
	v_fma_f32 v39, 0x3fb8aa3b, v9, -v31
	v_rndne_f32_e32 v40, v31
	v_dual_fmac_f32 v45, 0x32a5705f, v15 :: v_dual_sub_f32 v34, v34, v46
	v_sub_f32_e32 v17, v17, v6
	s_delay_alu instid0(VALU_DEP_4) | instskip(NEXT) | instid1(VALU_DEP_4)
	v_fmac_f32_e32 v39, 0x32a5705f, v9
	v_sub_f32_e32 v31, v31, v40
	v_cvt_i32_f32_e32 v40, v40
	v_add_f32_e32 v34, v34, v45
	v_ldexp_f32 v32, v32, v42
	v_ldexp_f32 v33, v33, v44
	v_add_f32_e32 v31, v31, v39
	v_cvt_i32_f32_e32 v46, v46
	v_exp_f32_e32 v34, v34
	v_cmp_ngt_f32_e64 s0, 0xc2ce8ed0, v15
	v_cmp_ngt_f32_e64 s1, 0xc2ce8ed0, v17
	v_exp_f32_e32 v31, v31
	v_rndne_f32_e32 v50, v36
	s_delay_alu instid0(VALU_DEP_1)
	v_dual_fmac_f32 v49, 0x32a5705f, v19 :: v_dual_sub_f32 v36, v36, v50
	s_waitcnt_depctr 0xfff
	v_ldexp_f32 v34, v34, v46
	v_cvt_i32_f32_e32 v50, v50
	v_ldexp_f32 v31, v31, v40
	v_add_f32_e32 v36, v36, v49
	v_cmp_ngt_f32_e64 s2, 0xc2ce8ed0, v19
	s_delay_alu instid0(VALU_DEP_3) | instskip(SKIP_1) | instid1(VALU_DEP_4)
	v_cndmask_b32_e64 v31, 0, v31, s5
	v_cmp_ngt_f32_e64 s5, 0xc2ce8ed0, v11
	v_exp_f32_e32 v36, v36
	s_delay_alu instid0(VALU_DEP_1) | instskip(SKIP_1) | instid1(VALU_DEP_1)
	v_cndmask_b32_e64 v32, 0, v32, s5
	v_cmp_nlt_f32_e64 s5, 0x42b17218, v9
	v_cndmask_b32_e64 v9, 0x7f800000, v31, s5
	v_cndmask_b32_e32 v31, 0, v33, vcc_lo
	v_cmp_nlt_f32_e32 vcc_lo, 0x42b17218, v11
	s_waitcnt_depctr 0xfff
	v_ldexp_f32 v36, v36, v50
	v_dual_fmac_f32 v8, v9, v10 :: v_dual_cndmask_b32 v11, 0x7f800000, v32
	v_cmp_nlt_f32_e32 vcc_lo, 0x42b17218, v13
	s_delay_alu instid0(VALU_DEP_2)
	v_fmac_f32_e32 v8, v11, v12
	v_cndmask_b32_e32 v10, 0x7f800000, v31, vcc_lo
	v_cmp_nlt_f32_e32 vcc_lo, 0x42b17218, v15
	v_fma_f32 v53, 0x3fb8aa3b, v23, -v38
	v_sub_f32_e32 v38, v38, v54
	v_cvt_i32_f32_e32 v54, v54
	v_fmac_f32_e32 v8, v10, v14
	v_cmp_ngt_f32_e64 s4, 0xc2ce8ed0, v23
	v_fmac_f32_e32 v53, 0x32a5705f, v23
	s_delay_alu instid0(VALU_DEP_1) | instskip(NEXT) | instid1(VALU_DEP_1)
	v_dual_sub_f32 v21, v21, v6 :: v_dual_add_f32 v38, v38, v53
	v_cmp_ngt_f32_e64 s3, 0xc2ce8ed0, v21
	s_delay_alu instid0(VALU_DEP_2)
	v_exp_f32_e32 v38, v38
	s_waitcnt_depctr 0xfff
	v_ldexp_f32 v38, v38, v54
	s_waitcnt vmcnt(7)
	v_fmac_f32_e32 v7, v25, v9
	v_cndmask_b32_e64 v9, 0, v34, s0
	s_delay_alu instid0(VALU_DEP_1)
	v_cndmask_b32_e32 v9, 0x7f800000, v9, vcc_lo
	v_mul_f32_e32 v35, 0x3fb8aa3b, v17
	s_waitcnt vmcnt(6)
	v_fmac_f32_e32 v7, v26, v11
	v_cmp_nlt_f32_e32 vcc_lo, 0x42b17218, v17
	v_fmac_f32_e32 v8, v9, v16
	v_fma_f32 v47, 0x3fb8aa3b, v17, -v35
	v_rndne_f32_e32 v48, v35
	s_delay_alu instid0(VALU_DEP_2) | instskip(NEXT) | instid1(VALU_DEP_2)
	v_fmac_f32_e32 v47, 0x32a5705f, v17
	v_sub_f32_e32 v35, v35, v48
	v_cvt_i32_f32_e32 v48, v48
	s_waitcnt vmcnt(5)
	v_fmac_f32_e32 v7, v27, v10
	v_cndmask_b32_e64 v10, 0, v36, s2
	v_add_f32_e32 v35, v35, v47
	s_waitcnt vmcnt(4)
	s_delay_alu instid0(VALU_DEP_3) | instskip(NEXT) | instid1(VALU_DEP_2)
	v_fmac_f32_e32 v7, v28, v9
	v_exp_f32_e32 v35, v35
	s_waitcnt_depctr 0xfff
	v_ldexp_f32 v35, v35, v48
	s_delay_alu instid0(VALU_DEP_1) | instskip(NEXT) | instid1(VALU_DEP_1)
	v_cndmask_b32_e64 v11, 0, v35, s1
	v_cndmask_b32_e32 v11, 0x7f800000, v11, vcc_lo
	v_mul_f32_e32 v37, 0x3fb8aa3b, v21
	v_cmp_nlt_f32_e32 vcc_lo, 0x42b17218, v19
	s_delay_alu instid0(VALU_DEP_3) | instskip(NEXT) | instid1(VALU_DEP_3)
	v_fmac_f32_e32 v8, v11, v18
	v_fma_f32 v51, 0x3fb8aa3b, v21, -v37
	v_rndne_f32_e32 v52, v37
	s_waitcnt vmcnt(3)
	v_dual_cndmask_b32 v10, 0x7f800000, v10 :: v_dual_fmac_f32 v7, v29, v11
	v_cmp_nlt_f32_e32 vcc_lo, 0x42b17218, v21
	v_fmac_f32_e32 v51, 0x32a5705f, v21
	v_sub_f32_e32 v37, v37, v52
	v_cvt_i32_f32_e32 v52, v52
	v_cndmask_b32_e64 v11, 0, v38, s4
	v_fmac_f32_e32 v8, v10, v20
	s_waitcnt vmcnt(2)
	v_fmac_f32_e32 v7, v30, v10
	v_add_f32_e32 v37, v37, v51
	s_delay_alu instid0(VALU_DEP_1) | instskip(SKIP_2) | instid1(VALU_DEP_1)
	v_exp_f32_e32 v37, v37
	s_waitcnt_depctr 0xfff
	v_ldexp_f32 v37, v37, v52
	v_cndmask_b32_e64 v9, 0, v37, s3
	s_delay_alu instid0(VALU_DEP_1) | instskip(SKIP_1) | instid1(VALU_DEP_2)
	v_cndmask_b32_e32 v9, 0x7f800000, v9, vcc_lo
	v_cmp_nlt_f32_e32 vcc_lo, 0x42b17218, v23
	v_fmac_f32_e32 v8, v9, v22
	s_waitcnt vmcnt(1)
	v_dual_cndmask_b32 v10, 0x7f800000, v11 :: v_dual_fmac_f32 v7, v2, v9
	s_waitcnt vmcnt(0)
	s_delay_alu instid0(VALU_DEP_1)
	v_dual_fmac_f32 v8, v10, v24 :: v_dual_fmac_f32 v7, v3, v10
	s_cbranch_scc0 .LBB8_14
; %bb.15:
	s_and_b32 s0, s11, 7
	s_delay_alu instid0(SALU_CYCLE_1)
	s_cmp_eq_u32 s0, 0
	s_cbranch_scc0 .LBB8_18
	s_branch .LBB8_20
.LBB8_16:
	v_mov_b32_e32 v0, 0x7fc00000
	s_branch .LBB8_21
.LBB8_17:
	v_mov_b32_e32 v8, 0
	s_mov_b32 s12, 0
	s_and_b32 s0, s11, 7
	s_delay_alu instid0(SALU_CYCLE_1)
	s_cmp_eq_u32 s0, 0
	s_cbranch_scc1 .LBB8_20
.LBB8_18:
	v_lshl_or_b32 v0, s12, 6, v0
	v_mov_b32_e32 v1, 0
	s_lshl_b32 s1, s12, 3
	s_delay_alu instid0(SALU_CYCLE_1)
	s_add_i32 s1, s1, 0
	s_set_inst_prefetch_distance 0x1
	.p2align	6
.LBB8_19:                               ; =>This Inner Loop Header: Depth=1
	s_delay_alu instid0(VALU_DEP_1) | instskip(SKIP_2) | instid1(VALU_DEP_2)
	v_lshlrev_b64 v[2:3], 2, v[0:1]
	s_add_i32 s0, s0, -1
	v_add_nc_u32_e32 v0, 64, v0
	v_add_co_u32 v2, vcc_lo, s6, v2
	s_delay_alu instid0(VALU_DEP_3)
	v_add_co_ci_u32_e32 v3, vcc_lo, s7, v3, vcc_lo
	global_load_b32 v4, v[2:3], off
	v_mov_b32_e32 v2, s1
	s_add_i32 s1, s1, 8
	s_cmp_lg_u32 s0, 0
	ds_load_b64 v[2:3], v2
	s_waitcnt lgkmcnt(0)
	v_sub_f32_e32 v2, v2, v6
	s_delay_alu instid0(VALU_DEP_1) | instskip(SKIP_1) | instid1(VALU_DEP_2)
	v_mul_f32_e32 v9, 0x3fb8aa3b, v2
	v_cmp_ngt_f32_e32 vcc_lo, 0xc2ce8ed0, v2
	v_fma_f32 v10, 0x3fb8aa3b, v2, -v9
	v_rndne_f32_e32 v11, v9
	s_delay_alu instid0(VALU_DEP_1) | instskip(NEXT) | instid1(VALU_DEP_1)
	v_dual_fmac_f32 v10, 0x32a5705f, v2 :: v_dual_sub_f32 v9, v9, v11
	v_add_f32_e32 v9, v9, v10
	v_cvt_i32_f32_e32 v10, v11
	s_delay_alu instid0(VALU_DEP_2) | instskip(SKIP_2) | instid1(VALU_DEP_1)
	v_exp_f32_e32 v9, v9
	s_waitcnt_depctr 0xfff
	v_ldexp_f32 v9, v9, v10
	v_cndmask_b32_e32 v9, 0, v9, vcc_lo
	v_cmp_nlt_f32_e32 vcc_lo, 0x42b17218, v2
	s_delay_alu instid0(VALU_DEP_2) | instskip(SKIP_1) | instid1(VALU_DEP_1)
	v_cndmask_b32_e32 v2, 0x7f800000, v9, vcc_lo
	s_waitcnt vmcnt(0)
	v_dual_fmac_f32 v8, v2, v3 :: v_dual_fmac_f32 v7, v4, v2
	s_cbranch_scc1 .LBB8_19
.LBB8_20:
	s_set_inst_prefetch_distance 0x2
	s_delay_alu instid0(VALU_DEP_1) | instskip(NEXT) | instid1(VALU_DEP_1)
	v_div_scale_f32 v0, null, v8, v8, v7
	v_rcp_f32_e32 v1, v0
	s_waitcnt_depctr 0xfff
	v_fma_f32 v2, -v0, v1, 1.0
	s_delay_alu instid0(VALU_DEP_1) | instskip(SKIP_1) | instid1(VALU_DEP_1)
	v_fmac_f32_e32 v1, v2, v1
	v_div_scale_f32 v2, vcc_lo, v7, v8, v7
	v_mul_f32_e32 v3, v2, v1
	s_delay_alu instid0(VALU_DEP_1) | instskip(NEXT) | instid1(VALU_DEP_1)
	v_fma_f32 v4, -v0, v3, v2
	v_fmac_f32_e32 v3, v4, v1
	s_delay_alu instid0(VALU_DEP_1) | instskip(NEXT) | instid1(VALU_DEP_1)
	v_fma_f32 v0, -v0, v3, v2
	v_div_fmas_f32 v0, v0, v1, v3
	s_delay_alu instid0(VALU_DEP_1)
	v_div_fixup_f32 v0, v0, v8, v7
.LBB8_21:
	s_lshl_b32 s0, s10, 6
	s_delay_alu instid0(SALU_CYCLE_1) | instskip(NEXT) | instid1(SALU_CYCLE_1)
	s_ashr_i32 s1, s0, 31
	s_lshl_b64 s[0:1], s[0:1], 2
	s_delay_alu instid0(SALU_CYCLE_1)
	s_add_u32 s0, s8, s0
	s_addc_u32 s1, s9, s1
	global_store_b32 v5, v0, s[0:1]
	s_nop 0
	s_sendmsg sendmsg(MSG_DEALLOC_VGPRS)
	s_endpgm
	.section	.rodata,"a",@progbits
	.p2align	6, 0x0
	.amdhsa_kernel _ZL26flash_attn_combine_resultsILi64EEvPKfPK15HIP_vector_typeIfLj2EEPfi
		.amdhsa_group_segment_fixed_size 0
		.amdhsa_private_segment_fixed_size 0
		.amdhsa_kernarg_size 288
		.amdhsa_user_sgpr_count 13
		.amdhsa_user_sgpr_dispatch_ptr 0
		.amdhsa_user_sgpr_queue_ptr 0
		.amdhsa_user_sgpr_kernarg_segment_ptr 1
		.amdhsa_user_sgpr_dispatch_id 0
		.amdhsa_user_sgpr_private_segment_size 0
		.amdhsa_wavefront_size32 1
		.amdhsa_uses_dynamic_stack 0
		.amdhsa_enable_private_segment 0
		.amdhsa_system_sgpr_workgroup_id_x 1
		.amdhsa_system_sgpr_workgroup_id_y 1
		.amdhsa_system_sgpr_workgroup_id_z 1
		.amdhsa_system_sgpr_workgroup_info 0
		.amdhsa_system_vgpr_workitem_id 0
		.amdhsa_next_free_vgpr 55
		.amdhsa_next_free_sgpr 16
		.amdhsa_reserve_vcc 1
		.amdhsa_float_round_mode_32 0
		.amdhsa_float_round_mode_16_64 0
		.amdhsa_float_denorm_mode_32 3
		.amdhsa_float_denorm_mode_16_64 3
		.amdhsa_dx10_clamp 1
		.amdhsa_ieee_mode 1
		.amdhsa_fp16_overflow 0
		.amdhsa_workgroup_processor_mode 1
		.amdhsa_memory_ordered 1
		.amdhsa_forward_progress 0
		.amdhsa_shared_vgpr_count 0
		.amdhsa_exception_fp_ieee_invalid_op 0
		.amdhsa_exception_fp_denorm_src 0
		.amdhsa_exception_fp_ieee_div_zero 0
		.amdhsa_exception_fp_ieee_overflow 0
		.amdhsa_exception_fp_ieee_underflow 0
		.amdhsa_exception_fp_ieee_inexact 0
		.amdhsa_exception_int_div_zero 0
	.end_amdhsa_kernel
	.section	.text._ZL26flash_attn_combine_resultsILi64EEvPKfPK15HIP_vector_typeIfLj2EEPfi,"axG",@progbits,_ZL26flash_attn_combine_resultsILi64EEvPKfPK15HIP_vector_typeIfLj2EEPfi,comdat
.Lfunc_end8:
	.size	_ZL26flash_attn_combine_resultsILi64EEvPKfPK15HIP_vector_typeIfLj2EEPfi, .Lfunc_end8-_ZL26flash_attn_combine_resultsILi64EEvPKfPK15HIP_vector_typeIfLj2EEPfi
                                        ; -- End function
	.section	.AMDGPU.csdata,"",@progbits
; Kernel info:
; codeLenInByte = 2344
; NumSgprs: 18
; NumVgprs: 55
; ScratchSize: 0
; MemoryBound: 0
; FloatMode: 240
; IeeeMode: 1
; LDSByteSize: 0 bytes/workgroup (compile time only)
; SGPRBlocks: 2
; VGPRBlocks: 6
; NumSGPRsForWavesPerEU: 18
; NumVGPRsForWavesPerEU: 55
; Occupancy: 16
; WaveLimiterHint : 0
; COMPUTE_PGM_RSRC2:SCRATCH_EN: 0
; COMPUTE_PGM_RSRC2:USER_SGPR: 13
; COMPUTE_PGM_RSRC2:TRAP_HANDLER: 0
; COMPUTE_PGM_RSRC2:TGID_X_EN: 1
; COMPUTE_PGM_RSRC2:TGID_Y_EN: 1
; COMPUTE_PGM_RSRC2:TGID_Z_EN: 1
; COMPUTE_PGM_RSRC2:TIDIG_COMP_CNT: 0
	.section	.text._ZL18flash_attn_ext_f16ILi80ELi80ELi16ELi4ELb0ELb0EEvPKcS1_S1_S1_S1_PKiPfP15HIP_vector_typeIfLj2EEffffjfiS5_IjLj3EEiiiiiiiiiiiliiliiiiil,"axG",@progbits,_ZL18flash_attn_ext_f16ILi80ELi80ELi16ELi4ELb0ELb0EEvPKcS1_S1_S1_S1_PKiPfP15HIP_vector_typeIfLj2EEffffjfiS5_IjLj3EEiiiiiiiiiiiliiliiiiil,comdat
	.globl	_ZL18flash_attn_ext_f16ILi80ELi80ELi16ELi4ELb0ELb0EEvPKcS1_S1_S1_S1_PKiPfP15HIP_vector_typeIfLj2EEffffjfiS5_IjLj3EEiiiiiiiiiiiliiliiiiil ; -- Begin function _ZL18flash_attn_ext_f16ILi80ELi80ELi16ELi4ELb0ELb0EEvPKcS1_S1_S1_S1_PKiPfP15HIP_vector_typeIfLj2EEffffjfiS5_IjLj3EEiiiiiiiiiiiliiliiiiil
	.p2align	8
	.type	_ZL18flash_attn_ext_f16ILi80ELi80ELi16ELi4ELb0ELb0EEvPKcS1_S1_S1_S1_PKiPfP15HIP_vector_typeIfLj2EEffffjfiS5_IjLj3EEiiiiiiiiiiiliiliiiiil,@function
_ZL18flash_attn_ext_f16ILi80ELi80ELi16ELi4ELb0ELb0EEvPKcS1_S1_S1_S1_PKiPfP15HIP_vector_typeIfLj2EEffffjfiS5_IjLj3EEiiiiiiiiiiiliiliiiiil: ; @_ZL18flash_attn_ext_f16ILi80ELi80ELi16ELi4ELb0ELb0EEvPKcS1_S1_S1_S1_PKiPfP15HIP_vector_typeIfLj2EEffffjfiS5_IjLj3EEiiiiiiiiiiiliiliiiiil
; %bb.0:
	s_clause 0x2
	s_load_b64 s[2:3], s[0:1], 0x80
	s_load_b128 s[44:47], s[0:1], 0x64
	; meta instruction
	s_load_b32 s20, s[0:1], 0xd0
	s_waitcnt lgkmcnt(0)
	s_abs_i32 s4, s3
	s_abs_i32 s7, s45
	v_cvt_f32_u32_e32 v1, s4
	s_sub_i32 s6, 0, s4
	v_cvt_f32_u32_e32 v2, s20
	s_delay_alu instid0(VALU_DEP_2) | instskip(SKIP_2) | instid1(VALU_DEP_1)
	v_rcp_iflag_f32_e32 v1, v1
	s_waitcnt_depctr 0xfff
	v_mul_f32_e32 v1, 0x4f7ffffe, v1
	v_cvt_u32_f32_e32 v1, v1
	s_delay_alu instid0(VALU_DEP_1) | instskip(SKIP_1) | instid1(VALU_DEP_2)
	v_readfirstlane_b32 s5, v1
	v_cvt_f32_ubyte0_e32 v1, 0
	s_mul_i32 s6, s6, s5
	s_delay_alu instid0(SALU_CYCLE_1) | instskip(NEXT) | instid1(SALU_CYCLE_1)
	s_mul_hi_u32 s6, s5, s6
	s_add_i32 s5, s5, s6
	s_xor_b32 s6, s45, s3
	s_mul_hi_u32 s5, s7, s5
	s_ashr_i32 s6, s6, 31
	s_mul_i32 s8, s5, s4
	s_delay_alu instid0(SALU_CYCLE_1)
	s_sub_i32 s7, s7, s8
	s_add_i32 s8, s5, 1
	s_sub_i32 s9, s7, s4
	s_cmp_ge_u32 s7, s4
	s_cselect_b32 s5, s8, s5
	s_cselect_b32 s7, s9, s7
	s_add_i32 s8, s5, 1
	s_cmp_ge_u32 s7, s4
	s_cselect_b32 s4, s8, s5
	s_add_i32 s2, s2, 63
	s_xor_b32 s4, s4, s6
	s_add_i32 s5, s44, 15
	s_ashr_i32 s7, s2, 31
	s_sub_i32 s33, s4, s6
	s_lshr_b32 s8, s5, 4
	s_add_i32 s4, s33, 3
	s_lshr_b32 s5, s7, 26
	s_ashr_i32 s6, s4, 31
	s_add_i32 s2, s2, s5
	v_writelane_b32 v255, s8, 0
	s_lshr_b32 s5, s6, 30
	s_ashr_i32 s86, s2, 6
	s_add_i32 s4, s4, s5
	s_mul_i32 s5, s8, s86
	s_ashr_i32 s2, s4, 2
	v_writelane_b32 v255, s5, 1
	s_mul_i32 s2, s5, s2
	s_delay_alu instid0(SALU_CYCLE_1) | instskip(SKIP_1) | instid1(SALU_CYCLE_1)
	v_writelane_b32 v255, s2, 2
	s_mul_i32 s2, s2, s3
	s_mul_i32 s4, s2, s46
	s_delay_alu instid0(SALU_CYCLE_1)
	s_ashr_i32 s5, s4, 31
	v_writelane_b32 v255, s2, 3
	s_mul_hi_u32 s3, s4, s15
	s_mul_i32 s6, s5, s15
	s_mov_b32 s2, 0
	s_add_i32 s3, s3, s6
	s_add_u32 s6, s0, 0xd0
	s_addc_u32 s7, s1, 0
	v_writelane_b32 v255, s6, 4
	s_cmp_lg_u64 s[2:3], 0
	v_writelane_b32 v255, s7, 5
	s_mul_i32 s6, s4, s15
	s_cbranch_scc0 .LBB9_2
; %bb.1:
	v_fmamk_f32 v3, v1, 0x4f800000, v2
	s_sub_u32 s9, 0, s20
	s_subb_u32 s10, 0, 0
	s_delay_alu instid0(VALU_DEP_1) | instskip(SKIP_2) | instid1(VALU_DEP_1)
	v_rcp_f32_e32 v3, v3
	s_waitcnt_depctr 0xfff
	v_mul_f32_e32 v3, 0x5f7ffffc, v3
	v_mul_f32_e32 v4, 0x2f800000, v3
	s_delay_alu instid0(VALU_DEP_1) | instskip(NEXT) | instid1(VALU_DEP_1)
	v_trunc_f32_e32 v4, v4
	v_fmamk_f32 v3, v4, 0xcf800000, v3
	v_cvt_u32_f32_e32 v4, v4
	s_delay_alu instid0(VALU_DEP_2) | instskip(NEXT) | instid1(VALU_DEP_2)
	v_cvt_u32_f32_e32 v3, v3
	v_readfirstlane_b32 s7, v4
	s_delay_alu instid0(VALU_DEP_2) | instskip(NEXT) | instid1(VALU_DEP_2)
	v_readfirstlane_b32 s8, v3
	s_mul_i32 s11, s9, s7
	s_delay_alu instid0(VALU_DEP_1)
	s_mul_hi_u32 s13, s9, s8
	s_mul_i32 s12, s10, s8
	s_add_i32 s11, s13, s11
	s_mul_i32 s14, s9, s8
	s_add_i32 s11, s11, s12
	s_mul_hi_u32 s13, s8, s14
	s_mul_hi_u32 s17, s7, s14
	s_mul_i32 s12, s7, s14
	s_mul_hi_u32 s14, s8, s11
	s_mul_i32 s8, s8, s11
	s_mul_hi_u32 s16, s7, s11
	s_add_u32 s8, s13, s8
	s_addc_u32 s13, 0, s14
	s_add_u32 s8, s8, s12
	s_mul_i32 s11, s7, s11
	s_addc_u32 s8, s13, s17
	s_addc_u32 s12, s16, 0
	s_add_u32 s8, s8, s11
	s_addc_u32 s11, 0, s12
	v_add_co_u32 v3, s8, v3, s8
	s_delay_alu instid0(VALU_DEP_1) | instskip(SKIP_1) | instid1(VALU_DEP_1)
	s_cmp_lg_u32 s8, 0
	s_addc_u32 s7, s7, s11
	v_readfirstlane_b32 s8, v3
	s_mul_i32 s11, s9, s7
	s_delay_alu instid0(VALU_DEP_1)
	s_mul_hi_u32 s12, s9, s8
	s_mul_i32 s10, s10, s8
	s_add_i32 s11, s12, s11
	s_mul_i32 s9, s9, s8
	s_add_i32 s11, s11, s10
	s_mul_hi_u32 s12, s7, s9
	s_mul_i32 s13, s7, s9
	s_mul_hi_u32 s9, s8, s9
	s_mul_hi_u32 s14, s8, s11
	s_mul_i32 s8, s8, s11
	s_mul_hi_u32 s10, s7, s11
	s_add_u32 s8, s9, s8
	s_addc_u32 s9, 0, s14
	s_add_u32 s8, s8, s13
	s_mul_i32 s11, s7, s11
	s_addc_u32 s8, s9, s12
	s_addc_u32 s9, s10, 0
	s_add_u32 s8, s8, s11
	s_addc_u32 s9, 0, s9
	v_add_co_u32 v3, s8, v3, s8
	s_delay_alu instid0(VALU_DEP_1) | instskip(SKIP_2) | instid1(SALU_CYCLE_1)
	s_cmp_lg_u32 s8, 0
	s_addc_u32 s7, s7, s9
	s_ashr_i32 s8, s3, 31
	s_add_u32 s10, s6, s8
	s_addc_u32 s11, s3, s8
	v_readfirstlane_b32 s3, v3
	s_mov_b32 s9, s8
	s_delay_alu instid0(SALU_CYCLE_1) | instskip(NEXT) | instid1(SALU_CYCLE_1)
	s_xor_b64 s[10:11], s[10:11], s[8:9]
	s_mul_i32 s13, s10, s7
	s_delay_alu instid0(VALU_DEP_1)
	s_mul_hi_u32 s14, s10, s3
	s_mul_hi_u32 s12, s10, s7
	;; [unrolled: 1-line block ×3, first 2 shown]
	s_mul_i32 s3, s11, s3
	s_add_u32 s13, s14, s13
	s_addc_u32 s12, 0, s12
	s_mul_hi_u32 s17, s11, s7
	s_add_u32 s3, s13, s3
	s_mul_i32 s7, s11, s7
	s_addc_u32 s3, s12, s16
	s_addc_u32 s12, s17, 0
	s_add_u32 s3, s3, s7
	s_addc_u32 s7, 0, s12
	s_mul_i32 s13, s20, s3
	s_add_u32 s12, s3, 1
	v_sub_co_u32 v3, s10, s10, s13
	s_mul_hi_u32 s13, s20, s3
	s_addc_u32 s14, s7, 0
	s_mul_i32 s19, s20, s7
	s_delay_alu instid0(VALU_DEP_1)
	v_sub_co_u32 v4, s16, v3, s20
	s_add_u32 s17, s3, 2
	s_addc_u32 s18, s7, 0
	s_add_i32 s13, s13, s19
	s_cmp_lg_u32 s10, 0
	v_readfirstlane_b32 s10, v4
	s_subb_u32 s11, s11, s13
	s_cmp_lg_u32 s16, 0
	s_subb_u32 s13, s11, 0
	s_delay_alu instid0(VALU_DEP_1) | instskip(SKIP_4) | instid1(SALU_CYCLE_1)
	s_cmp_ge_u32 s10, s20
	s_cselect_b32 s10, -1, 0
	s_cmp_eq_u32 s13, 0
	v_readfirstlane_b32 s13, v3
	s_cselect_b32 s10, s10, -1
	s_cmp_lg_u32 s10, 0
	s_cselect_b32 s10, s17, s12
	s_cselect_b32 s12, s18, s14
	s_cmp_ge_u32 s13, s20
	s_cselect_b32 s13, -1, 0
	s_cmp_eq_u32 s11, 0
	s_cselect_b32 s11, s13, -1
	s_delay_alu instid0(SALU_CYCLE_1) | instskip(SKIP_2) | instid1(SALU_CYCLE_1)
	s_cmp_lg_u32 s11, 0
	s_cselect_b32 s11, s12, s7
	s_cselect_b32 s10, s10, s3
	s_xor_b64 s[10:11], s[10:11], s[8:9]
	s_delay_alu instid0(SALU_CYCLE_1)
	s_sub_u32 s64, s10, s8
	s_branch .LBB9_3
.LBB9_2:
	s_mov_b32 s2, -1
                                        ; implicit-def: $sgpr64_sgpr65
.LBB9_3:
	s_load_b64 s[8:9], s[0:1], 0x74
	v_cvt_f32_u32_e32 v3, s20
	s_and_not1_b32 vcc_lo, exec_lo, s2
	s_waitcnt lgkmcnt(0)
	v_writelane_b32 v255, s8, 6
	v_writelane_b32 v255, s9, 7
	s_cbranch_vccnz .LBB9_5
; %bb.4:
	v_rcp_iflag_f32_e32 v4, v3
	s_sub_i32 s3, 0, s20
	s_waitcnt_depctr 0xfff
	v_mul_f32_e32 v4, 0x4f7ffffe, v4
	s_delay_alu instid0(VALU_DEP_1) | instskip(NEXT) | instid1(VALU_DEP_1)
	v_cvt_u32_f32_e32 v4, v4
	v_readfirstlane_b32 s2, v4
	s_delay_alu instid0(VALU_DEP_1) | instskip(NEXT) | instid1(SALU_CYCLE_1)
	s_mul_i32 s3, s3, s2
	s_mul_hi_u32 s3, s2, s3
	s_delay_alu instid0(SALU_CYCLE_1) | instskip(NEXT) | instid1(SALU_CYCLE_1)
	s_add_i32 s2, s2, s3
	s_mul_hi_u32 s2, s6, s2
	s_delay_alu instid0(SALU_CYCLE_1) | instskip(NEXT) | instid1(SALU_CYCLE_1)
	s_mul_i32 s3, s2, s20
	s_sub_i32 s3, s6, s3
	s_add_i32 s6, s2, 1
	s_sub_i32 s7, s3, s20
	s_cmp_ge_u32 s3, s20
	s_cselect_b32 s2, s6, s2
	s_cselect_b32 s3, s7, s3
	s_add_i32 s6, s2, 1
	s_cmp_ge_u32 s3, s20
	s_cselect_b32 s64, s6, s2
.LBB9_5:
	s_add_i32 s6, s15, 1
	s_delay_alu instid0(SALU_CYCLE_1) | instskip(SKIP_4) | instid1(SALU_CYCLE_1)
	s_mul_i32 s2, s5, s6
	s_mul_hi_u32 s3, s4, s6
	s_mul_i32 s4, s4, s6
	s_add_i32 s3, s3, s2
	s_mov_b32 s2, 0
	s_cmp_lg_u64 s[2:3], 0
	s_cbranch_scc0 .LBB9_7
; %bb.6:
	v_fmamk_f32 v1, v1, 0x4f800000, v2
	s_sub_u32 s7, 0, s20
	s_subb_u32 s8, 0, 0
	s_delay_alu instid0(VALU_DEP_1) | instskip(SKIP_2) | instid1(VALU_DEP_1)
	v_rcp_f32_e32 v1, v1
	s_waitcnt_depctr 0xfff
	v_mul_f32_e32 v1, 0x5f7ffffc, v1
	v_mul_f32_e32 v2, 0x2f800000, v1
	s_delay_alu instid0(VALU_DEP_1) | instskip(NEXT) | instid1(VALU_DEP_1)
	v_trunc_f32_e32 v2, v2
	v_fmamk_f32 v1, v2, 0xcf800000, v1
	v_cvt_u32_f32_e32 v2, v2
	s_delay_alu instid0(VALU_DEP_2) | instskip(NEXT) | instid1(VALU_DEP_2)
	v_cvt_u32_f32_e32 v1, v1
	v_readfirstlane_b32 s5, v2
	s_delay_alu instid0(VALU_DEP_2) | instskip(NEXT) | instid1(VALU_DEP_2)
	v_readfirstlane_b32 s6, v1
	s_mul_i32 s9, s7, s5
	s_delay_alu instid0(VALU_DEP_1)
	s_mul_hi_u32 s11, s7, s6
	s_mul_i32 s10, s8, s6
	s_add_i32 s9, s11, s9
	s_mul_i32 s12, s7, s6
	s_add_i32 s9, s9, s10
	s_mul_hi_u32 s11, s6, s12
	s_mul_hi_u32 s13, s5, s12
	s_mul_i32 s10, s5, s12
	s_mul_hi_u32 s12, s6, s9
	s_mul_i32 s6, s6, s9
	s_mul_hi_u32 s14, s5, s9
	s_add_u32 s6, s11, s6
	s_addc_u32 s11, 0, s12
	s_add_u32 s6, s6, s10
	s_mul_i32 s9, s5, s9
	s_addc_u32 s6, s11, s13
	s_addc_u32 s10, s14, 0
	s_add_u32 s6, s6, s9
	s_addc_u32 s9, 0, s10
	v_add_co_u32 v1, s6, v1, s6
	s_delay_alu instid0(VALU_DEP_1) | instskip(SKIP_1) | instid1(VALU_DEP_1)
	s_cmp_lg_u32 s6, 0
	s_addc_u32 s5, s5, s9
	v_readfirstlane_b32 s6, v1
	s_mul_i32 s9, s7, s5
	s_delay_alu instid0(VALU_DEP_1)
	s_mul_hi_u32 s10, s7, s6
	s_mul_i32 s8, s8, s6
	s_add_i32 s9, s10, s9
	s_mul_i32 s7, s7, s6
	s_add_i32 s9, s9, s8
	s_mul_hi_u32 s10, s5, s7
	s_mul_i32 s11, s5, s7
	s_mul_hi_u32 s7, s6, s7
	s_mul_hi_u32 s12, s6, s9
	s_mul_i32 s6, s6, s9
	s_mul_hi_u32 s8, s5, s9
	s_add_u32 s6, s7, s6
	s_addc_u32 s7, 0, s12
	s_add_u32 s6, s6, s11
	s_mul_i32 s9, s5, s9
	s_addc_u32 s6, s7, s10
	s_addc_u32 s7, s8, 0
	s_add_u32 s6, s6, s9
	s_addc_u32 s7, 0, s7
	v_add_co_u32 v1, s6, v1, s6
	s_delay_alu instid0(VALU_DEP_1) | instskip(SKIP_2) | instid1(SALU_CYCLE_1)
	s_cmp_lg_u32 s6, 0
	s_addc_u32 s5, s5, s7
	s_ashr_i32 s6, s3, 31
	s_add_u32 s8, s4, s6
	s_addc_u32 s9, s3, s6
	v_readfirstlane_b32 s3, v1
	s_mov_b32 s7, s6
	s_delay_alu instid0(SALU_CYCLE_1) | instskip(NEXT) | instid1(SALU_CYCLE_1)
	s_xor_b64 s[8:9], s[8:9], s[6:7]
	s_mul_i32 s11, s8, s5
	s_delay_alu instid0(VALU_DEP_1)
	s_mul_hi_u32 s12, s8, s3
	s_mul_hi_u32 s10, s8, s5
	;; [unrolled: 1-line block ×3, first 2 shown]
	s_mul_i32 s3, s9, s3
	s_add_u32 s11, s12, s11
	s_addc_u32 s10, 0, s10
	s_mul_hi_u32 s13, s9, s5
	s_add_u32 s3, s11, s3
	s_mul_i32 s5, s9, s5
	s_addc_u32 s3, s10, s14
	s_addc_u32 s10, s13, 0
	s_add_u32 s3, s3, s5
	s_addc_u32 s5, 0, s10
	s_mul_i32 s11, s20, s3
	s_add_u32 s10, s3, 1
	v_sub_co_u32 v1, s8, s8, s11
	s_mul_hi_u32 s11, s20, s3
	s_addc_u32 s12, s5, 0
	s_mul_i32 s13, s20, s5
	s_delay_alu instid0(VALU_DEP_1)
	v_sub_co_u32 v2, s14, v1, s20
	s_add_u32 s17, s3, 2
	s_addc_u32 s16, s5, 0
	s_add_i32 s11, s11, s13
	s_cmp_lg_u32 s8, 0
	v_readfirstlane_b32 s8, v2
	s_subb_u32 s9, s9, s11
	s_cmp_lg_u32 s14, 0
	s_subb_u32 s11, s9, 0
	s_delay_alu instid0(VALU_DEP_1) | instskip(SKIP_4) | instid1(SALU_CYCLE_1)
	s_cmp_ge_u32 s8, s20
	s_cselect_b32 s8, -1, 0
	s_cmp_eq_u32 s11, 0
	v_readfirstlane_b32 s11, v1
	s_cselect_b32 s8, s8, -1
	s_cmp_lg_u32 s8, 0
	s_cselect_b32 s8, s17, s10
	s_cselect_b32 s10, s16, s12
	s_cmp_ge_u32 s11, s20
	s_cselect_b32 s11, -1, 0
	s_cmp_eq_u32 s9, 0
	s_cselect_b32 s9, s11, -1
	s_delay_alu instid0(SALU_CYCLE_1) | instskip(SKIP_2) | instid1(SALU_CYCLE_1)
	s_cmp_lg_u32 s9, 0
	s_cselect_b32 s9, s10, s5
	s_cselect_b32 s8, s8, s3
	s_xor_b64 s[8:9], s[8:9], s[6:7]
	s_delay_alu instid0(SALU_CYCLE_1)
	s_sub_u32 s68, s8, s6
	s_branch .LBB9_8
.LBB9_7:
	s_mov_b32 s2, -1
                                        ; implicit-def: $sgpr68_sgpr69
.LBB9_8:
	s_load_b64 s[54:55], s[0:1], 0x5c
	v_writelane_b32 v255, s15, 8
	s_and_not1_b32 vcc_lo, exec_lo, s2
	s_cbranch_vccnz .LBB9_10
; %bb.9:
	v_rcp_iflag_f32_e32 v1, v3
	s_sub_i32 s3, 0, s20
	s_waitcnt_depctr 0xfff
	v_mul_f32_e32 v1, 0x4f7ffffe, v1
	s_delay_alu instid0(VALU_DEP_1) | instskip(NEXT) | instid1(VALU_DEP_1)
	v_cvt_u32_f32_e32 v1, v1
	v_readfirstlane_b32 s2, v1
	s_delay_alu instid0(VALU_DEP_1) | instskip(NEXT) | instid1(SALU_CYCLE_1)
	s_mul_i32 s3, s3, s2
	s_mul_hi_u32 s3, s2, s3
	s_delay_alu instid0(SALU_CYCLE_1) | instskip(NEXT) | instid1(SALU_CYCLE_1)
	s_add_i32 s2, s2, s3
	s_mul_hi_u32 s2, s4, s2
	s_delay_alu instid0(SALU_CYCLE_1) | instskip(NEXT) | instid1(SALU_CYCLE_1)
	s_mul_i32 s3, s2, s20
	s_sub_i32 s3, s4, s3
	s_add_i32 s4, s2, 1
	s_sub_i32 s5, s3, s20
	s_cmp_ge_u32 s3, s20
	s_cselect_b32 s2, s4, s2
	s_cselect_b32 s3, s5, s3
	s_add_i32 s4, s2, 1
	s_cmp_ge_u32 s3, s20
	s_cselect_b32 s68, s4, s2
.LBB9_10:
	v_writelane_b32 v255, s20, 9
	s_abs_i32 s87, s86
	s_clause 0x4
	s_load_b512 s[16:31], s[0:1], 0x0
	s_load_b32 s2, s[0:1], 0x40
	s_load_b64 s[6:7], s[0:1], 0x8c
	s_load_b128 s[48:51], s[0:1], 0x98
	s_load_b64 s[4:5], s[0:1], 0xa8
	v_cvt_f32_u32_e32 v1, s87
	v_bfe_u32 v201, v0, 10, 10
	v_and_b32_e32 v179, 0x3ff, v0
	s_clause 0x1
	s_load_b64 s[12:13], s[0:1], 0xb8
	s_load_b64 s[60:61], s[0:1], 0xc8
	s_sub_i32 s3, 0, s87
	v_rcp_iflag_f32_e32 v1, v1
	s_ashr_i32 s65, s47, 3
	v_add_nc_u32_e32 v190, 4, v201
	v_add_nc_u32_e32 v202, 8, v201
	;; [unrolled: 1-line block ×3, first 2 shown]
	v_and_b32_e32 v191, 3, v201
	v_lshrrev_b32_e32 v215, 2, v201
	v_mul_u32_u24_e32 v34, 44, v201
	v_add_nc_u32_e32 v199, 16, v201
	v_add_nc_u32_e32 v41, 20, v201
	v_mul_f32_e32 v1, 0x4f7ffffe, v1
	s_waitcnt lgkmcnt(0)
	v_cvt_f16_f32_e32 v0, s2
	s_ashr_i32 s52, s6, 2
	s_ashr_i32 s46, s50, 2
	v_writelane_b32 v255, s4, 10
	v_add_nc_u32_e32 v42, 24, v201
	v_pack_b32_f16 v220, v0, v0
	v_mov_b32_e32 v0, v179
	v_cvt_u32_f32_e32 v1, v1
	v_writelane_b32 v255, s5, 11
	s_ashr_i32 s56, s13, 1
	s_mov_b32 s5, s7
	v_add_nc_u32_e32 v43, 28, v201
	v_readfirstlane_b32 s89, v1
	v_readlane_b32 s0, v255, 6
	v_readlane_b32 s1, v255, 7
	s_ashr_i32 s1, s86, 31
	v_add_nc_u32_e32 v194, 32, v201
	s_mul_i32 s3, s3, s89
	v_writelane_b32 v255, s1, 12
	s_mul_hi_u32 s3, s89, s3
	s_abs_i32 s1, s64
	s_add_i32 s89, s89, s3
	s_ashr_i32 s9, s0, 3
	s_mul_hi_u32 s3, s1, s89
	s_ashr_i32 s0, s64, 31
	s_mul_i32 s3, s3, s87
	v_writelane_b32 v255, s4, 13
	s_sub_i32 s1, s1, s3
	v_add_nc_u32_e32 v44, 36, v201
	s_sub_i32 s3, s1, s87
	s_cmp_ge_u32 s1, s87
	v_writelane_b32 v255, s5, 14
	s_cselect_b32 s1, s3, s1
	v_add_nc_u32_e32 v45, 40, v201
	s_sub_i32 s3, s1, s87
	s_cmp_ge_u32 s1, s87
	v_add_nc_u32_e32 v40, 44, v201
	s_cselect_b32 s1, s3, s1
	s_sub_i32 s3, s68, s64
	s_xor_b32 s1, s1, s0
	v_add_nc_u32_e32 v192, 48, v201
	s_sub_i32 s10, s1, s0
	v_add_nc_u32_e32 v39, 52, v201
	s_add_i32 s3, s3, s10
	v_add_nc_u32_e32 v38, 56, v201
	s_min_i32 s8, s86, s3
	s_cmp_gt_i32 s68, s64
	v_add_nc_u32_e32 v37, 60, v201
	s_cselect_b32 s0, -1, 0
	s_cmp_le_i32 s68, s64
	v_and_b32_e32 v193, 15, v201
	s_cselect_b32 s1, -1, 0
	s_cmp_gt_i32 s86, s3
	v_writelane_b32 v255, s9, 15
	s_cselect_b32 s2, -1, 0
	s_mov_b32 s71, 0
	s_or_b32 s1, s2, s1
	s_clause 0x3
	scratch_store_b32 off, v37, off offset:500
	scratch_store_b32 off, v38, off offset:504
	;; [unrolled: 1-line block ×4, first 2 shown]
	s_and_b32 vcc_lo, exec_lo, s1
	s_clause 0x9
	scratch_store_b64 off, v[0:1], off offset:368
	scratch_store_b32 off, v201, off offset:272
	scratch_store_b32 off, v202, off offset:276
	;; [unrolled: 1-line block ×9, first 2 shown]
	s_cbranch_vccz .LBB9_13
; %bb.11:
	s_and_not1_b32 vcc_lo, exec_lo, s0
	s_cbranch_vccz .LBB9_400
.LBB9_12:
	s_endpgm
.LBB9_13:
	v_lshrrev_b32_e32 v0, 3, v179
	s_cmp_eq_u64 s[24:25], 0
	v_lshlrev_b32_e32 v20, 4, v201
	s_cselect_b32 s0, -1, 0
	s_cmp_lg_u64 s[26:27], 0
	v_lshl_add_u32 v21, v201, 2, v0
	v_writelane_b32 v255, s0, 16
	s_cselect_b32 s0, -1, 0
	v_lshrrev_b32_e32 v1, 1, v179
	v_lshlrev_b32_e32 v197, 2, v179
	v_mul_lo_u32 v0, s52, v21
	v_writelane_b32 v255, s0, 17
	s_lshl_b32 s0, s52, 4
	v_mul_lo_u32 v8, s46, v21
	v_and_or_b32 v9, v179, 12, v20
	v_add_nc_u32_e32 v15, v20, v1
	v_dual_mov_b32 v218, 0 :: v_dual_and_b32 v23, 4, v197
	v_add_nc_u32_e32 v4, s0, v0
	v_lshrrev_b32_e32 v203, 4, v179
	v_lshrrev_b32_e32 v28, 2, v9
	v_and_b32_e32 v216, 7, v179
	v_and_b32_e32 v24, 28, v197
	v_add_nc_u32_e32 v6, s0, v4
	v_mad_u32_u24 v29, 0xb0, v15, 0
	v_lshlrev_b32_e32 v30, 2, v23
	v_mad_u32_u24 v28, 0x90, v28, 0
	v_lshlrev_b32_e32 v32, 1, v203
	v_add_nc_u32_e32 v10, s0, v6
	s_lshl_b32 s0, s46, 4
	v_and_b32_e32 v22, 15, v179
	v_add_nc_u32_e32 v14, s0, v8
	v_add_nc_u32_e32 v25, 16, v21
	v_mad_u32_u24 v31, 0xb0, v21, 0
	v_add3_u32 v198, v29, v30, 0x80
	v_lshlrev_b32_e32 v29, 2, v24
	v_add_nc_u32_e32 v16, s0, v14
	v_add3_u32 v224, v28, v32, 0x2c00
	v_lshlrev_b32_e32 v28, 2, v216
	v_mul_u32_u24_e32 v1, 0xb0, v22
	v_add_nc_u32_e32 v26, 32, v21
	v_add_nc_u32_e32 v18, s0, v16
	v_readlane_b32 s0, v255, 8
	v_add_nc_u32_e32 v30, 0xb00, v31
	v_add_nc_u32_e32 v204, v31, v29
	;; [unrolled: 1-line block ×3, first 2 shown]
	v_lshrrev_b32_e32 v31, 2, v25
	s_lshl_b32 s70, s0, 6
	v_cmp_gt_u32_e64 s0, 16, v179
	s_ashr_i32 s57, s56, 31
	s_ashr_i32 s53, s52, 31
	;; [unrolled: 1-line block ×3, first 2 shown]
	scratch_store_b32 off, v1, off offset:88 ; 4-byte Folded Spill
	v_writelane_b32 v255, s0, 18
	s_lshl_b64 s[0:1], s[70:71], 3
	v_add_nc_u32_e32 v166, v30, v28
	s_add_u32 s0, s30, s0
	s_addc_u32 s1, s31, s1
	v_readlane_b32 s5, v255, 3
	v_readlane_b32 s7, v255, 2
	v_lshrrev_b32_e32 v28, 2, v26
	scratch_store_b32 off, v31, off offset:96 ; 4-byte Folded Spill
	v_bfe_u32 v206, v179, 3, 2
	s_abs_i32 s91, s5
	v_add_nc_u32_e32 v27, 48, v21
	v_cvt_f32_u32_e32 v31, s91
	s_abs_i32 s92, s7
	v_add_nc_u32_e32 v205, v30, v29
	v_mad_u32_u24 v223, 0xb0, v22, 0
	v_lshrrev_b32_e32 v30, 2, v27
	scratch_store_b32 off, v28, off offset:100 ; 4-byte Folded Spill
	v_rcp_iflag_f32_e32 v28, v31
	v_cvt_f32_u32_e32 v31, s92
	v_mad_u64_u32 v[249:250], null, v191, s9, v[179:180]
	scratch_store_b32 off, v30, off offset:104 ; 4-byte Folded Spill
	v_lshlrev_b32_e32 v33, 1, v22
	v_rcp_iflag_f32_e32 v31, v31
	v_readlane_b32 s6, v255, 1
	s_abs_i32 s94, s12
	v_ashrrev_i32_e32 v1, 31, v0
	v_dual_mul_f32 v28, 0x4f7ffffe, v28 :: v_dual_add_nc_u32 v225, 0, v33
	s_delay_alu instid0(VALU_DEP_3) | instskip(SKIP_3) | instid1(TRANS32_DEP_1)
	s_abs_i32 s93, s6
	v_add3_u32 v200, 0, 0xb00, v33
	v_add3_u32 v214, 0, 0x1600, v33
	;; [unrolled: 1-line block ×3, first 2 shown]
	v_mul_f32_e32 v31, 0x4f7ffffe, v31
	v_or_b32_e32 v22, v20, v22
	v_add3_u32 v229, 0, 32, v33
	v_add3_u32 v230, 0, 0xb20, v33
	;; [unrolled: 1-line block ×4, first 2 shown]
	v_mul_u32_u24_e32 v22, 0xb0, v22
	v_add3_u32 v233, 0, 64, v33
	v_add3_u32 v234, 0, 0xb40, v33
	v_add3_u32 v235, 0, 0x1640, v33
	v_add3_u32 v236, 0, 0x2140, v33
	v_add3_u32 v237, 0, 0x60, v33
	v_add3_u32 v238, 0, 0xb60, v33
	v_add3_u32 v239, 0, 0x1660, v33
	v_add3_u32 v240, 0, 0x2160, v33
	v_add3_u32 v241, 0, 0x80, v33
	v_add3_u32 v242, 0, 0xb80, v33
	v_add3_u32 v243, 0, 0x1680, v33
	v_add3_u32 v244, 0, 0x2180, v33
	v_or_b32_e32 v20, v20, v179
	v_add3_u32 v219, 0, v22, v32
	v_cvt_f32_u32_e32 v32, s93
	v_cvt_u32_f32_e32 v28, v28
	v_cvt_f32_u32_e32 v33, s94
	v_lshlrev_b32_e32 v30, 3, v20
	v_mul_u32_u24_e32 v20, 0xb0, v20
	v_rcp_iflag_f32_e32 v32, v32
	v_readfirstlane_b32 s2, v28
	v_rcp_iflag_f32_e32 v28, v33
	v_lshlrev_b64 v[188:189], 2, v[0:1]
	v_add_nc_u32_e32 v0, 0, v20
	v_add_co_u32 v35, s0, s0, v30
	v_cvt_u32_f32_e32 v30, v31
	v_lshrrev_b32_e32 v29, 2, v21
	scratch_store_b32 off, v0, off offset:424 ; 4-byte Folded Spill
	v_dual_mul_f32 v31, 0x4f7ffffe, v32 :: v_dual_lshlrev_b32 v32, 2, v34
	v_dual_mul_f32 v28, 0x4f7ffffe, v28 :: v_dual_add_nc_u32 v221, 0, v197
	v_and_b32_e32 v0, 3, v179
	v_add_co_ci_u32_e64 v36, null, s1, 0, s0
	s_delay_alu instid0(VALU_DEP_4) | instskip(NEXT) | instid1(VALU_DEP_4)
	v_cvt_u32_f32_e32 v31, v31
	v_add_nc_u32_e32 v167, v221, v32
	scratch_store_b32 off, v0, off offset:236 ; 4-byte Folded Spill
	v_lshrrev_b32_e32 v0, 2, v190
	v_cvt_u32_f32_e32 v28, v28
	v_readfirstlane_b32 s1, v31
	v_and_or_b32 v22, 0xf0, v199, v193
	v_mul_lo_u32 v12, s46, v15
	scratch_store_b32 off, v0, off offset:108 ; 4-byte Folded Spill
	v_add_nc_u32_e32 v0, 0x2c0, v167
	scratch_store_b32 off, v29, off offset:92 ; 4-byte Folded Spill
	v_mul_u32_u24_e32 v29, 44, v21
	v_and_b32_e32 v21, 15, v21
	v_readfirstlane_b32 s3, v28
	scratch_store_b32 off, v0, off offset:68 ; 4-byte Folded Spill
	v_lshrrev_b32_e32 v0, 2, v202
	v_mul_u32_u24_e32 v22, 44, v22
	v_and_or_b32 v25, 0x7f0, v25, v21
	v_and_or_b32 v26, 0x7f0, v26, v21
	;; [unrolled: 1-line block ×4, first 2 shown]
	v_lshlrev_b32_e32 v22, 2, v22
	v_mad_u32_u24 v31, v25, 44, v216
	v_mad_u32_u24 v28, v26, 44, v216
	v_readfirstlane_b32 s0, v30
	v_mul_u32_u24_e32 v27, 44, v27
	v_and_or_b32 v30, 0xf0, v192, v193
	v_lshl_add_u32 v31, v31, 2, 0
	v_lshl_add_u32 v28, v28, 2, 0
	scratch_store_b32 off, v0, off offset:112 ; 4-byte Folded Spill
	v_lshlrev_b32_e32 v27, 2, v27
	v_add_nc_u32_e32 v0, 0x580, v167
	s_clause 0x1
	scratch_store_b32 off, v31, off offset:400
	scratch_store_b32 off, v28, off offset:492
	v_mad_u32_u24 v31, v21, 44, v216
	v_mul_u32_u24_e32 v21, 44, v21
	v_ashrrev_i32_e32 v13, 31, v12
	v_mul_u32_u24_e32 v30, 44, v30
	v_mul_lo_u32 v2, s52, v15
	v_lshl_add_u32 v28, v31, 2, 0
	v_lshl_add_u32 v21, v21, 2, 0
	v_lshlrev_b64 v[168:169], 2, v[12:13]
	v_lshlrev_b32_e32 v30, 2, v30
	s_clause 0x1
	scratch_store_b32 off, v0, off offset:72
	scratch_store_b32 off, v28, off offset:536
	v_add_nc_u32_e32 v28, 0, v32
	scratch_store_b32 off, v21, off offset:552 ; 4-byte Folded Spill
	v_and_b32_e32 v21, 1, v179
	v_ashrrev_i32_e32 v3, 31, v2
	v_lshrrev_b32_e32 v0, 2, v196
	scratch_store_b32 off, v28, off offset:364 ; 4-byte Folded Spill
	v_add_nc_u32_e32 v28, v221, v22
	v_add_nc_u32_e32 v22, 0, v22
	v_lshlrev_b32_e32 v12, 4, v21
	v_lshlrev_b64 v[245:246], 2, v[2:3]
	scratch_store_b32 off, v0, off offset:116 ; 4-byte Folded Spill
	v_lshrrev_b32_e32 v0, 2, v199
	scratch_store_b32 off, v22, off offset:556 ; 4-byte Folded Spill
	v_add_nc_u32_e32 v22, v221, v27
	v_add_co_u32 v13, vcc_lo, v12, v168
	v_add_co_ci_u32_e32 v21, vcc_lo, 0, v169, vcc_lo
	scratch_store_b32 off, v22, off offset:560 ; 4-byte Folded Spill
	v_add_nc_u32_e32 v22, 0, v27
	v_add_co_u32 v13, vcc_lo, v13, s20
	v_add_co_ci_u32_e32 v21, vcc_lo, s21, v21, vcc_lo
	scratch_store_b32 off, v22, off offset:564 ; 4-byte Folded Spill
	v_add_nc_u32_e32 v22, v221, v30
	v_add_co_u32 v2, vcc_lo, 0x80, v13
	scratch_store_b32 off, v0, off offset:120 ; 4-byte Folded Spill
	v_lshrrev_b32_e32 v0, 2, v41
	scratch_store_b32 off, v22, off offset:568 ; 4-byte Folded Spill
	v_add_nc_u32_e32 v22, 0, v30
	scratch_store_b32 off, v2, off offset:408 ; 4-byte Folded Spill
	v_add_co_ci_u32_e32 v2, vcc_lo, 0, v21, vcc_lo
	s_clause 0x1
	scratch_store_b32 off, v0, off offset:124
	scratch_store_b32 off, v22, off offset:572
	v_lshl_add_u32 v22, v29, 2, 0
	scratch_store_b32 off, v2, off offset:412 ; 4-byte Folded Spill
	v_add_co_u32 v2, vcc_lo, v12, v245
	v_add_co_ci_u32_e32 v3, vcc_lo, 0, v246, vcc_lo
	scratch_store_b32 off, v22, off offset:404 ; 4-byte Folded Spill
	v_add_co_u32 v2, vcc_lo, v2, s18
	v_add_co_ci_u32_e32 v3, vcc_lo, s19, v3, vcc_lo
	v_lshrrev_b32_e32 v0, 2, v42
	s_delay_alu instid0(VALU_DEP_3)
	v_add_co_u32 v2, vcc_lo, 0x80, v2
	v_mul_u32_u24_e32 v25, 44, v25
	v_ashrrev_i32_e32 v9, 31, v8
	s_clause 0x1
	scratch_store_b32 off, v0, off offset:128
	scratch_store_b32 off, v2, off offset:416
	v_add_co_ci_u32_e32 v2, vcc_lo, 0, v3, vcc_lo
	v_lshrrev_b32_e32 v0, 2, v43
	v_lshl_add_u32 v22, v25, 2, 0
	v_lshlrev_b64 v[170:171], 2, v[8:9]
	scratch_store_b32 off, v2, off offset:420 ; 4-byte Folded Spill
	v_ashrrev_i32_e32 v15, 31, v14
	scratch_store_b32 off, v0, off offset:132 ; 4-byte Folded Spill
	v_lshrrev_b32_e32 v0, 2, v194
	scratch_store_b32 off, v22, off offset:496 ; 4-byte Folded Spill
	v_ashrrev_i32_e32 v17, 31, v16
	v_lshlrev_b64 v[181:182], 2, v[14:15]
	v_ashrrev_i32_e32 v19, 31, v18
	scratch_store_b32 off, v0, off offset:136 ; 4-byte Folded Spill
	v_mul_lo_u32 v0, v206, s9
	v_lshlrev_b64 v[183:184], 2, v[16:17]
	v_ashrrev_i32_e32 v5, 31, v4
	v_lshlrev_b64 v[252:253], 2, v[18:19]
	v_ashrrev_i32_e32 v7, 31, v6
	v_ashrrev_i32_e32 v11, 31, v10
	s_sub_i32 s4, 0, s91
	v_lshlrev_b64 v[208:209], 2, v[4:5]
	v_add3_u32 v207, v0, v216, 32
	v_add_co_u32 v0, vcc_lo, s20, v170
	scratch_store_b64 off, v[35:36], off offset:376 ; 8-byte Folded Spill
	v_lshlrev_b64 v[210:211], 2, v[6:7]
	v_lshlrev_b64 v[212:213], 2, v[10:11]
	scratch_store_b32 off, v0, off offset:428 ; 4-byte Folded Spill
	v_add_co_ci_u32_e32 v0, vcc_lo, s21, v171, vcc_lo
	s_ashr_i32 s5, s5, 31
	s_mul_i32 s4, s4, s2
	v_mul_u32_u24_e32 v26, 44, v26
	scratch_store_b32 off, v0, off offset:432 ; 4-byte Folded Spill
	v_add_co_u32 v0, vcc_lo, s20, v181
	v_writelane_b32 v255, s5, 19
	s_mul_hi_u32 s4, s2, s4
	v_lshl_add_u32 v22, v26, 2, 0
	scratch_store_b32 off, v0, off offset:436 ; 4-byte Folded Spill
	v_add_co_ci_u32_e32 v0, vcc_lo, s21, v182, vcc_lo
	s_add_i32 s2, s2, s4
	v_lshrrev_b32_e32 v1, 2, v44
	v_writelane_b32 v255, s2, 20
	scratch_store_b32 off, v0, off offset:440 ; 4-byte Folded Spill
	v_add_co_u32 v0, vcc_lo, s20, v183
	s_sub_i32 s5, 0, s92
	s_ashr_i32 s4, s7, 31
	s_mul_i32 s5, s5, s0
	scratch_store_b32 off, v0, off offset:444 ; 4-byte Folded Spill
	v_add_co_ci_u32_e32 v0, vcc_lo, s21, v184, vcc_lo
	v_writelane_b32 v255, s4, 21
	s_mul_hi_u32 s2, s0, s5
	v_lshlrev_b32_e32 v195, 1, v179
	scratch_store_b32 off, v0, off offset:448 ; 4-byte Folded Spill
	v_add_co_u32 v0, vcc_lo, s20, v252
	s_add_i32 s0, s0, s2
	s_ashr_i32 s2, s6, 31
	v_writelane_b32 v255, s0, 22
	scratch_store_b32 off, v0, off offset:452 ; 4-byte Folded Spill
	v_add_co_ci_u32_e32 v0, vcc_lo, s21, v253, vcc_lo
	s_sub_i32 s0, 0, s93
	v_writelane_b32 v255, s2, 23
	s_mul_i32 s0, s0, s1
	scratch_store_b32 off, v0, off offset:456 ; 4-byte Folded Spill
	v_add_co_u32 v0, vcc_lo, s18, v188
	s_mul_hi_u32 s0, s1, s0
	s_sub_i32 s2, 0, s94
	s_add_i32 s0, s1, s0
	scratch_store_b32 off, v0, off offset:460 ; 4-byte Folded Spill
	v_add_co_ci_u32_e32 v0, vcc_lo, s19, v189, vcc_lo
	s_mul_i32 s2, s2, s3
	v_writelane_b32 v255, s0, 24
	s_mul_hi_u32 s2, s3, s2
	scratch_store_b32 off, v0, off offset:464 ; 4-byte Folded Spill
	v_add_co_u32 v0, vcc_lo, s18, v208
	s_add_i32 s0, s3, s2
	v_mul_u32_u24_e32 v248, 0x90, v201
	v_writelane_b32 v255, s0, 25
	scratch_store_b32 off, v0, off offset:468 ; 4-byte Folded Spill
	v_add_co_ci_u32_e32 v0, vcc_lo, s19, v209, vcc_lo
	s_lshl_b64 s[0:1], s[56:57], 1
	v_xor_b32_e32 v217, 1, v203
	v_writelane_b32 v255, s0, 26
	scratch_store_b32 off, v0, off offset:472 ; 4-byte Folded Spill
	v_add_co_u32 v0, vcc_lo, s18, v210
	v_add_nc_u32_e32 v186, 0x840, v167
	v_writelane_b32 v255, s1, 27
	v_lshlrev_b32_e32 v251, 2, v23
	scratch_store_b32 off, v0, off offset:476 ; 4-byte Folded Spill
	v_add_co_ci_u32_e32 v0, vcc_lo, s19, v211, vcc_lo
	v_writelane_b32 v255, s12, 28
	v_lshlrev_b32_e32 v226, 2, v24
	v_mad_u32_u24 v254, 0xb00, v201, 0
	scratch_store_b32 off, v0, off offset:480 ; 4-byte Folded Spill
	v_add_co_u32 v0, vcc_lo, s18, v212
	v_add_nc_u32_e32 v247, 0xb00, v205
	v_add_nc_u32_e32 v222, 0x1600, v205
	v_lshlrev_b32_e32 v227, 4, v216
	scratch_store_b32 off, v0, off offset:484 ; 4-byte Folded Spill
	v_add_co_ci_u32_e32 v0, vcc_lo, s19, v213, vcc_lo
	v_writelane_b32 v255, s13, 29
	s_lshl_b64 s[74:75], s[46:47], 8
	s_lshl_b64 s[76:77], s[52:53], 8
	scratch_store_b32 off, v0, off offset:488 ; 4-byte Folded Spill
	v_mbcnt_lo_u32_b32 v0, -1, 0
	s_clause 0x1
	scratch_store_b32 off, v22, off offset:544
	scratch_store_b32 off, v1, off offset:140
	v_lshrrev_b32_e32 v1, 2, v45
	s_clause 0x1
	scratch_store_b32 off, v28, off offset:548
	scratch_store_b32 off, v0, off offset:64
	v_mov_b32_e32 v0, v191
	s_mov_b32 s36, s71
	scratch_store_b32 off, v1, off offset:144 ; 4-byte Folded Spill
	v_lshrrev_b32_e32 v1, 2, v40
	s_mov_b32 s37, s71
	s_mov_b32 s38, s71
	;; [unrolled: 1-line block ×4, first 2 shown]
	scratch_store_b32 off, v1, off offset:148 ; 4-byte Folded Spill
	v_lshrrev_b32_e32 v1, 2, v192
	s_mov_b32 s41, s71
	s_mov_b32 s42, s71
	;; [unrolled: 1-line block ×3, first 2 shown]
	scratch_store_b32 off, v1, off offset:152 ; 4-byte Folded Spill
	v_lshrrev_b32_e32 v1, 2, v39
	scratch_store_b32 off, v1, off offset:156 ; 4-byte Folded Spill
	v_lshrrev_b32_e32 v1, 2, v38
	;; [unrolled: 2-line block ×3, first 2 shown]
	s_clause 0xe
	scratch_store_b32 off, v1, off offset:164
	scratch_store_b64 off, v[0:1], off offset:344
	scratch_store_b32 off, v215, off offset:352
	scratch_store_b32 off, v216, off offset:356
	scratch_store_b64 off, v[168:169], off offset:36
	scratch_store_b64 off, v[245:246], off offset:52
	;; [unrolled: 1-line block ×7, first 2 shown]
	scratch_store_b32 off, v195, off offset:360
	scratch_store_b32 off, v248, off
	scratch_store_b32 off, v217, off offset:60
	scratch_store_b32 off, v186, off offset:200
	v_mov_b32_e32 v0, v206
	scratch_store_b64 off, v[0:1], off offset:208 ; 8-byte Folded Spill
	v_mov_b32_e32 v0, v207
	scratch_store_b64 off, v[0:1], off offset:216 ; 8-byte Folded Spill
	v_mov_b32_e32 v0, v249
	s_clause 0xc
	scratch_store_b64 off, v[0:1], off offset:224
	scratch_store_b32 off, v165, off offset:252
	scratch_store_b32 off, v166, off offset:256
	;; [unrolled: 1-line block ×3, first 2 shown]
	scratch_store_b64 off, v[181:182], off offset:172
	scratch_store_b32 off, v220, off offset:384
	scratch_store_b64 off, v[183:184], off offset:180
	scratch_store_b32 off, v197, off offset:388
	;; [unrolled: 2-line block ×3, first 2 shown]
	scratch_store_b32 off, v219, off offset:396
	scratch_store_b32 off, v226, off offset:196
	;; [unrolled: 1-line block ×3, first 2 shown]
	s_branch .LBB9_15
.LBB9_14:                               ;   in Loop: Header=BB9_15 Depth=1
	s_or_b32 exec_lo, exec_lo, s0
	s_add_i32 s0, s64, s86
	s_mov_b32 s10, 0
	s_abs_i32 s1, s0
	s_delay_alu instid0(SALU_CYCLE_1) | instskip(NEXT) | instid1(SALU_CYCLE_1)
	s_mul_hi_u32 s2, s1, s89
	s_mul_i32 s2, s2, s87
	s_delay_alu instid0(SALU_CYCLE_1) | instskip(SKIP_4) | instid1(SALU_CYCLE_1)
	s_sub_i32 s1, s1, s2
	s_ashr_i32 s2, s0, 31
	s_sub_i32 s3, s1, s87
	s_cmp_ge_u32 s1, s87
	s_cselect_b32 s1, s3, s1
	s_sub_i32 s3, s1, s87
	s_cmp_ge_u32 s1, s87
	s_cselect_b32 s1, s3, s1
	s_delay_alu instid0(SALU_CYCLE_1) | instskip(NEXT) | instid1(SALU_CYCLE_1)
	s_xor_b32 s1, s1, s2
	s_sub_i32 s1, s2, s1
	s_delay_alu instid0(SALU_CYCLE_1) | instskip(NEXT) | instid1(SALU_CYCLE_1)
	s_add_i32 s64, s0, s1
	s_sub_i32 s1, s68, s64
	s_delay_alu instid0(SALU_CYCLE_1) | instskip(SKIP_4) | instid1(SALU_CYCLE_1)
	s_min_i32 s8, s86, s1
	s_cmp_gt_i32 s68, s64
	s_cselect_b32 s0, -1, 0
	s_cmp_le_i32 s86, s1
	s_cselect_b32 s1, -1, 0
	s_and_b32 s1, s1, s0
	s_delay_alu instid0(SALU_CYCLE_1)
	s_and_b32 vcc_lo, exec_lo, s1
	s_cbranch_vccz .LBB9_399
.LBB9_15:                               ; =>This Loop Header: Depth=1
                                        ;     Child Loop BB9_104 Depth 2
                                        ;     Child Loop BB9_293 Depth 2
	v_readlane_b32 s1, v255, 20
	s_abs_i32 s0, s64
	v_readlane_b32 s4, v255, 19
	s_ashr_i32 s2, s64, 31
	v_readlane_b32 s6, v255, 21
	s_mul_hi_u32 s1, s0, s1
	v_readlane_b32 s7, v255, 23
	s_mul_i32 s3, s1, s91
	s_xor_b32 s2, s2, s4
	s_sub_i32 s0, s0, s3
	s_add_i32 s3, s1, 1
	s_sub_i32 s4, s0, s91
	s_cmp_ge_u32 s0, s91
	s_cselect_b32 s1, s3, s1
	s_cselect_b32 s0, s4, s0
	s_add_i32 s3, s1, 1
	s_cmp_ge_u32 s0, s91
	s_cselect_b32 s0, s3, s1
	v_readlane_b32 s3, v255, 22
	s_xor_b32 s0, s0, s2
	s_delay_alu instid0(SALU_CYCLE_1) | instskip(SKIP_1) | instid1(VALU_DEP_1)
	s_sub_i32 s1, s0, s2
	v_readlane_b32 s0, v255, 3
	s_mul_i32 s0, s1, s0
	s_delay_alu instid0(SALU_CYCLE_1) | instskip(NEXT) | instid1(SALU_CYCLE_1)
	s_sub_i32 s0, s64, s0
	s_abs_i32 s2, s0
	s_ashr_i32 s4, s0, 31
	s_mul_hi_u32 s3, s2, s3
	s_xor_b32 s4, s4, s6
	s_mul_i32 s5, s3, s92
	s_delay_alu instid0(SALU_CYCLE_1)
	s_sub_i32 s2, s2, s5
	s_add_i32 s5, s3, 1
	s_sub_i32 s6, s2, s92
	s_cmp_ge_u32 s2, s92
	s_cselect_b32 s3, s5, s3
	s_cselect_b32 s2, s6, s2
	s_add_i32 s5, s3, 1
	s_cmp_ge_u32 s2, s92
	s_cselect_b32 s2, s5, s3
	v_readlane_b32 s3, v255, 2
	s_xor_b32 s2, s2, s4
	s_delay_alu instid0(SALU_CYCLE_1) | instskip(SKIP_1) | instid1(VALU_DEP_2)
	s_sub_i32 s2, s2, s4
	v_readlane_b32 s4, v255, 24
	s_mul_i32 s3, s2, s3
	s_delay_alu instid0(SALU_CYCLE_1) | instskip(NEXT) | instid1(SALU_CYCLE_1)
	s_sub_i32 s0, s0, s3
	s_abs_i32 s3, s0
	s_ashr_i32 s5, s0, 31
	s_mul_hi_u32 s4, s3, s4
	s_xor_b32 s5, s5, s7
	s_mul_i32 s6, s4, s93
	s_delay_alu instid0(SALU_CYCLE_1)
	s_sub_i32 s3, s3, s6
	s_add_i32 s6, s4, 1
	s_sub_i32 s7, s3, s93
	s_cmp_ge_u32 s3, s93
	s_cselect_b32 s4, s6, s4
	s_cselect_b32 s3, s7, s3
	s_add_i32 s6, s4, 1
	s_cmp_ge_u32 s3, s93
	v_readlane_b32 s7, v255, 12
	s_cselect_b32 s3, s6, s4
	v_readlane_b32 s4, v255, 1
	s_xor_b32 s3, s3, s5
	s_delay_alu instid0(SALU_CYCLE_1)
	s_sub_i32 s3, s3, s5
	s_delay_alu instid0(VALU_DEP_1) | instid1(SALU_CYCLE_1)
	s_mul_i32 s4, s3, s4
	s_delay_alu instid0(SALU_CYCLE_1) | instskip(NEXT) | instid1(SALU_CYCLE_1)
	s_sub_i32 s0, s0, s4
	s_abs_i32 s4, s0
	s_ashr_i32 s0, s0, 31
	s_mul_hi_u32 s5, s4, s89
	s_xor_b32 s0, s0, s7
	s_mul_i32 s6, s5, s87
	s_delay_alu instid0(SALU_CYCLE_1)
	s_sub_i32 s4, s4, s6
	s_add_i32 s6, s5, 1
	s_sub_i32 s7, s4, s87
	s_cmp_ge_u32 s4, s87
	s_cselect_b32 s5, s6, s5
	s_cselect_b32 s4, s7, s4
	s_add_i32 s6, s5, 1
	s_cmp_ge_u32 s4, s87
	s_cselect_b32 s4, s6, s5
	v_readlane_b32 s5, v255, 17
	s_xor_b32 s4, s4, s0
	s_delay_alu instid0(SALU_CYCLE_1) | instskip(NEXT) | instid1(VALU_DEP_1)
	s_sub_i32 s0, s4, s0
	s_and_not1_b32 vcc_lo, exec_lo, s5
	s_cbranch_vccnz .LBB9_17
; %bb.16:                               ;   in Loop: Header=BB9_15 Depth=1
	v_readlane_b32 s4, v255, 0
	s_delay_alu instid0(VALU_DEP_1) | instskip(NEXT) | instid1(SALU_CYCLE_1)
	s_mul_i32 s4, s1, s4
	s_add_i32 s4, s0, s4
	s_delay_alu instid0(SALU_CYCLE_1) | instskip(NEXT) | instid1(SALU_CYCLE_1)
	s_ashr_i32 s5, s4, 31
	s_lshl_b64 s[4:5], s[4:5], 2
	s_delay_alu instid0(SALU_CYCLE_1) | instskip(SKIP_4) | instid1(VALU_DEP_1)
	s_add_u32 s4, s26, s4
	s_addc_u32 s5, s27, s5
	global_load_b32 v0, v218, s[4:5]
	s_waitcnt vmcnt(0)
	v_readfirstlane_b32 s4, v0
	s_ashr_i32 s5, s4, 31
	s_delay_alu instid0(SALU_CYCLE_1) | instskip(NEXT) | instid1(SALU_CYCLE_1)
	s_lshr_b32 s5, s5, 26
	s_add_i32 s4, s4, s5
	s_delay_alu instid0(SALU_CYCLE_1) | instskip(NEXT) | instid1(SALU_CYCLE_1)
	s_ashr_i32 s4, s4, 6
	s_min_i32 s8, s8, s4
.LBB9_17:                               ;   in Loop: Header=BB9_15 Depth=1
	v_readlane_b32 s6, v255, 6
	v_readlane_b32 s7, v255, 7
	s_mul_i32 s4, s2, s33
	s_lshl_b32 s14, s3, 2
	s_mul_i32 s9, s1, s48
	s_add_i32 s4, s14, s4
	s_mul_i32 s3, s1, s7
	s_mul_i32 s6, s4, s6
	s_ashr_i32 s5, s3, 31
	s_add_u32 s3, s16, s3
	s_addc_u32 s5, s17, s5
	s_ashr_i32 s7, s6, 31
	s_add_u32 s69, s3, s6
	s_addc_u32 s58, s5, s7
	v_readlane_b32 s6, v255, 13
	v_readlane_b32 s7, v255, 14
	s_mul_i32 s3, s1, s49
	s_mul_hi_u32 s5, s1, s48
	s_ashr_i32 s13, s1, 31
	s_add_i32 s3, s5, s3
	s_mul_i32 s5, s13, s48
	s_mul_i32 s12, s2, s7
	s_add_i32 s11, s3, s5
	s_add_u32 s3, s18, s9
	s_addc_u32 s5, s19, s11
	s_ashr_i32 s70, s12, 31
	s_add_u32 s103, s3, s12
	s_addc_u32 s104, s5, s70
	v_readlane_b32 s5, v255, 25
	s_abs_i32 s3, s1
	v_readlane_b32 s34, v255, 10
	v_readlane_b32 s35, v255, 11
	s_mov_b32 s81, 0
	s_mul_hi_u32 s5, s3, s5
	s_mul_i32 s72, s2, s51
	s_mul_i32 s5, s5, s94
	;; [unrolled: 1-line block ×3, first 2 shown]
	s_sub_i32 s3, s3, s5
	v_or_b32_e32 v173, s14, v191
	s_sub_i32 s5, s3, s94
	s_cmp_ge_u32 s3, s94
	s_cselect_b32 s3, s5, s3
	s_delay_alu instid0(SALU_CYCLE_1) | instskip(SKIP_2) | instid1(SALU_CYCLE_1)
	s_sub_i32 s5, s3, s94
	s_cmp_ge_u32 s3, s94
	s_cselect_b32 s3, s5, s3
	s_xor_b32 s3, s3, s13
	s_delay_alu instid0(SALU_CYCLE_1)
	s_sub_i32 s3, s3, s13
	s_mul_i32 s13, s13, s34
	s_mul_i32 s5, s3, s61
	s_mul_hi_u32 s6, s3, s60
	s_ashr_i32 s7, s3, 31
	s_add_i32 s5, s6, s5
	s_mul_i32 s7, s7, s60
	s_mul_i32 s96, s3, s60
	;; [unrolled: 1-line block ×3, first 2 shown]
	s_add_i32 s97, s5, s7
	s_mul_i32 s3, s3, s1
	s_add_u32 vcc_hi, s22, s96
	s_addc_u32 s66, s23, s97
	s_add_i32 s3, s4, s3
	s_mul_hi_u32 s5, s1, s34
	s_mul_i32 s80, s3, 40
	s_mul_i32 s3, s1, s35
	s_lshl_b64 s[6:7], s[80:81], 3
	v_cmp_gt_i32_e32 vcc_lo, s33, v173
	s_add_u32 s57, s28, s6
	s_addc_u32 s73, s29, s7
	s_add_i32 s3, s5, s3
	s_delay_alu instid0(SALU_CYCLE_1)
	s_add_i32 s98, s3, s13
	s_add_u32 s1, s20, s100
	s_addc_u32 s2, s21, s98
	s_ashr_i32 s101, s72, 31
	s_add_u32 s80, s1, s72
	s_addc_u32 s102, s2, s101
	s_ashr_i32 s5, s4, 31
	s_delay_alu instid0(SALU_CYCLE_1) | instskip(NEXT) | instid1(SALU_CYCLE_1)
	s_lshl_b64 s[2:3], s[4:5], 2
	s_add_u32 s1, s24, s2
	s_addc_u32 s2, s25, s3
	v_readlane_b32 s3, v255, 16
	s_delay_alu instid0(VALU_DEP_1)
	s_and_b32 s3, s3, exec_lo
	s_cselect_b32 s79, 0, s2
	s_cselect_b32 s78, 0, s1
	s_cmp_lg_u32 s10, 0
	s_cbranch_scc0 .LBB9_100
; %bb.18:                               ;   in Loop: Header=BB9_15 Depth=1
	s_lshl_b32 s2, s0, 4
	s_xor_b32 s3, vcc_lo, -1
	v_add_nc_u32_e32 v15, s2, v215
	s_delay_alu instid0(VALU_DEP_1) | instskip(NEXT) | instid1(VALU_DEP_1)
	v_cmp_le_i32_e64 s1, s44, v15
	s_or_b32 s1, s1, s3
	s_delay_alu instid0(SALU_CYCLE_1) | instskip(NEXT) | instid1(SALU_CYCLE_1)
	s_and_saveexec_b32 s4, s1
	s_xor_b32 s1, exec_lo, s4
	s_cbranch_execz .LBB9_20
; %bb.19:                               ;   in Loop: Header=BB9_15 Depth=1
	ds_store_b32 v167, v218
.LBB9_20:                               ;   in Loop: Header=BB9_15 Depth=1
	s_and_not1_saveexec_b32 s1, s1
	s_cbranch_execz .LBB9_22
; %bb.21:                               ;   in Loop: Header=BB9_15 Depth=1
	v_mad_u64_u32 v[0:1], null, v15, s65, v[249:250]
	s_delay_alu instid0(VALU_DEP_1) | instskip(NEXT) | instid1(VALU_DEP_1)
	v_ashrrev_i32_e32 v1, 31, v0
	v_lshlrev_b64 v[0:1], 3, v[0:1]
	s_delay_alu instid0(VALU_DEP_1) | instskip(NEXT) | instid1(VALU_DEP_2)
	v_add_co_u32 v0, vcc_lo, s69, v0
	v_add_co_ci_u32_e32 v1, vcc_lo, s58, v1, vcc_lo
	global_load_b64 v[0:1], v[0:1], off
	s_waitcnt vmcnt(0)
	v_cvt_f16_f32_e32 v0, v0
	v_cvt_f16_f32_e32 v1, v1
	s_delay_alu instid0(VALU_DEP_1) | instskip(NEXT) | instid1(VALU_DEP_1)
	v_pack_b32_f16 v0, v0, v1
	v_pk_mul_f16 v0, v220, v0
	ds_store_b32 v167, v0
.LBB9_22:                               ;   in Loop: Header=BB9_15 Depth=1
	s_or_b32 exec_lo, exec_lo, s1
	scratch_load_b32 v0, off, off offset:108 ; 4-byte Folded Reload
	s_waitcnt vmcnt(0)
	v_add_nc_u32_e32 v14, s2, v0
	s_delay_alu instid0(VALU_DEP_1) | instskip(SKIP_1) | instid1(SALU_CYCLE_1)
	v_cmp_le_i32_e32 vcc_lo, s44, v14
	s_or_b32 s1, vcc_lo, s3
	s_and_saveexec_b32 s4, s1
	s_delay_alu instid0(SALU_CYCLE_1)
	s_xor_b32 s1, exec_lo, s4
	s_cbranch_execz .LBB9_24
; %bb.23:                               ;   in Loop: Header=BB9_15 Depth=1
	scratch_load_b32 v0, off, off offset:68 ; 4-byte Folded Reload
	s_waitcnt vmcnt(0)
	ds_store_b32 v0, v218
.LBB9_24:                               ;   in Loop: Header=BB9_15 Depth=1
	s_and_not1_saveexec_b32 s1, s1
	s_cbranch_execz .LBB9_26
; %bb.25:                               ;   in Loop: Header=BB9_15 Depth=1
	v_mad_u64_u32 v[0:1], null, v14, s65, v[249:250]
	s_delay_alu instid0(VALU_DEP_1) | instskip(NEXT) | instid1(VALU_DEP_1)
	v_ashrrev_i32_e32 v1, 31, v0
	v_lshlrev_b64 v[0:1], 3, v[0:1]
	s_delay_alu instid0(VALU_DEP_1) | instskip(NEXT) | instid1(VALU_DEP_2)
	v_add_co_u32 v0, vcc_lo, s69, v0
	v_add_co_ci_u32_e32 v1, vcc_lo, s58, v1, vcc_lo
	global_load_b64 v[0:1], v[0:1], off
	s_waitcnt vmcnt(0)
	v_cvt_f16_f32_e32 v0, v0
	v_cvt_f16_f32_e32 v1, v1
	s_delay_alu instid0(VALU_DEP_1)
	v_pack_b32_f16 v0, v0, v1
	scratch_load_b32 v1, off, off offset:68 ; 4-byte Folded Reload
	v_pk_mul_f16 v0, v220, v0
	s_waitcnt vmcnt(0)
	ds_store_b32 v1, v0
.LBB9_26:                               ;   in Loop: Header=BB9_15 Depth=1
	s_or_b32 exec_lo, exec_lo, s1
	scratch_load_b32 v0, off, off offset:112 ; 4-byte Folded Reload
	s_waitcnt vmcnt(0)
	v_add_nc_u32_e32 v13, s2, v0
	s_delay_alu instid0(VALU_DEP_1) | instskip(SKIP_1) | instid1(SALU_CYCLE_1)
	v_cmp_le_i32_e32 vcc_lo, s44, v13
	s_or_b32 s1, vcc_lo, s3
	s_and_saveexec_b32 s4, s1
	s_delay_alu instid0(SALU_CYCLE_1)
	s_xor_b32 s1, exec_lo, s4
	s_cbranch_execz .LBB9_28
; %bb.27:                               ;   in Loop: Header=BB9_15 Depth=1
	scratch_load_b32 v0, off, off offset:72 ; 4-byte Folded Reload
	s_waitcnt vmcnt(0)
	ds_store_b32 v0, v218
.LBB9_28:                               ;   in Loop: Header=BB9_15 Depth=1
	s_and_not1_saveexec_b32 s1, s1
	s_cbranch_execz .LBB9_30
; %bb.29:                               ;   in Loop: Header=BB9_15 Depth=1
	v_mad_u64_u32 v[0:1], null, v13, s65, v[249:250]
	s_delay_alu instid0(VALU_DEP_1) | instskip(NEXT) | instid1(VALU_DEP_1)
	v_ashrrev_i32_e32 v1, 31, v0
	v_lshlrev_b64 v[0:1], 3, v[0:1]
	s_delay_alu instid0(VALU_DEP_1) | instskip(NEXT) | instid1(VALU_DEP_2)
	v_add_co_u32 v0, vcc_lo, s69, v0
	v_add_co_ci_u32_e32 v1, vcc_lo, s58, v1, vcc_lo
	global_load_b64 v[0:1], v[0:1], off
	s_waitcnt vmcnt(0)
	v_cvt_f16_f32_e32 v0, v0
	v_cvt_f16_f32_e32 v1, v1
	s_delay_alu instid0(VALU_DEP_1)
	v_pack_b32_f16 v0, v0, v1
	scratch_load_b32 v1, off, off offset:72 ; 4-byte Folded Reload
	v_pk_mul_f16 v0, v220, v0
	s_waitcnt vmcnt(0)
	ds_store_b32 v1, v0
.LBB9_30:                               ;   in Loop: Header=BB9_15 Depth=1
	s_or_b32 exec_lo, exec_lo, s1
	scratch_load_b32 v0, off, off offset:116 ; 4-byte Folded Reload
	s_waitcnt vmcnt(0)
	v_add_nc_u32_e32 v12, s2, v0
	s_delay_alu instid0(VALU_DEP_1) | instskip(SKIP_1) | instid1(SALU_CYCLE_1)
	v_cmp_le_i32_e32 vcc_lo, s44, v12
	s_or_b32 s1, vcc_lo, s3
	s_and_saveexec_b32 s4, s1
	s_delay_alu instid0(SALU_CYCLE_1)
	s_xor_b32 s1, exec_lo, s4
	s_cbranch_execz .LBB9_32
; %bb.31:                               ;   in Loop: Header=BB9_15 Depth=1
	ds_store_b32 v186, v218
.LBB9_32:                               ;   in Loop: Header=BB9_15 Depth=1
	s_and_not1_saveexec_b32 s1, s1
	s_cbranch_execz .LBB9_34
; %bb.33:                               ;   in Loop: Header=BB9_15 Depth=1
	v_mad_u64_u32 v[0:1], null, v12, s65, v[249:250]
	s_delay_alu instid0(VALU_DEP_1) | instskip(NEXT) | instid1(VALU_DEP_1)
	v_ashrrev_i32_e32 v1, 31, v0
	v_lshlrev_b64 v[0:1], 3, v[0:1]
	s_delay_alu instid0(VALU_DEP_1) | instskip(NEXT) | instid1(VALU_DEP_2)
	v_add_co_u32 v0, vcc_lo, s69, v0
	v_add_co_ci_u32_e32 v1, vcc_lo, s58, v1, vcc_lo
	global_load_b64 v[0:1], v[0:1], off
	s_waitcnt vmcnt(0)
	v_cvt_f16_f32_e32 v0, v0
	v_cvt_f16_f32_e32 v1, v1
	s_delay_alu instid0(VALU_DEP_1) | instskip(NEXT) | instid1(VALU_DEP_1)
	v_pack_b32_f16 v0, v0, v1
	v_pk_mul_f16 v0, v220, v0
	ds_store_b32 v186, v0
.LBB9_34:                               ;   in Loop: Header=BB9_15 Depth=1
	s_or_b32 exec_lo, exec_lo, s1
	scratch_load_b32 v0, off, off offset:120 ; 4-byte Folded Reload
	s_waitcnt vmcnt(0)
	v_add_nc_u32_e32 v11, s2, v0
	s_delay_alu instid0(VALU_DEP_1) | instskip(SKIP_1) | instid1(SALU_CYCLE_1)
	v_cmp_le_i32_e32 vcc_lo, s44, v11
	s_or_b32 s1, vcc_lo, s3
	s_and_saveexec_b32 s4, s1
	s_delay_alu instid0(SALU_CYCLE_1)
	s_xor_b32 s1, exec_lo, s4
	s_cbranch_execz .LBB9_36
; %bb.35:                               ;   in Loop: Header=BB9_15 Depth=1
	ds_store_b32 v186, v218 offset:704
.LBB9_36:                               ;   in Loop: Header=BB9_15 Depth=1
	s_and_not1_saveexec_b32 s1, s1
	s_cbranch_execz .LBB9_38
; %bb.37:                               ;   in Loop: Header=BB9_15 Depth=1
	v_mad_u64_u32 v[0:1], null, v11, s65, v[249:250]
	s_delay_alu instid0(VALU_DEP_1) | instskip(NEXT) | instid1(VALU_DEP_1)
	v_ashrrev_i32_e32 v1, 31, v0
	v_lshlrev_b64 v[0:1], 3, v[0:1]
	s_delay_alu instid0(VALU_DEP_1) | instskip(NEXT) | instid1(VALU_DEP_2)
	v_add_co_u32 v0, vcc_lo, s69, v0
	v_add_co_ci_u32_e32 v1, vcc_lo, s58, v1, vcc_lo
	global_load_b64 v[0:1], v[0:1], off
	s_waitcnt vmcnt(0)
	v_cvt_f16_f32_e32 v0, v0
	v_cvt_f16_f32_e32 v1, v1
	s_delay_alu instid0(VALU_DEP_1) | instskip(NEXT) | instid1(VALU_DEP_1)
	v_pack_b32_f16 v0, v0, v1
	v_pk_mul_f16 v0, v220, v0
	ds_store_b32 v186, v0 offset:704
.LBB9_38:                               ;   in Loop: Header=BB9_15 Depth=1
	s_or_b32 exec_lo, exec_lo, s1
	scratch_load_b32 v0, off, off offset:124 ; 4-byte Folded Reload
	s_waitcnt vmcnt(0)
	v_add_nc_u32_e32 v10, s2, v0
	s_delay_alu instid0(VALU_DEP_1) | instskip(SKIP_1) | instid1(SALU_CYCLE_1)
	v_cmp_le_i32_e32 vcc_lo, s44, v10
	s_or_b32 s1, vcc_lo, s3
	s_and_saveexec_b32 s4, s1
	s_delay_alu instid0(SALU_CYCLE_1)
	s_xor_b32 s1, exec_lo, s4
	s_cbranch_execz .LBB9_40
; %bb.39:                               ;   in Loop: Header=BB9_15 Depth=1
	ds_store_b32 v186, v218 offset:1408
.LBB9_40:                               ;   in Loop: Header=BB9_15 Depth=1
	s_and_not1_saveexec_b32 s1, s1
	s_cbranch_execz .LBB9_42
; %bb.41:                               ;   in Loop: Header=BB9_15 Depth=1
	v_mad_u64_u32 v[0:1], null, v10, s65, v[249:250]
	s_delay_alu instid0(VALU_DEP_1) | instskip(NEXT) | instid1(VALU_DEP_1)
	v_ashrrev_i32_e32 v1, 31, v0
	v_lshlrev_b64 v[0:1], 3, v[0:1]
	s_delay_alu instid0(VALU_DEP_1) | instskip(NEXT) | instid1(VALU_DEP_2)
	v_add_co_u32 v0, vcc_lo, s69, v0
	v_add_co_ci_u32_e32 v1, vcc_lo, s58, v1, vcc_lo
	global_load_b64 v[0:1], v[0:1], off
	s_waitcnt vmcnt(0)
	v_cvt_f16_f32_e32 v0, v0
	v_cvt_f16_f32_e32 v1, v1
	s_delay_alu instid0(VALU_DEP_1) | instskip(NEXT) | instid1(VALU_DEP_1)
	v_pack_b32_f16 v0, v0, v1
	v_pk_mul_f16 v0, v220, v0
	ds_store_b32 v186, v0 offset:1408
.LBB9_42:                               ;   in Loop: Header=BB9_15 Depth=1
	;; [unrolled: 33-line block ×12, first 2 shown]
	s_or_b32 exec_lo, exec_lo, s1
	scratch_load_b32 v0, off, off offset:92 ; 4-byte Folded Reload
	v_or_b32_e32 v178, s14, v206
	s_delay_alu instid0(VALU_DEP_1) | instskip(SKIP_3) | instid1(VALU_DEP_1)
	v_cmp_gt_i32_e32 vcc_lo, s33, v178
	s_xor_b32 s3, vcc_lo, -1
	s_waitcnt vmcnt(0)
	v_add_nc_u32_e32 v176, s2, v0
	v_cmp_le_i32_e64 s1, s44, v176
	s_delay_alu instid0(VALU_DEP_1) | instskip(NEXT) | instid1(SALU_CYCLE_1)
	s_or_b32 s1, s1, s3
	s_and_saveexec_b32 s4, s1
	s_delay_alu instid0(SALU_CYCLE_1)
	s_xor_b32 s1, exec_lo, s4
	s_cbranch_execz .LBB9_84
; %bb.83:                               ;   in Loop: Header=BB9_15 Depth=1
	ds_store_b32 v165, v218 offset:128
.LBB9_84:                               ;   in Loop: Header=BB9_15 Depth=1
	s_and_not1_saveexec_b32 s1, s1
	s_cbranch_execz .LBB9_86
; %bb.85:                               ;   in Loop: Header=BB9_15 Depth=1
	v_mad_u64_u32 v[0:1], null, v176, s65, v[207:208]
	s_delay_alu instid0(VALU_DEP_1) | instskip(NEXT) | instid1(VALU_DEP_1)
	v_ashrrev_i32_e32 v1, 31, v0
	v_lshlrev_b64 v[0:1], 3, v[0:1]
	s_delay_alu instid0(VALU_DEP_1) | instskip(NEXT) | instid1(VALU_DEP_2)
	v_add_co_u32 v0, vcc_lo, s69, v0
	v_add_co_ci_u32_e32 v1, vcc_lo, s58, v1, vcc_lo
	global_load_b64 v[0:1], v[0:1], off
	s_waitcnt vmcnt(0)
	v_cvt_f16_f32_e32 v0, v0
	v_cvt_f16_f32_e32 v1, v1
	s_delay_alu instid0(VALU_DEP_1) | instskip(NEXT) | instid1(VALU_DEP_1)
	v_pack_b32_f16 v0, v0, v1
	v_pk_mul_f16 v0, v220, v0
	ds_store_b32 v165, v0 offset:128
.LBB9_86:                               ;   in Loop: Header=BB9_15 Depth=1
	s_or_b32 exec_lo, exec_lo, s1
	scratch_load_b32 v0, off, off offset:96 ; 4-byte Folded Reload
	s_waitcnt vmcnt(0)
	v_add_nc_u32_e32 v175, s2, v0
	s_delay_alu instid0(VALU_DEP_1) | instskip(SKIP_1) | instid1(SALU_CYCLE_1)
	v_cmp_le_i32_e32 vcc_lo, s44, v175
	s_or_b32 s1, vcc_lo, s3
	s_and_saveexec_b32 s4, s1
	s_delay_alu instid0(SALU_CYCLE_1)
	s_xor_b32 s1, exec_lo, s4
	s_cbranch_execz .LBB9_88
; %bb.87:                               ;   in Loop: Header=BB9_15 Depth=1
	ds_store_b32 v166, v218 offset:128
.LBB9_88:                               ;   in Loop: Header=BB9_15 Depth=1
	s_and_not1_saveexec_b32 s1, s1
	s_cbranch_execz .LBB9_90
; %bb.89:                               ;   in Loop: Header=BB9_15 Depth=1
	v_mad_u64_u32 v[0:1], null, v175, s65, v[207:208]
	s_delay_alu instid0(VALU_DEP_1) | instskip(NEXT) | instid1(VALU_DEP_1)
	v_ashrrev_i32_e32 v1, 31, v0
	v_lshlrev_b64 v[0:1], 3, v[0:1]
	s_delay_alu instid0(VALU_DEP_1) | instskip(NEXT) | instid1(VALU_DEP_2)
	v_add_co_u32 v0, vcc_lo, s69, v0
	v_add_co_ci_u32_e32 v1, vcc_lo, s58, v1, vcc_lo
	global_load_b64 v[0:1], v[0:1], off
	s_waitcnt vmcnt(0)
	v_cvt_f16_f32_e32 v0, v0
	v_cvt_f16_f32_e32 v1, v1
	s_delay_alu instid0(VALU_DEP_1) | instskip(NEXT) | instid1(VALU_DEP_1)
	v_pack_b32_f16 v0, v0, v1
	v_pk_mul_f16 v0, v220, v0
	ds_store_b32 v166, v0 offset:128
.LBB9_90:                               ;   in Loop: Header=BB9_15 Depth=1
	s_or_b32 exec_lo, exec_lo, s1
	scratch_load_b32 v0, off, off offset:100 ; 4-byte Folded Reload
	s_waitcnt vmcnt(0)
	v_add_nc_u32_e32 v174, s2, v0
	s_delay_alu instid0(VALU_DEP_1) | instskip(SKIP_1) | instid1(SALU_CYCLE_1)
	v_cmp_le_i32_e32 vcc_lo, s44, v174
	s_or_b32 s1, vcc_lo, s3
	;; [unrolled: 33-line block ×3, first 2 shown]
	s_and_saveexec_b32 s3, s1
	s_delay_alu instid0(SALU_CYCLE_1)
	s_xor_b32 s1, exec_lo, s3
	s_cbranch_execz .LBB9_96
; %bb.95:                               ;   in Loop: Header=BB9_15 Depth=1
	ds_store_b32 v166, v218 offset:5760
.LBB9_96:                               ;   in Loop: Header=BB9_15 Depth=1
	s_and_not1_saveexec_b32 s1, s1
	s_cbranch_execz .LBB9_98
; %bb.97:                               ;   in Loop: Header=BB9_15 Depth=1
	v_mad_u64_u32 v[0:1], null, v4, s65, v[207:208]
	s_delay_alu instid0(VALU_DEP_1) | instskip(NEXT) | instid1(VALU_DEP_1)
	v_ashrrev_i32_e32 v1, 31, v0
	v_lshlrev_b64 v[0:1], 3, v[0:1]
	s_delay_alu instid0(VALU_DEP_1) | instskip(NEXT) | instid1(VALU_DEP_2)
	v_add_co_u32 v0, vcc_lo, s69, v0
	v_add_co_ci_u32_e32 v1, vcc_lo, s58, v1, vcc_lo
	global_load_b64 v[0:1], v[0:1], off
	s_waitcnt vmcnt(0)
	v_cvt_f16_f32_e32 v0, v0
	v_cvt_f16_f32_e32 v1, v1
	s_delay_alu instid0(VALU_DEP_1) | instskip(NEXT) | instid1(VALU_DEP_1)
	v_pack_b32_f16 v0, v0, v1
	v_pk_mul_f16 v0, v220, v0
	ds_store_b32 v166, v0 offset:5760
.LBB9_98:                               ;   in Loop: Header=BB9_15 Depth=1
	s_or_b32 exec_lo, exec_lo, s1
	s_clause 0xa
	scratch_store_b32 off, v13, off offset:232
	scratch_store_b32 off, v12, off offset:240
	;; [unrolled: 1-line block ×11, first 2 shown]
	scratch_load_b32 v0, off, off offset:88 ; 4-byte Folded Reload
	s_waitcnt vmcnt(0) lgkmcnt(0)
	s_waitcnt_vscnt null, 0x0
	s_barrier
	buffer_gl0_inv
	v_add_nc_u32_e32 v80, s2, v201
	v_add_nc_u32_e32 v81, s2, v190
	;; [unrolled: 1-line block ×4, first 2 shown]
	s_add_i32 s13, s8, -1
	v_mul_hi_u32 v87, s54, v80
	v_mul_hi_u32 v86, s54, v81
	;; [unrolled: 1-line block ×4, first 2 shown]
	s_cmp_gt_i32 s13, s10
	v_add_nc_u32_e32 v0, v254, v0
	ds_load_b128 v[72:75], v0
	ds_load_b128 v[76:79], v0 offset:16
	ds_load_b128 v[64:67], v0 offset:32
	;; [unrolled: 1-line block ×9, first 2 shown]
	s_waitcnt lgkmcnt(0)
	s_barrier
	buffer_gl0_inv
	scratch_store_b32 off, v15, off offset:84 ; 4-byte Folded Spill
	s_cbranch_scc1 .LBB9_101
; %bb.99:                               ;   in Loop: Header=BB9_15 Depth=1
	v_dual_mov_b32 v129, 32 :: v_dual_add_nc_u32 v0, v80, v87
	v_add_nc_u32_e32 v1, v81, v86
	v_add_nc_u32_e32 v2, v82, v85
	;; [unrolled: 1-line block ×3, first 2 shown]
	s_delay_alu instid0(VALU_DEP_4)
	v_lshrrev_b32_e32 v0, s55, v0
	s_mov_b32 s1, 0
	v_lshrrev_b32_e32 v1, s55, v1
	v_lshrrev_b32_e32 v2, s55, v2
	;; [unrolled: 1-line block ×3, first 2 shown]
	v_mul_lo_u32 v0, v0, s44
	s_mov_b32 s2, 0xfeffffff
	v_mul_lo_u32 v1, v1, s44
	v_mul_lo_u32 v2, v2, s44
	v_mul_lo_u32 v3, v3, s44
	s_mov_b32 s3, 0
	s_delay_alu instid0(VALU_DEP_4) | instskip(NEXT) | instid1(VALU_DEP_4)
	v_sub_nc_u32_e32 v0, v80, v0
	v_sub_nc_u32_e32 v1, v81, v1
	s_delay_alu instid0(VALU_DEP_4) | instskip(NEXT) | instid1(VALU_DEP_4)
	v_sub_nc_u32_e32 v2, v82, v2
	v_sub_nc_u32_e32 v3, v83, v3
	s_delay_alu instid0(VALU_DEP_4)
	v_mad_i64_i32 v[226:227], null, v0, s56, 0
	scratch_load_b32 v0, off, off offset:64 ; 4-byte Folded Reload
	v_mad_i64_i32 v[217:218], null, v1, s56, 0
	v_mad_i64_i32 v[183:184], null, v2, s56, 0
	;; [unrolled: 1-line block ×3, first 2 shown]
	s_waitcnt vmcnt(0)
	v_xor_b32_e32 v128, 16, v0
	s_branch .LBB9_102
.LBB9_100:                              ;   in Loop: Header=BB9_15 Depth=1
                                        ; implicit-def: $vgpr1
                                        ; implicit-def: $vgpr172
	s_cbranch_execnz .LBB9_208
	s_branch .LBB9_397
.LBB9_101:                              ;   in Loop: Header=BB9_15 Depth=1
	s_mov_b32 s1, -1
                                        ; implicit-def: $sgpr3
                                        ; implicit-def: $sgpr2
                                        ; implicit-def: $vgpr226_vgpr227
                                        ; implicit-def: $vgpr217_vgpr218
                                        ; implicit-def: $vgpr183_vgpr184
                                        ; implicit-def: $vgpr181_vgpr182
                                        ; implicit-def: $vgpr128
                                        ; implicit-def: $vgpr129
.LBB9_102:                              ;   in Loop: Header=BB9_15 Depth=1
	s_clause 0x1
	scratch_store_b32 off, v14, off offset:80
	scratch_store_b32 off, v4, off offset:76
	v_dual_mov_b32 v7, s3 :: v_dual_mov_b32 v6, s3
	v_dual_mov_b32 v5, s3 :: v_dual_mov_b32 v4, s3
	;; [unrolled: 1-line block ×21, first 2 shown]
	s_and_not1_b32 vcc_lo, exec_lo, s1
	s_cbranch_vccnz .LBB9_106
; %bb.103:                              ;   in Loop: Header=BB9_15 Depth=1
	s_clause 0x7
	scratch_store_b32 off, v187, off offset:336
	scratch_store_b32 off, v180, off offset:332
	;; [unrolled: 1-line block ×8, first 2 shown]
	scratch_load_b32 v4, off, off offset:64 ; 4-byte Folded Reload
	v_dual_mov_b32 v185, 0 :: v_dual_add_nc_u32 v0, v80, v87
	v_dual_mov_b32 v24, 0 :: v_dual_add_nc_u32 v3, v83, v84
	v_dual_mov_b32 v195, v221 :: v_dual_lshlrev_b32 v84, 1, v195
	s_delay_alu instid0(VALU_DEP_3)
	v_dual_mov_b32 v35, v185 :: v_dual_add_nc_u32 v2, v82, v85
	v_mov_b32_e32 v25, v185
	v_lshrrev_b32_e32 v0, s55, v0
	v_lshrrev_b32_e32 v3, s55, v3
	v_dual_mov_b32 v27, v185 :: v_dual_mov_b32 v32, 0
	v_lshrrev_b32_e32 v2, s55, v2
	s_delay_alu instid0(VALU_DEP_4) | instskip(NEXT) | instid1(VALU_DEP_4)
	v_mul_lo_u32 v0, v0, s44
	v_mul_lo_u32 v3, v3, s44
	v_mov_b32_e32 v28, v185
	v_dual_mov_b32 v29, v185 :: v_dual_mov_b32 v16, 0
	v_mul_lo_u32 v2, v2, s44
	v_mov_b32_e32 v30, v185
	v_dual_mov_b32 v31, v185 :: v_dual_mov_b32 v8, 0
	v_sub_nc_u32_e32 v80, v80, v0
	v_sub_nc_u32_e32 v83, v83, v3
	v_dual_mov_b32 v33, v185 :: v_dual_mov_b32 v0, 0
	v_sub_nc_u32_e32 v82, v82, v2
	s_delay_alu instid0(VALU_DEP_4) | instskip(NEXT) | instid1(VALU_DEP_4)
	v_mad_i64_i32 v[226:227], null, v80, s56, 0
	v_mad_i64_i32 v[181:182], null, v83, s56, 0
	s_delay_alu instid0(VALU_DEP_3)
	v_mad_i64_i32 v[183:184], null, v82, s56, 0
	v_mov_b32_e32 v34, v185
	v_mov_b32_e32 v36, v185
	v_dual_mov_b32 v37, v185 :: v_dual_mov_b32 v248, 0xfeffffff
	v_mov_b32_e32 v38, v185
	v_mov_b32_e32 v39, v185
	;; [unrolled: 1-line block ×20, first 2 shown]
	s_lshl_b32 s6, s10, 6
	v_mov_b32_e32 v26, v185
	s_waitcnt vmcnt(0)
	v_xor_b32_e32 v5, 16, v4
	scratch_store_b32 off, v5, off offset:340 ; 4-byte Folded Spill
	s_clause 0x4
	scratch_load_b64 v[220:221], off, off offset:172
	scratch_load_b64 v[252:253], off, off offset:180
	scratch_load_b64 v[206:207], off, off offset:188
	scratch_load_b32 v219, off, off offset:60
	scratch_load_b32 v250, off, off offset:196
	v_cmp_gt_i32_e32 vcc_lo, 32, v5
	v_dual_cndmask_b32 v4, v4, v5 :: v_dual_add_nc_u32 v1, v81, v86
	s_delay_alu instid0(VALU_DEP_1) | instskip(SKIP_2) | instid1(VALU_DEP_4)
	v_lshrrev_b32_e32 v1, s55, v1
	v_add_co_u32 v197, s1, vcc_hi, v84
	v_mov_b32_e32 v5, v185
	v_lshlrev_b32_e32 v249, 2, v4
	s_delay_alu instid0(VALU_DEP_4) | instskip(SKIP_2) | instid1(VALU_DEP_3)
	v_mul_lo_u32 v1, v1, s44
	v_mov_b32_e32 v4, v185
	v_add_co_ci_u32_e64 v254, null, s66, 0, s1
	v_sub_nc_u32_e32 v81, v81, v1
	v_mov_b32_e32 v1, v185
	s_delay_alu instid0(VALU_DEP_2)
	v_mad_i64_i32 v[217:218], null, v81, s56, 0
.LBB9_104:                              ;   Parent Loop BB9_15 Depth=1
                                        ; =>  This Inner Loop Header: Depth=2
	s_ashr_i32 s7, s6, 31
	v_lshlrev_b64 v[80:81], 1, v[226:227]
	s_lshl_b64 s[2:3], s[6:7], 1
	s_delay_alu instid0(VALU_DEP_2) | instskip(SKIP_3) | instid1(VALU_DEP_3)
	v_lshlrev_b64 v[82:83], 1, v[217:218]
	v_add_co_u32 v88, vcc_lo, v197, s2
	v_add_co_ci_u32_e32 v89, vcc_lo, s3, v254, vcc_lo
	v_lshlrev_b64 v[84:85], 1, v[183:184]
	v_add_co_u32 v80, vcc_lo, v88, v80
	s_delay_alu instid0(VALU_DEP_3)
	v_add_co_ci_u32_e32 v81, vcc_lo, v89, v81, vcc_lo
	v_add_co_u32 v82, vcc_lo, v88, v82
	v_lshlrev_b64 v[86:87], 1, v[181:182]
	v_add_co_ci_u32_e32 v83, vcc_lo, v89, v83, vcc_lo
	v_add_co_u32 v84, vcc_lo, v88, v84
	v_add_co_ci_u32_e32 v85, vcc_lo, v89, v85, vcc_lo
	s_delay_alu instid0(VALU_DEP_4)
	v_add_co_u32 v86, vcc_lo, v88, v86
	v_add_co_ci_u32_e32 v87, vcc_lo, v89, v87, vcc_lo
	s_clause 0x3
	global_load_b32 v80, v[80:81], off
	global_load_b32 v81, v[82:83], off
	;; [unrolled: 1-line block ×4, first 2 shown]
	scratch_load_b32 v84, off, off          ; 4-byte Folded Reload
	s_mul_hi_i32 s3, s6, s52
	s_mul_i32 s2, s6, s52
	v_mov_b32_e32 v119, s43
	s_lshl_b64 s[2:3], s[2:3], 2
	v_dual_mov_b32 v116, s40 :: v_dual_mov_b32 v115, s39
	s_add_u32 s1, s103, s2
	s_addc_u32 s2, s104, s3
	v_dual_mov_b32 v114, s38 :: v_dual_mov_b32 v113, s37
	v_mov_b32_e32 v112, s36
	s_mul_hi_i32 s3, s6, s46
	v_dual_mov_b32 v118, s42 :: v_dual_mov_b32 v117, s41
	s_waitcnt vmcnt(0)
	v_add_nc_u32_e32 v84, v195, v84
	s_delay_alu instid0(VALU_DEP_1)
	v_add_nc_u32_e32 v85, 0x2c00, v84
	ds_store_2addr_b32 v85, v80, v81 offset1:144
	v_add_nc_u32_e32 v80, 0x3000, v84
	ds_store_2addr_b32 v80, v82, v83 offset0:32 offset1:176
	v_add_co_u32 v80, vcc_lo, s1, v245
	v_add_co_ci_u32_e32 v81, vcc_lo, s2, v246, vcc_lo
	s_delay_alu instid0(VALU_DEP_2) | instskip(NEXT) | instid1(VALU_DEP_2)
	v_add_co_u32 v80, vcc_lo, v80, v251
	v_add_co_ci_u32_e32 v81, vcc_lo, 0, v81, vcc_lo
	v_add_co_u32 v82, vcc_lo, s1, v188
	v_add_co_ci_u32_e32 v83, vcc_lo, s2, v189, vcc_lo
	s_delay_alu instid0(VALU_DEP_2) | instskip(NEXT) | instid1(VALU_DEP_2)
	v_add_co_u32 v84, vcc_lo, v82, v250
	v_add_co_ci_u32_e32 v85, vcc_lo, 0, v83, vcc_lo
	s_clause 0x1
	global_load_b128 v[80:83], v[80:81], off offset:128
	global_load_b128 v[84:87], v[84:85], off
	s_waitcnt vmcnt(1)
	ds_store_b128 v198, v[80:83]
	v_add_co_u32 v80, vcc_lo, s1, v208
	v_add_co_ci_u32_e32 v81, vcc_lo, s2, v209, vcc_lo
	s_delay_alu instid0(VALU_DEP_2) | instskip(NEXT) | instid1(VALU_DEP_2)
	v_add_co_u32 v80, vcc_lo, v80, v250
	v_add_co_ci_u32_e32 v81, vcc_lo, 0, v81, vcc_lo
	v_add_co_u32 v82, vcc_lo, s1, v210
	v_add_co_ci_u32_e32 v83, vcc_lo, s2, v211, vcc_lo
	s_delay_alu instid0(VALU_DEP_2) | instskip(NEXT) | instid1(VALU_DEP_2)
	v_add_co_u32 v88, vcc_lo, v82, v250
	v_add_co_ci_u32_e32 v89, vcc_lo, 0, v83, vcc_lo
	s_clause 0x1
	global_load_b128 v[80:83], v[80:81], off
	global_load_b128 v[88:91], v[88:89], off
	s_waitcnt vmcnt(2)
	ds_store_b128 v204, v[84:87]
	s_waitcnt vmcnt(1)
	ds_store_b128 v205, v[80:83]
	v_add_co_u32 v80, vcc_lo, s1, v212
	v_add_co_ci_u32_e32 v81, vcc_lo, s2, v213, vcc_lo
	s_mul_i32 s2, s6, s46
	s_delay_alu instid0(VALU_DEP_2) | instskip(NEXT) | instid1(VALU_DEP_2)
	v_add_co_u32 v80, vcc_lo, v80, v250
	v_add_co_ci_u32_e32 v81, vcc_lo, 0, v81, vcc_lo
	s_lshl_b64 s[2:3], s[2:3], 2
	s_delay_alu instid0(SALU_CYCLE_1)
	s_add_u32 s1, s80, s2
	global_load_b128 v[80:83], v[80:81], off
	s_addc_u32 s2, s102, s3
	v_cmp_eq_u32_e64 s3, 0, v203
	s_add_i32 s10, s10, 1
	s_add_i32 s6, s6, 64
	s_cmp_lt_i32 s10, s13
	s_waitcnt vmcnt(1)
	ds_store_b128 v247, v[88:91]
	s_waitcnt vmcnt(0)
	ds_store_b128 v222, v[80:83]
	s_waitcnt lgkmcnt(0)
	s_waitcnt_vscnt null, 0x0
	s_barrier
	buffer_gl0_inv
	ds_load_b128 v[80:83], v223
	ds_load_b128 v[84:87], v223 offset:16
	ds_load_b128 v[88:91], v223 offset:2816
	;; [unrolled: 1-line block ×7, first 2 shown]
	s_waitcnt lgkmcnt(6)
	v_wmma_f32_16x16x16_f16 v[120:127], v[80:87], v[72:79], v[112:119]
	ds_load_b128 v[80:83], v223 offset:32
	ds_load_b128 v[84:87], v223 offset:48
	s_waitcnt lgkmcnt(6)
	v_wmma_f32_16x16x16_f16 v[128:135], v[88:95], v[72:79], v[112:119]
	s_waitcnt lgkmcnt(4)
	v_wmma_f32_16x16x16_f16 v[88:95], v[96:103], v[72:79], v[112:119]
	;; [unrolled: 2-line block ×4, first 2 shown]
	ds_load_b128 v[80:83], v223 offset:2848
	ds_load_b128 v[84:87], v223 offset:2864
	s_waitcnt lgkmcnt(0)
	v_wmma_f32_16x16x16_f16 v[128:135], v[80:87], v[64:71], v[128:135]
	ds_load_b128 v[80:83], v223 offset:5664
	ds_load_b128 v[84:87], v223 offset:5680
	s_waitcnt lgkmcnt(0)
	v_wmma_f32_16x16x16_f16 v[88:95], v[80:87], v[64:71], v[88:95]
	;; [unrolled: 4-line block ×14, first 2 shown]
	ds_load_b128 v[80:83], v223 offset:8576
	ds_load_b128 v[84:87], v223 offset:8592
	s_waitcnt lgkmcnt(0)
	s_barrier
	buffer_gl0_inv
	v_wmma_f32_16x16x16_f16 v[96:103], v[80:87], v[56:63], v[96:103]
	ds_load_u16 v80, v224
	ds_load_u16 v81, v224 offset:4
	ds_load_u16 v82, v224 offset:8
	;; [unrolled: 1-line block ×7, first 2 shown]
	s_waitcnt lgkmcnt(7)
	v_cvt_f32_f16_e32 v80, v80
	s_waitcnt lgkmcnt(6)
	v_cvt_f32_f16_e32 v81, v81
	;; [unrolled: 2-line block ×5, first 2 shown]
	v_dual_add_f32 v104, v120, v80 :: v_dual_add_f32 v105, v121, v81
	ds_load_u16 v80, v224 offset:32
	ds_load_u16 v81, v224 offset:36
	;; [unrolled: 1-line block ×8, first 2 shown]
	v_add_f32_e32 v83, v123, v83
	s_waitcnt lgkmcnt(9)
	v_cvt_f32_f16_e32 v86, v86
	v_cvt_f32_f16_e32 v85, v85
	v_add_f32_e32 v82, v122, v82
	s_waitcnt lgkmcnt(8)
	v_cvt_f32_f16_e32 v87, v87
	s_delay_alu instid0(VALU_DEP_3) | instskip(NEXT) | instid1(VALU_DEP_2)
	v_dual_add_f32 v84, v124, v84 :: v_dual_add_f32 v85, v125, v85
	v_add_f32_e32 v87, v127, v87
	s_waitcnt lgkmcnt(7)
	v_cvt_f32_f16_e32 v80, v80
	s_waitcnt lgkmcnt(6)
	v_cvt_f32_f16_e32 v81, v81
	;; [unrolled: 2-line block ×8, first 2 shown]
	v_dual_add_f32 v86, v126, v86 :: v_dual_add_f32 v147, v128, v80
	v_dual_add_f32 v148, v129, v81 :: v_dual_add_f32 v143, v131, v107
	;; [unrolled: 1-line block ×3, first 2 shown]
	v_add_f32_e32 v142, v132, v108
	v_add_f32_e32 v118, v134, v110
	;; [unrolled: 1-line block ×3, first 2 shown]
	ds_load_u16 v80, v224 offset:64
	ds_load_u16 v81, v224 offset:68
	ds_load_u16 v106, v224 offset:72
	ds_load_u16 v107, v224 offset:76
	ds_load_u16 v108, v224 offset:80
	ds_load_u16 v109, v224 offset:84
	ds_load_u16 v110, v224 offset:88
	ds_load_u16 v111, v224 offset:92
	s_waitcnt lgkmcnt(7)
	v_cvt_f32_f16_e32 v80, v80
	s_waitcnt lgkmcnt(6)
	v_cvt_f32_f16_e32 v81, v81
	s_waitcnt lgkmcnt(5)
	v_cvt_f32_f16_e32 v106, v106
	s_waitcnt lgkmcnt(4)
	v_cvt_f32_f16_e32 v107, v107
	s_waitcnt lgkmcnt(3)
	v_cvt_f32_f16_e32 v108, v108
	s_waitcnt lgkmcnt(2)
	v_cvt_f32_f16_e32 v109, v109
	v_dual_add_f32 v211, v88, v80 :: v_dual_add_f32 v202, v89, v81
	v_dual_add_f32 v161, v90, v106 :: v_dual_add_f32 v246, v91, v107
	v_add_f32_e32 v216, v92, v108
	s_delay_alu instid0(VALU_DEP_4)
	v_add_f32_e32 v156, v93, v109
	ds_load_u16 v80, v224 offset:96
	ds_load_u16 v81, v224 offset:100
	;; [unrolled: 1-line block ×8, first 2 shown]
	s_waitcnt lgkmcnt(9)
	v_cvt_f32_f16_e32 v110, v110
	s_waitcnt lgkmcnt(8)
	v_cvt_f32_f16_e32 v111, v111
	s_delay_alu instid0(VALU_DEP_1)
	v_dual_add_f32 v155, v94, v110 :: v_dual_add_f32 v154, v95, v111
	s_waitcnt lgkmcnt(7)
	v_cvt_f32_f16_e32 v80, v80
	s_waitcnt lgkmcnt(6)
	v_cvt_f32_f16_e32 v81, v81
	;; [unrolled: 2-line block ×5, first 2 shown]
	v_add_f32_e32 v199, v96, v80
	v_add_co_u32 v80, vcc_lo, s1, v168
	v_add_f32_e32 v209, v97, v81
	v_add_co_ci_u32_e32 v81, vcc_lo, s2, v169, vcc_lo
	s_delay_alu instid0(VALU_DEP_3) | instskip(SKIP_2) | instid1(VALU_DEP_3)
	v_add_co_u32 v80, vcc_lo, v80, v251
	s_waitcnt lgkmcnt(1)
	v_cvt_f32_f16_e32 v92, v92
	v_add_co_ci_u32_e32 v81, vcc_lo, 0, v81, vcc_lo
	v_add_f32_e32 v201, v98, v88
	v_add_co_u32 v88, vcc_lo, s1, v170
	s_waitcnt lgkmcnt(0)
	v_cvt_f32_f16_e32 v93, v93
	v_add_f32_e32 v215, v99, v89
	v_add_co_ci_u32_e32 v89, vcc_lo, s2, v171, vcc_lo
	s_delay_alu instid0(VALU_DEP_3) | instskip(SKIP_2) | instid1(VALU_DEP_4)
	v_dual_add_f32 v158, v102, v92 :: v_dual_add_f32 v157, v103, v93
	v_add_co_u32 v92, vcc_lo, v88, v250
	v_cvt_f32_f16_e32 v91, v91
	v_add_co_ci_u32_e32 v93, vcc_lo, 0, v89, vcc_lo
	s_delay_alu instid0(VALU_DEP_2)
	v_dual_add_f32 v196, v100, v90 :: v_dual_add_f32 v159, v101, v91
	s_clause 0x1
	global_load_b128 v[88:91], v[80:81], off offset:128
	global_load_b128 v[92:95], v[92:93], off
	v_add_co_u32 v80, vcc_lo, s1, v220
	v_add_co_ci_u32_e32 v81, vcc_lo, s2, v221, vcc_lo
	s_delay_alu instid0(VALU_DEP_2) | instskip(NEXT) | instid1(VALU_DEP_2)
	v_add_co_u32 v80, vcc_lo, v80, v250
	v_add_co_ci_u32_e32 v81, vcc_lo, 0, v81, vcc_lo
	s_waitcnt vmcnt(1)
	ds_store_b128 v198, v[88:91]
	v_add_co_u32 v88, vcc_lo, s1, v252
	v_add_co_ci_u32_e32 v89, vcc_lo, s2, v253, vcc_lo
	s_delay_alu instid0(VALU_DEP_2) | instskip(NEXT) | instid1(VALU_DEP_2)
	v_add_co_u32 v96, vcc_lo, v88, v250
	v_add_co_ci_u32_e32 v97, vcc_lo, 0, v89, vcc_lo
	s_clause 0x1
	global_load_b128 v[88:91], v[80:81], off
	global_load_b128 v[96:99], v[96:97], off
	v_add_co_u32 v80, vcc_lo, s1, v206
	v_add_co_ci_u32_e32 v81, vcc_lo, s2, v207, vcc_lo
	v_cmp_eq_u32_e64 s2, 1, v203
	s_delay_alu instid0(VALU_DEP_3) | instskip(NEXT) | instid1(VALU_DEP_3)
	v_add_co_u32 v80, vcc_lo, v80, v250
	v_add_co_ci_u32_e32 v81, vcc_lo, 0, v81, vcc_lo
	s_waitcnt vmcnt(2)
	ds_store_b128 v204, v[92:95]
	s_waitcnt vmcnt(1)
	ds_store_b128 v205, v[88:91]
	global_load_b128 v[88:91], v[80:81], off
	v_dual_add_f32 v80, 0x40051340, v104 :: v_dual_add_f32 v81, 0x40051340, v105
	s_waitcnt vmcnt(1)
	ds_store_b128 v247, v[96:99]
	s_waitcnt vmcnt(0)
	ds_store_b128 v222, v[88:91]
	v_dual_add_f32 v89, 0x40051340, v83 :: v_dual_mov_b32 v88, v248
	s_waitcnt lgkmcnt(0)
	s_barrier
	buffer_gl0_inv
	v_max3_f32 v80, v88, v80, v81
	v_add_f32_e32 v81, 0x40051340, v82
	s_delay_alu instid0(VALU_DEP_1) | instskip(SKIP_2) | instid1(VALU_DEP_1)
	v_max3_f32 v80, v80, v81, v89
	v_add_f32_e32 v81, 0x40051340, v84
	v_add_f32_e32 v89, 0x40051340, v85
	v_max3_f32 v80, v80, v81, v89
	v_add_f32_e32 v81, 0x40051340, v86
	v_add_f32_e32 v89, 0x40051340, v87
	s_delay_alu instid0(VALU_DEP_1) | instskip(SKIP_2) | instid1(VALU_DEP_1)
	v_max3_f32 v80, v80, v81, v89
	v_add_f32_e32 v81, 0x40051340, v147
	v_add_f32_e32 v89, 0x40051340, v148
	v_max3_f32 v80, v80, v81, v89
	v_add_f32_e32 v81, 0x40051340, v144
	;; [unrolled: 7-line block ×7, first 2 shown]
	v_add_f32_e32 v89, 0x40051340, v157
	s_delay_alu instid0(VALU_DEP_1) | instskip(SKIP_3) | instid1(VALU_DEP_1)
	v_max3_f32 v80, v80, v81, v89
	ds_bpermute_b32 v81, v249, v80
	s_waitcnt lgkmcnt(0)
	v_max_f32_e32 v81, v81, v81
	v_max_f32_e32 v248, v80, v81
	s_delay_alu instid0(VALU_DEP_1)
	v_sub_f32_e32 v80, v105, v248
	v_sub_f32_e32 v83, v83, v248
	;; [unrolled: 1-line block ×5, first 2 shown]
	v_mul_f32_e32 v81, 0x3fb8aa3b, v80
	v_cmp_ngt_f32_e32 vcc_lo, 0xc2ce8ed0, v80
	v_sub_f32_e32 v87, v87, v248
	v_sub_f32_e32 v82, v82, v248
	;; [unrolled: 1-line block ×3, first 2 shown]
	v_fma_f32 v89, 0x3fb8aa3b, v80, -v81
	v_rndne_f32_e32 v90, v81
	s_delay_alu instid0(VALU_DEP_4) | instskip(NEXT) | instid1(VALU_DEP_3)
	v_cmp_ngt_f32_e64 s4, 0xc2ce8ed0, v82
	v_fmac_f32_e32 v89, 0x32a5705f, v80
	s_delay_alu instid0(VALU_DEP_3) | instskip(SKIP_1) | instid1(VALU_DEP_2)
	v_sub_f32_e32 v81, v81, v90
	v_cvt_i32_f32_e32 v90, v90
	v_add_f32_e32 v81, v81, v89
	s_delay_alu instid0(VALU_DEP_1) | instskip(SKIP_2) | instid1(VALU_DEP_1)
	v_exp_f32_e32 v81, v81
	s_waitcnt_depctr 0xfff
	v_ldexp_f32 v81, v81, v90
	v_cndmask_b32_e32 v81, 0, v81, vcc_lo
	v_cmp_nlt_f32_e32 vcc_lo, 0x42b17218, v80
	s_delay_alu instid0(VALU_DEP_2) | instskip(NEXT) | instid1(VALU_DEP_1)
	v_dual_sub_f32 v89, v104, v248 :: v_dual_cndmask_b32 v208, 0x7f800000, v81
	v_mul_f32_e32 v91, 0x3fb8aa3b, v89
	v_cmp_ngt_f32_e64 s1, 0xc2ce8ed0, v89
	v_cmp_eq_u32_e32 vcc_lo, 1, v219
	s_delay_alu instid0(VALU_DEP_3) | instskip(SKIP_1) | instid1(VALU_DEP_2)
	v_fma_f32 v92, 0x3fb8aa3b, v89, -v91
	v_rndne_f32_e32 v93, v91
	v_fmac_f32_e32 v92, 0x32a5705f, v89
	s_delay_alu instid0(VALU_DEP_2) | instskip(SKIP_1) | instid1(VALU_DEP_2)
	v_sub_f32_e32 v91, v91, v93
	v_cvt_i32_f32_e32 v90, v93
	v_add_f32_e32 v91, v91, v92
	s_delay_alu instid0(VALU_DEP_1) | instskip(SKIP_2) | instid1(VALU_DEP_1)
	v_exp_f32_e32 v91, v91
	s_waitcnt_depctr 0xfff
	v_ldexp_f32 v90, v91, v90
	v_cndmask_b32_e64 v80, 0, v90, s1
	v_cmp_nlt_f32_e64 s1, 0x42b17218, v89
	ds_bpermute_b32 v89, v249, v208
	v_cndmask_b32_e64 v213, 0x7f800000, v80, s1
	v_cmp_eq_u32_e64 s1, 0, v219
	ds_bpermute_b32 v80, v249, v213
	s_waitcnt lgkmcnt(0)
	v_cndmask_b32_e32 v81, v213, v80, vcc_lo
	v_cndmask_b32_e64 v80, v213, v80, s1
	s_delay_alu instid0(VALU_DEP_2) | instskip(NEXT) | instid1(VALU_DEP_2)
	v_cndmask_b32_e64 v91, v81, v208, s2
	v_cndmask_b32_e64 v90, v80, v208, s3
	v_cvt_f16_f32_e32 v80, v80
	v_cvt_f16_f32_e32 v81, v81
	s_delay_alu instid0(VALU_DEP_3) | instskip(SKIP_1) | instid1(VALU_DEP_3)
	v_cndmask_b32_e64 v90, v90, v89, s1
	v_cndmask_b32_e32 v89, v91, v89, vcc_lo
	v_pack_b32_f16 v80, v80, v81
	s_delay_alu instid0(VALU_DEP_3) | instskip(NEXT) | instid1(VALU_DEP_3)
	v_cvt_f16_f32_e32 v91, v90
	v_cvt_f16_f32_e32 v92, v89
	s_delay_alu instid0(VALU_DEP_1) | instskip(SKIP_1) | instid1(VALU_DEP_1)
	v_pack_b32_f16 v81, v91, v92
	v_mul_f32_e32 v91, 0x3fb8aa3b, v82
	v_fma_f32 v92, 0x3fb8aa3b, v82, -v91
	v_rndne_f32_e32 v93, v91
	s_delay_alu instid0(VALU_DEP_1) | instskip(NEXT) | instid1(VALU_DEP_1)
	v_dual_fmac_f32 v92, 0x32a5705f, v82 :: v_dual_sub_f32 v91, v91, v93
	v_add_f32_e32 v91, v91, v92
	v_cvt_i32_f32_e32 v92, v93
	s_delay_alu instid0(VALU_DEP_2) | instskip(SKIP_2) | instid1(VALU_DEP_1)
	v_exp_f32_e32 v91, v91
	s_waitcnt_depctr 0xfff
	v_ldexp_f32 v91, v91, v92
	v_cndmask_b32_e64 v91, 0, v91, s4
	v_cmp_nlt_f32_e64 s4, 0x42b17218, v82
	s_delay_alu instid0(VALU_DEP_1) | instskip(SKIP_1) | instid1(VALU_DEP_2)
	v_cndmask_b32_e64 v162, 0x7f800000, v91, s4
	v_cmp_ngt_f32_e64 s4, 0xc2ce8ed0, v83
	v_cndmask_b32_e64 v82, v90, v162, s3
	ds_bpermute_b32 v90, v249, v162
	v_cndmask_b32_e64 v89, v89, v162, s2
	s_waitcnt lgkmcnt(0)
	v_cndmask_b32_e64 v91, v82, v90, s1
	s_delay_alu instid0(VALU_DEP_2) | instskip(NEXT) | instid1(VALU_DEP_2)
	v_cndmask_b32_e32 v89, v89, v90, vcc_lo
	v_cvt_f16_f32_e32 v82, v91
	s_delay_alu instid0(VALU_DEP_2) | instskip(NEXT) | instid1(VALU_DEP_1)
	v_cvt_f16_f32_e32 v90, v89
	v_pack_b32_f16 v82, v82, v90
	v_mul_f32_e32 v90, 0x3fb8aa3b, v83
	s_delay_alu instid0(VALU_DEP_1) | instskip(SKIP_1) | instid1(VALU_DEP_2)
	v_fma_f32 v92, 0x3fb8aa3b, v83, -v90
	v_rndne_f32_e32 v93, v90
	v_fmac_f32_e32 v92, 0x32a5705f, v83
	s_delay_alu instid0(VALU_DEP_2) | instskip(NEXT) | instid1(VALU_DEP_1)
	v_sub_f32_e32 v90, v90, v93
	v_add_f32_e32 v90, v90, v92
	v_cvt_i32_f32_e32 v92, v93
	s_delay_alu instid0(VALU_DEP_2) | instskip(SKIP_2) | instid1(VALU_DEP_1)
	v_exp_f32_e32 v90, v90
	s_waitcnt_depctr 0xfff
	v_ldexp_f32 v90, v90, v92
	v_cndmask_b32_e64 v90, 0, v90, s4
	v_cmp_nlt_f32_e64 s4, 0x42b17218, v83
	s_delay_alu instid0(VALU_DEP_1)
	v_cndmask_b32_e64 v210, 0x7f800000, v90, s4
	v_cmp_ngt_f32_e64 s4, 0xc2ce8ed0, v84
	ds_bpermute_b32 v90, v249, v210
	v_cndmask_b32_e64 v83, v91, v210, s3
	v_cndmask_b32_e64 v89, v89, v210, s2
	s_waitcnt lgkmcnt(0)
	s_delay_alu instid0(VALU_DEP_2) | instskip(NEXT) | instid1(VALU_DEP_2)
	v_cndmask_b32_e64 v91, v83, v90, s1
	v_cndmask_b32_e32 v89, v89, v90, vcc_lo
	s_delay_alu instid0(VALU_DEP_2) | instskip(NEXT) | instid1(VALU_DEP_2)
	v_cvt_f16_f32_e32 v83, v91
	v_cvt_f16_f32_e32 v90, v89
	s_delay_alu instid0(VALU_DEP_1) | instskip(SKIP_1) | instid1(VALU_DEP_1)
	v_pack_b32_f16 v83, v83, v90
	v_mul_f32_e32 v90, 0x3fb8aa3b, v84
	v_fma_f32 v92, 0x3fb8aa3b, v84, -v90
	v_rndne_f32_e32 v93, v90
	s_delay_alu instid0(VALU_DEP_2) | instskip(NEXT) | instid1(VALU_DEP_2)
	v_fmac_f32_e32 v92, 0x32a5705f, v84
	v_sub_f32_e32 v90, v90, v93
	s_delay_alu instid0(VALU_DEP_1) | instskip(SKIP_1) | instid1(VALU_DEP_2)
	v_add_f32_e32 v90, v90, v92
	v_cvt_i32_f32_e32 v92, v93
	v_exp_f32_e32 v90, v90
	s_waitcnt_depctr 0xfff
	v_ldexp_f32 v90, v90, v92
	s_delay_alu instid0(VALU_DEP_1) | instskip(SKIP_1) | instid1(VALU_DEP_1)
	v_cndmask_b32_e64 v90, 0, v90, s4
	v_cmp_nlt_f32_e64 s4, 0x42b17218, v84
	v_cndmask_b32_e64 v212, 0x7f800000, v90, s4
	v_cmp_ngt_f32_e64 s4, 0xc2ce8ed0, v85
	ds_bpermute_b32 v90, v249, v212
	v_cndmask_b32_e64 v84, v91, v212, s3
	v_cndmask_b32_e64 v89, v89, v212, s2
	s_waitcnt lgkmcnt(0)
	s_delay_alu instid0(VALU_DEP_2) | instskip(NEXT) | instid1(VALU_DEP_2)
	v_cndmask_b32_e64 v91, v84, v90, s1
	v_cndmask_b32_e32 v89, v89, v90, vcc_lo
	s_delay_alu instid0(VALU_DEP_2) | instskip(NEXT) | instid1(VALU_DEP_2)
	v_cvt_f16_f32_e32 v84, v91
	v_cvt_f16_f32_e32 v90, v89
	s_delay_alu instid0(VALU_DEP_1) | instskip(SKIP_1) | instid1(VALU_DEP_1)
	v_pack_b32_f16 v84, v84, v90
	v_mul_f32_e32 v90, 0x3fb8aa3b, v85
	v_fma_f32 v92, 0x3fb8aa3b, v85, -v90
	v_rndne_f32_e32 v93, v90
	s_delay_alu instid0(VALU_DEP_2) | instskip(NEXT) | instid1(VALU_DEP_2)
	v_fmac_f32_e32 v92, 0x32a5705f, v85
	v_sub_f32_e32 v90, v90, v93
	s_delay_alu instid0(VALU_DEP_1) | instskip(SKIP_1) | instid1(VALU_DEP_2)
	v_add_f32_e32 v90, v90, v92
	v_cvt_i32_f32_e32 v92, v93
	v_exp_f32_e32 v90, v90
	s_waitcnt_depctr 0xfff
	v_ldexp_f32 v90, v90, v92
	s_delay_alu instid0(VALU_DEP_1) | instskip(SKIP_1) | instid1(VALU_DEP_1)
	v_cndmask_b32_e64 v90, 0, v90, s4
	v_cmp_nlt_f32_e64 s4, 0x42b17218, v85
	;; [unrolled: 29-line block ×4, first 2 shown]
	v_cndmask_b32_e64 v163, 0x7f800000, v90, s4
	v_cmp_ngt_f32_e64 s4, 0xc2ce8ed0, v88
	ds_bpermute_b32 v90, v249, v163
	v_cndmask_b32_e64 v87, v91, v163, s3
	v_cndmask_b32_e64 v89, v89, v163, s2
	s_waitcnt lgkmcnt(0)
	s_delay_alu instid0(VALU_DEP_2) | instskip(NEXT) | instid1(VALU_DEP_2)
	v_cndmask_b32_e64 v87, v87, v90, s1
	v_cndmask_b32_e32 v89, v89, v90, vcc_lo
	s_delay_alu instid0(VALU_DEP_2) | instskip(NEXT) | instid1(VALU_DEP_2)
	v_cvt_f16_f32_e32 v87, v87
	v_cvt_f16_f32_e32 v89, v89
	s_delay_alu instid0(VALU_DEP_1) | instskip(SKIP_1) | instid1(VALU_DEP_1)
	v_pack_b32_f16 v87, v87, v89
	v_mul_f32_e32 v89, 0x3fb8aa3b, v88
	v_fma_f32 v90, 0x3fb8aa3b, v88, -v89
	v_rndne_f32_e32 v91, v89
	s_delay_alu instid0(VALU_DEP_1) | instskip(NEXT) | instid1(VALU_DEP_1)
	v_dual_fmac_f32 v90, 0x32a5705f, v88 :: v_dual_sub_f32 v89, v89, v91
	v_add_f32_e32 v89, v89, v90
	v_cvt_i32_f32_e32 v90, v91
	s_delay_alu instid0(VALU_DEP_2) | instskip(SKIP_2) | instid1(VALU_DEP_1)
	v_exp_f32_e32 v89, v89
	s_waitcnt_depctr 0xfff
	v_ldexp_f32 v89, v89, v90
	v_cndmask_b32_e64 v89, 0, v89, s4
	v_cmp_nlt_f32_e64 s4, 0x42b17218, v88
	s_delay_alu instid0(VALU_DEP_1) | instskip(SKIP_1) | instid1(VALU_DEP_1)
	v_cndmask_b32_e64 v89, 0x7f800000, v89, s4
	v_cmp_le_f32_e64 s4, 0xc1a00000, v88
	v_cndmask_b32_e64 v164, 0, v89, s4
	ds_load_u16 v88, v225
	ds_load_u16 v89, v225 offset:352
	ds_load_u16 v90, v225 offset:704
	ds_load_u16 v91, v225 offset:1056
	ds_load_u16 v92, v225 offset:1408
	ds_load_u16 v93, v225 offset:1760
	ds_load_u16 v95, v225 offset:2464
	ds_load_u16 v94, v225 offset:2112
	ds_load_u16 v97, v229 offset:352
	ds_load_u16 v98, v229 offset:704
	ds_load_u16 v99, v229 offset:1056
	ds_load_u16 v100, v229 offset:1408
	ds_load_u16 v101, v229 offset:1760
	ds_load_u16 v102, v229 offset:2112
	ds_load_u16 v103, v229 offset:2464
	ds_load_u16 v107, v233 offset:1056
	ds_load_u16 v108, v233 offset:1408
	ds_load_u16 v111, v233 offset:2464
	ds_load_u16 v113, v234 offset:352
	ds_load_u16 v114, v234 offset:704
	ds_load_u16 v117, v234 offset:1760
	ds_load_u16 v115, v234 offset:1056
	ds_load_u16 v110, v233 offset:2112
	ds_load_u16 v109, v233 offset:1760
	ds_load_u16 v106, v233 offset:704
	ds_load_u16 v105, v233 offset:352
	ds_load_u16 v123, v237 offset:352
	ds_load_u16 v128, v237 offset:2112
	ds_load_u16 v129, v237 offset:2464
	ds_load_u16 v121, v238 offset:352
	ds_load_u16 v127, v237 offset:1760
	ds_load_u16 v126, v237 offset:1408
	ds_load_u16 v125, v237 offset:1056
	ds_load_u16 v124, v237 offset:704
	ds_load_u16 v96, v225 offset:32
	ds_load_u16 v104, v225 offset:64
	ds_load_u16 v122, v225 offset:96
	ds_load_u16 v131, v241 offset:352
	ds_load_u16 v134, v241 offset:1408
	ds_load_u16 v133, v241 offset:1056
	ds_load_u16 v132, v241 offset:704
	ds_load_u16 v136, v241 offset:2112
	ds_load_u16 v137, v241 offset:2464
	ds_load_u16 v138, v242 offset:352
	ds_load_u16 v139, v242 offset:704
	ds_load_u16 v140, v242 offset:1056
	ds_load_u16 v141, v242 offset:1408
	ds_load_u16 v135, v241 offset:1760
	ds_load_u16 v146, v230 offset:352
	s_waitcnt lgkmcnt(40)
	ds_load_u16_d16_hi v97, v225 offset:560
	s_waitcnt lgkmcnt(23)
	ds_load_u16_d16_hi v123, v225 offset:624
	ds_load_u16 v130, v225 offset:128
	ds_load_u16_d16_hi v88, v225 offset:176
	ds_load_u16_d16_hi v89, v225 offset:528
	;; [unrolled: 1-line block ×5, first 2 shown]
	s_waitcnt lgkmcnt(29)
	ds_load_u16_d16_hi v128, v225 offset:2384
	s_waitcnt lgkmcnt(27)
	ds_load_u16_d16_hi v127, v225 offset:2032
	ds_load_u16_d16_hi v94, v225 offset:2288
	;; [unrolled: 1-line block ×3, first 2 shown]
	s_waitcnt lgkmcnt(19)
	ds_load_u16_d16_hi v136, v225 offset:2416
	ds_load_u16_d16_hi v95, v225 offset:2640
	;; [unrolled: 1-line block ×16, first 2 shown]
	ds_load_u16 v153, v232 offset:2464
	ds_load_u16_d16_hi v105, v225 offset:592
	ds_load_u16_d16_hi v96, v225 offset:208
	;; [unrolled: 1-line block ×4, first 2 shown]
	ds_load_u16 v160, v240 offset:2464
	ds_load_u16_d16_hi v131, v225 offset:656
	ds_load_u16_d16_hi v133, v225 offset:1360
	;; [unrolled: 1-line block ×3, first 2 shown]
	s_waitcnt lgkmcnt(38)
	ds_load_u16_d16_hi v135, v225 offset:2064
	ds_load_u16_d16_hi v111, v225 offset:2704
	;; [unrolled: 1-line block ×4, first 2 shown]
	ds_load_u16 v145, v225 offset:2848
	ds_load_u16 v112, v225 offset:2880
	;; [unrolled: 1-line block ×3, first 2 shown]
	v_mul_f32_e32 v0, v0, v164
	s_waitcnt lgkmcnt(41)
	ds_load_u16_d16_hi v130, v225 offset:304
	ds_load_u16 v165, v225 offset:2816
	ds_load_u16_d16_hi v126, v225 offset:1680
	v_mul_f32_e32 v32, v32, v164
	v_mul_f32_e32 v33, v33, v164
	;; [unrolled: 1-line block ×39, first 2 shown]
	s_waitcnt lgkmcnt(20)
	v_wmma_f32_16x16x16_f16 v[32:39], v[88:95], v[80:87], v[32:39]
	s_waitcnt lgkmcnt(16)
	v_wmma_f32_16x16x16_f16 v[24:31], v[96:103], v[80:87], v[24:31]
	;; [unrolled: 2-line block ×4, first 2 shown]
	v_wmma_f32_16x16x16_f16 v[0:7], v[130:137], v[80:87], v[0:7]
	v_sub_f32_e32 v80, v148, v248
	s_delay_alu instid0(VALU_DEP_1) | instskip(SKIP_1) | instid1(VALU_DEP_2)
	v_mul_f32_e32 v81, 0x3fb8aa3b, v80
	v_cmp_ngt_f32_e64 s4, 0xc2ce8ed0, v80
	v_fma_f32 v82, 0x3fb8aa3b, v80, -v81
	v_rndne_f32_e32 v83, v81
	s_delay_alu instid0(VALU_DEP_1) | instskip(SKIP_1) | instid1(VALU_DEP_2)
	v_dual_fmac_f32 v82, 0x32a5705f, v80 :: v_dual_sub_f32 v81, v81, v83
	v_cvt_i32_f32_e32 v83, v83
	v_dual_add_f32 v81, v81, v82 :: v_dual_sub_f32 v82, v147, v248
	s_delay_alu instid0(VALU_DEP_1) | instskip(NEXT) | instid1(VALU_DEP_1)
	v_exp_f32_e32 v81, v81
	v_mul_f32_e32 v84, 0x3fb8aa3b, v82
	v_cmp_ngt_f32_e64 s5, 0xc2ce8ed0, v82
	s_delay_alu instid0(VALU_DEP_2)
	v_fma_f32 v85, 0x3fb8aa3b, v82, -v84
	v_rndne_f32_e32 v86, v84
	s_waitcnt_depctr 0xfff
	v_ldexp_f32 v81, v81, v83
	v_fmac_f32_e32 v85, 0x32a5705f, v82
	v_sub_f32_e32 v84, v84, v86
	v_cvt_i32_f32_e32 v83, v86
	s_delay_alu instid0(VALU_DEP_4) | instskip(SKIP_1) | instid1(VALU_DEP_4)
	v_cndmask_b32_e64 v81, 0, v81, s4
	v_cmp_nlt_f32_e64 s4, 0x42b17218, v80
	v_add_f32_e32 v84, v84, v85
	s_delay_alu instid0(VALU_DEP_2) | instskip(NEXT) | instid1(VALU_DEP_2)
	v_cndmask_b32_e64 v89, 0x7f800000, v81, s4
	v_exp_f32_e32 v84, v84
	s_waitcnt_depctr 0xfff
	v_ldexp_f32 v83, v84, v83
	s_delay_alu instid0(VALU_DEP_1)
	v_cndmask_b32_e64 v80, 0, v83, s5
	v_cmp_nlt_f32_e64 s5, 0x42b17218, v82
	ds_bpermute_b32 v82, v249, v89
	v_cndmask_b32_e64 v88, 0x7f800000, v80, s5
	ds_bpermute_b32 v80, v249, v88
	s_waitcnt lgkmcnt(0)
	v_cndmask_b32_e64 v81, v88, v80, s1
	v_cndmask_b32_e32 v80, v88, v80, vcc_lo
	s_delay_alu instid0(VALU_DEP_2) | instskip(NEXT) | instid1(VALU_DEP_2)
	v_cndmask_b32_e64 v83, v81, v89, s3
	v_cndmask_b32_e64 v84, v80, v89, s2
	v_cvt_f16_f32_e32 v81, v81
	v_cvt_f16_f32_e32 v80, v80
	s_delay_alu instid0(VALU_DEP_4) | instskip(NEXT) | instid1(VALU_DEP_4)
	v_cndmask_b32_e64 v83, v83, v82, s1
	v_cndmask_b32_e32 v82, v84, v82, vcc_lo
	s_delay_alu instid0(VALU_DEP_3) | instskip(SKIP_1) | instid1(VALU_DEP_4)
	v_pack_b32_f16 v96, v81, v80
	v_sub_f32_e32 v80, v144, v248
	v_cvt_f16_f32_e32 v84, v83
	s_delay_alu instid0(VALU_DEP_4) | instskip(NEXT) | instid1(VALU_DEP_3)
	v_cvt_f16_f32_e32 v85, v82
	v_mul_f32_e32 v81, 0x3fb8aa3b, v80
	v_cmp_ngt_f32_e64 s4, 0xc2ce8ed0, v80
	s_delay_alu instid0(VALU_DEP_3) | instskip(NEXT) | instid1(VALU_DEP_3)
	v_pack_b32_f16 v97, v84, v85
	v_fma_f32 v84, 0x3fb8aa3b, v80, -v81
	v_rndne_f32_e32 v85, v81
	s_delay_alu instid0(VALU_DEP_1) | instskip(NEXT) | instid1(VALU_DEP_1)
	v_dual_fmac_f32 v84, 0x32a5705f, v80 :: v_dual_sub_f32 v81, v81, v85
	v_add_f32_e32 v81, v81, v84
	v_cvt_i32_f32_e32 v84, v85
	s_delay_alu instid0(VALU_DEP_2) | instskip(SKIP_2) | instid1(VALU_DEP_1)
	v_exp_f32_e32 v81, v81
	s_waitcnt_depctr 0xfff
	v_ldexp_f32 v81, v81, v84
	v_cndmask_b32_e64 v81, 0, v81, s4
	v_cmp_nlt_f32_e64 s4, 0x42b17218, v80
	s_delay_alu instid0(VALU_DEP_1) | instskip(NEXT) | instid1(VALU_DEP_1)
	v_cndmask_b32_e64 v90, 0x7f800000, v81, s4
	v_cndmask_b32_e64 v81, v82, v90, s2
	ds_bpermute_b32 v82, v249, v90
	v_cndmask_b32_e64 v80, v83, v90, s3
	s_waitcnt lgkmcnt(0)
	s_delay_alu instid0(VALU_DEP_1) | instskip(SKIP_1) | instid1(VALU_DEP_2)
	v_cndmask_b32_e64 v80, v80, v82, s1
	v_cndmask_b32_e32 v81, v81, v82, vcc_lo
	v_cvt_f16_f32_e32 v82, v80
	s_delay_alu instid0(VALU_DEP_2) | instskip(NEXT) | instid1(VALU_DEP_1)
	v_cvt_f16_f32_e32 v83, v81
	v_pack_b32_f16 v98, v82, v83
	v_sub_f32_e32 v82, v143, v248
	s_delay_alu instid0(VALU_DEP_1) | instskip(SKIP_1) | instid1(VALU_DEP_2)
	v_mul_f32_e32 v83, 0x3fb8aa3b, v82
	v_cmp_ngt_f32_e64 s4, 0xc2ce8ed0, v82
	v_fma_f32 v84, 0x3fb8aa3b, v82, -v83
	v_rndne_f32_e32 v85, v83
	s_delay_alu instid0(VALU_DEP_1) | instskip(NEXT) | instid1(VALU_DEP_1)
	v_dual_fmac_f32 v84, 0x32a5705f, v82 :: v_dual_sub_f32 v83, v83, v85
	v_add_f32_e32 v83, v83, v84
	v_cvt_i32_f32_e32 v84, v85
	s_delay_alu instid0(VALU_DEP_2) | instskip(SKIP_2) | instid1(VALU_DEP_1)
	v_exp_f32_e32 v83, v83
	s_waitcnt_depctr 0xfff
	v_ldexp_f32 v83, v83, v84
	v_cndmask_b32_e64 v83, 0, v83, s4
	v_cmp_nlt_f32_e64 s4, 0x42b17218, v82
	s_delay_alu instid0(VALU_DEP_1) | instskip(SKIP_4) | instid1(VALU_DEP_2)
	v_cndmask_b32_e64 v91, 0x7f800000, v83, s4
	ds_bpermute_b32 v82, v249, v91
	v_cndmask_b32_e64 v80, v80, v91, s3
	v_cndmask_b32_e64 v81, v81, v91, s2
	s_waitcnt lgkmcnt(0)
	v_cndmask_b32_e64 v80, v80, v82, s1
	s_delay_alu instid0(VALU_DEP_2) | instskip(NEXT) | instid1(VALU_DEP_2)
	v_cndmask_b32_e32 v81, v81, v82, vcc_lo
	v_cvt_f16_f32_e32 v82, v80
	s_delay_alu instid0(VALU_DEP_2) | instskip(NEXT) | instid1(VALU_DEP_1)
	v_cvt_f16_f32_e32 v83, v81
	v_pack_b32_f16 v99, v82, v83
	v_sub_f32_e32 v82, v142, v248
	s_delay_alu instid0(VALU_DEP_1) | instskip(NEXT) | instid1(VALU_DEP_1)
	v_mul_f32_e32 v83, 0x3fb8aa3b, v82
	v_fma_f32 v84, 0x3fb8aa3b, v82, -v83
	v_rndne_f32_e32 v85, v83
	s_delay_alu instid0(VALU_DEP_1) | instskip(SKIP_1) | instid1(VALU_DEP_2)
	v_dual_sub_f32 v83, v83, v85 :: v_dual_fmac_f32 v84, 0x32a5705f, v82
	v_cmp_ngt_f32_e64 s4, 0xc2ce8ed0, v82
	v_add_f32_e32 v83, v83, v84
	v_cvt_i32_f32_e32 v84, v85
	s_delay_alu instid0(VALU_DEP_2) | instskip(SKIP_2) | instid1(VALU_DEP_1)
	v_exp_f32_e32 v83, v83
	s_waitcnt_depctr 0xfff
	v_ldexp_f32 v83, v83, v84
	v_cndmask_b32_e64 v83, 0, v83, s4
	v_cmp_nlt_f32_e64 s4, 0x42b17218, v82
	s_delay_alu instid0(VALU_DEP_1) | instskip(SKIP_4) | instid1(VALU_DEP_2)
	v_cndmask_b32_e64 v92, 0x7f800000, v83, s4
	ds_bpermute_b32 v82, v249, v92
	v_cndmask_b32_e64 v80, v80, v92, s3
	v_cndmask_b32_e64 v81, v81, v92, s2
	s_waitcnt lgkmcnt(0)
	v_cndmask_b32_e64 v80, v80, v82, s1
	s_delay_alu instid0(VALU_DEP_2) | instskip(NEXT) | instid1(VALU_DEP_2)
	v_cndmask_b32_e32 v81, v81, v82, vcc_lo
	v_cvt_f16_f32_e32 v82, v80
	s_delay_alu instid0(VALU_DEP_2) | instskip(NEXT) | instid1(VALU_DEP_1)
	v_cvt_f16_f32_e32 v83, v81
	v_pack_b32_f16 v100, v82, v83
	v_sub_f32_e32 v82, v119, v248
	s_delay_alu instid0(VALU_DEP_1) | instskip(SKIP_1) | instid1(VALU_DEP_2)
	v_mul_f32_e32 v83, 0x3fb8aa3b, v82
	v_cmp_ngt_f32_e64 s4, 0xc2ce8ed0, v82
	v_fma_f32 v84, 0x3fb8aa3b, v82, -v83
	v_rndne_f32_e32 v85, v83
	s_delay_alu instid0(VALU_DEP_1) | instskip(NEXT) | instid1(VALU_DEP_1)
	v_dual_fmac_f32 v84, 0x32a5705f, v82 :: v_dual_sub_f32 v83, v83, v85
	v_add_f32_e32 v83, v83, v84
	v_cvt_i32_f32_e32 v84, v85
	s_delay_alu instid0(VALU_DEP_2) | instskip(SKIP_2) | instid1(VALU_DEP_1)
	v_exp_f32_e32 v83, v83
	s_waitcnt_depctr 0xfff
	v_ldexp_f32 v83, v83, v84
	v_cndmask_b32_e64 v83, 0, v83, s4
	v_cmp_nlt_f32_e64 s4, 0x42b17218, v82
	s_delay_alu instid0(VALU_DEP_1) | instskip(SKIP_4) | instid1(VALU_DEP_2)
	v_cndmask_b32_e64 v93, 0x7f800000, v83, s4
	ds_bpermute_b32 v82, v249, v93
	v_cndmask_b32_e64 v80, v80, v93, s3
	v_cndmask_b32_e64 v81, v81, v93, s2
	s_waitcnt lgkmcnt(0)
	v_cndmask_b32_e64 v80, v80, v82, s1
	s_delay_alu instid0(VALU_DEP_2) | instskip(NEXT) | instid1(VALU_DEP_2)
	v_cndmask_b32_e32 v81, v81, v82, vcc_lo
	v_cvt_f16_f32_e32 v82, v80
	s_delay_alu instid0(VALU_DEP_2) | instskip(NEXT) | instid1(VALU_DEP_1)
	v_cvt_f16_f32_e32 v83, v81
	v_pack_b32_f16 v101, v82, v83
	v_sub_f32_e32 v82, v118, v248
	s_delay_alu instid0(VALU_DEP_1) | instskip(SKIP_1) | instid1(VALU_DEP_2)
	v_mul_f32_e32 v83, 0x3fb8aa3b, v82
	v_cmp_ngt_f32_e64 s4, 0xc2ce8ed0, v82
	v_fma_f32 v84, 0x3fb8aa3b, v82, -v83
	v_rndne_f32_e32 v85, v83
	s_delay_alu instid0(VALU_DEP_1) | instskip(NEXT) | instid1(VALU_DEP_1)
	v_dual_fmac_f32 v84, 0x32a5705f, v82 :: v_dual_sub_f32 v83, v83, v85
	v_add_f32_e32 v83, v83, v84
	v_cvt_i32_f32_e32 v84, v85
	s_delay_alu instid0(VALU_DEP_2) | instskip(SKIP_2) | instid1(VALU_DEP_1)
	v_exp_f32_e32 v83, v83
	s_waitcnt_depctr 0xfff
	v_ldexp_f32 v83, v83, v84
	v_cndmask_b32_e64 v83, 0, v83, s4
	v_cmp_nlt_f32_e64 s4, 0x42b17218, v82
	s_delay_alu instid0(VALU_DEP_1) | instskip(SKIP_4) | instid1(VALU_DEP_2)
	v_cndmask_b32_e64 v94, 0x7f800000, v83, s4
	ds_bpermute_b32 v82, v249, v94
	v_cndmask_b32_e64 v80, v80, v94, s3
	v_cndmask_b32_e64 v81, v81, v94, s2
	s_waitcnt lgkmcnt(0)
	v_cndmask_b32_e64 v80, v80, v82, s1
	s_delay_alu instid0(VALU_DEP_2) | instskip(NEXT) | instid1(VALU_DEP_2)
	v_cndmask_b32_e32 v81, v81, v82, vcc_lo
	v_cvt_f16_f32_e32 v82, v80
	s_delay_alu instid0(VALU_DEP_2) | instskip(NEXT) | instid1(VALU_DEP_1)
	v_cvt_f16_f32_e32 v83, v81
	v_pack_b32_f16 v102, v82, v83
	v_sub_f32_e32 v82, v116, v248
	ds_load_u16 v116, v234 offset:1408
	ds_load_u16 v142, v242 offset:1760
	;; [unrolled: 1-line block ×44, first 2 shown]
	s_waitcnt lgkmcnt(31)
	ds_load_u16_d16_hi v149, v225 offset:4432
	ds_load_u16_d16_hi v116, v225 offset:4464
	;; [unrolled: 1-line block ×4, first 2 shown]
	s_waitcnt lgkmcnt(26)
	ds_load_u16_d16_hi v122, v225 offset:3792
	ds_load_u16_d16_hi v139, v225 offset:3824
	ds_load_u16_d16_hi v167, v225 offset:3696
	ds_load_u16_d16_hi v121, v225 offset:3440
	ds_load_u16_d16_hi v168, v225 offset:4048
	ds_load_u16_d16_hi v148, v225 offset:4080
	ds_load_u16_d16_hi v115, v225 offset:4112
	s_waitcnt lgkmcnt(32)
	ds_load_u16_d16_hi v123, v225 offset:4144
	ds_load_u16_d16_hi v150, v225 offset:4784
	;; [unrolled: 1-line block ×3, first 2 shown]
	s_waitcnt lgkmcnt(31)
	ds_load_u16_d16_hi v125, v225 offset:4848
	ds_load_u16_d16_hi v152, v225 offset:5488
	ds_load_u16_d16_hi v119, v225 offset:5520
	ds_load_u16_d16_hi v127, v225 offset:5552
	s_waitcnt lgkmcnt(19)
	ds_load_u16_d16_hi v87, v225 offset:11216
	ds_load_u16_d16_hi v166, v225 offset:3344
	;; [unrolled: 1-line block ×16, first 2 shown]
	ds_load_u16 v137, v225 offset:2944
	v_mul_f32_e32 v83, 0x3fb8aa3b, v82
	v_cmp_ngt_f32_e64 s4, 0xc2ce8ed0, v82
	s_delay_alu instid0(VALU_DEP_2) | instskip(SKIP_1) | instid1(VALU_DEP_1)
	v_fma_f32 v84, 0x3fb8aa3b, v82, -v83
	v_rndne_f32_e32 v85, v83
	v_dual_fmac_f32 v84, 0x32a5705f, v82 :: v_dual_sub_f32 v83, v83, v85
	s_delay_alu instid0(VALU_DEP_1) | instskip(SKIP_1) | instid1(VALU_DEP_2)
	v_add_f32_e32 v83, v83, v84
	v_cvt_i32_f32_e32 v84, v85
	v_exp_f32_e32 v83, v83
	s_waitcnt_depctr 0xfff
	v_ldexp_f32 v83, v83, v84
	s_delay_alu instid0(VALU_DEP_1) | instskip(SKIP_1) | instid1(VALU_DEP_1)
	v_cndmask_b32_e64 v83, 0, v83, s4
	v_cmp_nlt_f32_e64 s4, 0x42b17218, v82
	v_cndmask_b32_e64 v95, 0x7f800000, v83, s4
	ds_bpermute_b32 v82, v249, v95
	v_cndmask_b32_e64 v80, v80, v95, s3
	v_cndmask_b32_e64 v81, v81, v95, s2
	s_waitcnt lgkmcnt(0)
	s_delay_alu instid0(VALU_DEP_2) | instskip(NEXT) | instid1(VALU_DEP_2)
	v_cndmask_b32_e64 v80, v80, v82, s1
	v_cndmask_b32_e32 v81, v81, v82, vcc_lo
	s_delay_alu instid0(VALU_DEP_2) | instskip(NEXT) | instid1(VALU_DEP_2)
	v_cvt_f16_f32_e32 v80, v80
	v_cvt_f16_f32_e32 v81, v81
	s_delay_alu instid0(VALU_DEP_1) | instskip(SKIP_1) | instid1(VALU_DEP_2)
	v_pack_b32_f16 v103, v80, v81
	v_sub_f32_e32 v80, v202, v248
	v_wmma_f32_16x16x16_f16 v[32:39], v[165:172], v[96:103], v[32:39]
	scratch_load_b64 v[170:171], off, off offset:44 ; 8-byte Folded Reload
	ds_load_u16_d16_hi v146, v225 offset:3376
	ds_load_u16_d16_hi v151, v225 offset:5136
	;; [unrolled: 1-line block ×6, first 2 shown]
	v_mul_f32_e32 v81, 0x3fb8aa3b, v80
	v_cmp_ngt_f32_e64 s4, 0xc2ce8ed0, v80
	s_delay_alu instid0(VALU_DEP_2) | instskip(SKIP_1) | instid1(VALU_DEP_1)
	v_fma_f32 v82, 0x3fb8aa3b, v80, -v81
	v_rndne_f32_e32 v83, v81
	v_dual_fmac_f32 v82, 0x32a5705f, v80 :: v_dual_sub_f32 v81, v81, v83
	v_cvt_i32_f32_e32 v83, v83
	s_waitcnt lgkmcnt(4)
	v_wmma_f32_16x16x16_f16 v[24:31], v[145:152], v[96:103], v[24:31]
	s_delay_alu instid0(VALU_DEP_3)
	v_dual_add_f32 v81, v81, v82 :: v_dual_sub_f32 v82, v211, v248
	s_waitcnt lgkmcnt(3)
	v_wmma_f32_16x16x16_f16 v[16:23], v[112:119], v[96:103], v[16:23]
	s_waitcnt lgkmcnt(0)
	v_wmma_f32_16x16x16_f16 v[8:15], v[120:127], v[96:103], v[8:15]
	ds_load_u16_d16_hi v144, v225 offset:5584
	ds_load_u16_d16_hi v128, v225 offset:6224
	ds_load_u16 v173, v225 offset:5632
	ds_load_u16 v104, v225 offset:5664
	;; [unrolled: 1-line block ×5, first 2 shown]
	v_exp_f32_e32 v81, v81
	v_mul_f32_e32 v84, 0x3fb8aa3b, v82
	v_cmp_ngt_f32_e64 s5, 0xc2ce8ed0, v82
	s_delay_alu instid0(VALU_DEP_2)
	v_fma_f32 v85, 0x3fb8aa3b, v82, -v84
	s_waitcnt_depctr 0xfff
	v_ldexp_f32 v81, v81, v83
	v_fmac_f32_e32 v85, 0x32a5705f, v82
	s_waitcnt lgkmcnt(6)
	v_wmma_f32_16x16x16_f16 v[0:7], v[137:144], v[96:103], v[0:7]
	v_rndne_f32_e32 v96, v84
	v_cndmask_b32_e64 v81, 0, v81, s4
	v_cmp_nlt_f32_e64 s4, 0x42b17218, v80
	s_delay_alu instid0(VALU_DEP_3) | instskip(SKIP_1) | instid1(VALU_DEP_3)
	v_sub_f32_e32 v84, v84, v96
	v_cvt_i32_f32_e32 v83, v96
	v_cndmask_b32_e64 v144, 0x7f800000, v81, s4
	s_delay_alu instid0(VALU_DEP_3) | instskip(NEXT) | instid1(VALU_DEP_1)
	v_add_f32_e32 v84, v84, v85
	v_exp_f32_e32 v84, v84
	s_waitcnt_depctr 0xfff
	v_ldexp_f32 v83, v84, v83
	s_delay_alu instid0(VALU_DEP_1)
	v_cndmask_b32_e64 v80, 0, v83, s5
	v_cmp_nlt_f32_e64 s5, 0x42b17218, v82
	ds_bpermute_b32 v82, v249, v144
	v_cndmask_b32_e64 v143, 0x7f800000, v80, s5
	ds_bpermute_b32 v80, v249, v143
	s_waitcnt lgkmcnt(0)
	v_cndmask_b32_e32 v81, v143, v80, vcc_lo
	v_cndmask_b32_e64 v80, v143, v80, s1
	s_delay_alu instid0(VALU_DEP_2) | instskip(NEXT) | instid1(VALU_DEP_2)
	v_cndmask_b32_e64 v84, v81, v144, s2
	v_cndmask_b32_e64 v83, v80, v144, s3
	v_cvt_f16_f32_e32 v80, v80
	v_cvt_f16_f32_e32 v81, v81
	s_delay_alu instid0(VALU_DEP_3) | instskip(SKIP_1) | instid1(VALU_DEP_3)
	v_cndmask_b32_e64 v83, v83, v82, s1
	v_cndmask_b32_e32 v82, v84, v82, vcc_lo
	v_pack_b32_f16 v96, v80, v81
	v_sub_f32_e32 v80, v161, v248
	s_delay_alu instid0(VALU_DEP_4) | instskip(NEXT) | instid1(VALU_DEP_4)
	v_cvt_f16_f32_e32 v84, v83
	v_cvt_f16_f32_e32 v85, v82
	s_delay_alu instid0(VALU_DEP_3) | instskip(SKIP_1) | instid1(VALU_DEP_3)
	v_mul_f32_e32 v81, 0x3fb8aa3b, v80
	v_cmp_ngt_f32_e64 s4, 0xc2ce8ed0, v80
	v_pack_b32_f16 v97, v84, v85
	s_delay_alu instid0(VALU_DEP_3) | instskip(SKIP_1) | instid1(VALU_DEP_1)
	v_fma_f32 v84, 0x3fb8aa3b, v80, -v81
	v_rndne_f32_e32 v85, v81
	v_dual_fmac_f32 v84, 0x32a5705f, v80 :: v_dual_sub_f32 v81, v81, v85
	s_delay_alu instid0(VALU_DEP_1) | instskip(SKIP_1) | instid1(VALU_DEP_2)
	v_add_f32_e32 v81, v81, v84
	v_cvt_i32_f32_e32 v84, v85
	v_exp_f32_e32 v81, v81
	s_waitcnt_depctr 0xfff
	v_ldexp_f32 v81, v81, v84
	s_delay_alu instid0(VALU_DEP_1) | instskip(SKIP_1) | instid1(VALU_DEP_1)
	v_cndmask_b32_e64 v81, 0, v81, s4
	v_cmp_nlt_f32_e64 s4, 0x42b17218, v80
	v_cndmask_b32_e64 v145, 0x7f800000, v81, s4
	s_delay_alu instid0(VALU_DEP_1) | instskip(SKIP_3) | instid1(VALU_DEP_1)
	v_cndmask_b32_e64 v81, v82, v145, s2
	ds_bpermute_b32 v82, v249, v145
	v_cndmask_b32_e64 v80, v83, v145, s3
	s_waitcnt lgkmcnt(0)
	v_cndmask_b32_e64 v80, v80, v82, s1
	v_cndmask_b32_e32 v81, v81, v82, vcc_lo
	s_delay_alu instid0(VALU_DEP_2) | instskip(NEXT) | instid1(VALU_DEP_2)
	v_cvt_f16_f32_e32 v82, v80
	v_cvt_f16_f32_e32 v83, v81
	s_delay_alu instid0(VALU_DEP_1) | instskip(SKIP_1) | instid1(VALU_DEP_1)
	v_pack_b32_f16 v98, v82, v83
	v_sub_f32_e32 v82, v246, v248
	v_mul_f32_e32 v83, 0x3fb8aa3b, v82
	v_cmp_ngt_f32_e64 s4, 0xc2ce8ed0, v82
	s_delay_alu instid0(VALU_DEP_2) | instskip(SKIP_1) | instid1(VALU_DEP_1)
	v_fma_f32 v84, 0x3fb8aa3b, v82, -v83
	v_rndne_f32_e32 v85, v83
	v_dual_fmac_f32 v84, 0x32a5705f, v82 :: v_dual_sub_f32 v83, v83, v85
	s_delay_alu instid0(VALU_DEP_1) | instskip(SKIP_1) | instid1(VALU_DEP_2)
	v_add_f32_e32 v83, v83, v84
	v_cvt_i32_f32_e32 v84, v85
	v_exp_f32_e32 v83, v83
	s_waitcnt_depctr 0xfff
	v_ldexp_f32 v83, v83, v84
	s_delay_alu instid0(VALU_DEP_1) | instskip(SKIP_1) | instid1(VALU_DEP_1)
	v_cndmask_b32_e64 v83, 0, v83, s4
	v_cmp_nlt_f32_e64 s4, 0x42b17218, v82
	v_cndmask_b32_e64 v161, 0x7f800000, v83, s4
	ds_bpermute_b32 v82, v249, v161
	v_cndmask_b32_e64 v80, v80, v161, s3
	v_cndmask_b32_e64 v81, v81, v161, s2
	s_waitcnt lgkmcnt(0)
	s_delay_alu instid0(VALU_DEP_2) | instskip(NEXT) | instid1(VALU_DEP_2)
	v_cndmask_b32_e64 v80, v80, v82, s1
	v_cndmask_b32_e32 v81, v81, v82, vcc_lo
	s_delay_alu instid0(VALU_DEP_2) | instskip(NEXT) | instid1(VALU_DEP_2)
	v_cvt_f16_f32_e32 v82, v80
	v_cvt_f16_f32_e32 v83, v81
	s_delay_alu instid0(VALU_DEP_1) | instskip(SKIP_1) | instid1(VALU_DEP_1)
	v_pack_b32_f16 v99, v82, v83
	v_sub_f32_e32 v82, v216, v248
	v_mul_f32_e32 v83, 0x3fb8aa3b, v82
	v_cmp_ngt_f32_e64 s4, 0xc2ce8ed0, v82
	s_delay_alu instid0(VALU_DEP_2) | instskip(SKIP_1) | instid1(VALU_DEP_1)
	v_fma_f32 v84, 0x3fb8aa3b, v82, -v83
	v_rndne_f32_e32 v85, v83
	v_dual_fmac_f32 v84, 0x32a5705f, v82 :: v_dual_sub_f32 v83, v83, v85
	s_delay_alu instid0(VALU_DEP_1) | instskip(SKIP_1) | instid1(VALU_DEP_2)
	v_add_f32_e32 v83, v83, v84
	v_cvt_i32_f32_e32 v84, v85
	v_exp_f32_e32 v83, v83
	s_waitcnt_depctr 0xfff
	v_ldexp_f32 v83, v83, v84
	s_delay_alu instid0(VALU_DEP_1) | instskip(SKIP_1) | instid1(VALU_DEP_1)
	v_cndmask_b32_e64 v83, 0, v83, s4
	v_cmp_nlt_f32_e64 s4, 0x42b17218, v82
	v_cndmask_b32_e64 v165, 0x7f800000, v83, s4
	ds_bpermute_b32 v82, v249, v165
	v_cndmask_b32_e64 v80, v80, v165, s3
	v_cndmask_b32_e64 v81, v81, v165, s2
	s_waitcnt lgkmcnt(0)
	s_delay_alu instid0(VALU_DEP_2) | instskip(NEXT) | instid1(VALU_DEP_2)
	;; [unrolled: 29-line block ×5, first 2 shown]
	v_cndmask_b32_e64 v80, v80, v82, s1
	v_cndmask_b32_e32 v81, v81, v82, vcc_lo
	s_delay_alu instid0(VALU_DEP_2) | instskip(NEXT) | instid1(VALU_DEP_2)
	v_cvt_f16_f32_e32 v80, v80
	v_cvt_f16_f32_e32 v81, v81
	s_delay_alu instid0(VALU_DEP_1)
	v_pack_b32_f16 v103, v80, v81
	ds_load_u16 v178, v214 offset:1760
	ds_load_u16 v130, v235 offset:1056
	;; [unrolled: 1-line block ×38, first 2 shown]
	ds_load_u16_d16_hi v174, v225 offset:6160
	s_waitcnt lgkmcnt(27)
	ds_load_u16_d16_hi v107, v225 offset:6896
	ds_load_u16_d16_hi v130, v225 offset:6928
	;; [unrolled: 1-line block ×6, first 2 shown]
	s_waitcnt lgkmcnt(32)
	ds_load_u16_d16_hi v108, v225 offset:7248
	ds_load_u16_d16_hi v131, v225 offset:7280
	s_waitcnt lgkmcnt(20)
	ds_load_u16_d16_hi v139, v225 offset:7312
	ds_load_u16_d16_hi v110, v225 offset:7952
	;; [unrolled: 1-line block ×3, first 2 shown]
	s_waitcnt lgkmcnt(21)
	ds_load_u16_d16_hi v141, v225 offset:8016
	ds_load_u16_d16_hi v136, v225 offset:6256
	ds_load_u16_d16_hi v188, v225 offset:6288
	ds_load_u16_d16_hi v176, v225 offset:6864
	ds_load_u16_d16_hi v189, v225 offset:6640
	ds_load_u16_d16_hi v178, v225 offset:7568
	ds_load_u16_d16_hi v191, v225 offset:7344
	ds_load_u16_d16_hi v177, v225 offset:7216
	ds_load_u16_d16_hi v190, v225 offset:6992
	ds_load_u16_d16_hi v179, v225 offset:7920
	ds_load_u16_d16_hi v192, v225 offset:7696
	ds_load_u16_d16_hi v111, v225 offset:8304
	ds_load_u16_d16_hi v134, v225 offset:8336
	s_waitcnt lgkmcnt(33)
	ds_load_u16_d16_hi v142, v225 offset:8368
	s_waitcnt lgkmcnt(30)
	ds_load_u16_d16_hi v194, v225 offset:8400
	ds_load_u16 v112, v225 offset:8448
	ds_load_u16 v146, v225 offset:8480
	ds_load_u16_d16_hi v180, v225 offset:8272
	ds_load_u16_d16_hi v193, v225 offset:8048
	;; [unrolled: 1-line block ×11, first 2 shown]
	ds_load_u16 v138, v239 offset:1056
	v_sub_f32_e32 v80, v209, v248
	s_delay_alu instid0(VALU_DEP_1)
	v_mul_f32_e32 v83, 0x3fb8aa3b, v80
	v_cmp_ngt_f32_e64 s4, 0xc2ce8ed0, v80
	s_waitcnt lgkmcnt(9)
	v_wmma_f32_16x16x16_f16 v[32:39], v[173:180], v[96:103], v[32:39]
	s_waitcnt lgkmcnt(3)
	v_wmma_f32_16x16x16_f16 v[24:31], v[104:111], v[96:103], v[24:31]
	;; [unrolled: 2-line block ×3, first 2 shown]
	v_wmma_f32_16x16x16_f16 v[0:7], v[187:194], v[96:103], v[0:7]
	s_waitcnt lgkmcnt(0)
	ds_load_u16_d16_hi v138, v225 offset:6960
	scratch_load_b64 v[188:189], off, off offset:4 ; 8-byte Folded Reload
	s_waitcnt lgkmcnt(0)
	v_wmma_f32_16x16x16_f16 v[8:15], v[135:142], v[96:103], v[8:15]
	v_fma_f32 v96, 0x3fb8aa3b, v80, -v83
	v_rndne_f32_e32 v97, v83
	s_delay_alu instid0(VALU_DEP_1) | instskip(SKIP_1) | instid1(VALU_DEP_2)
	v_dual_fmac_f32 v96, 0x32a5705f, v80 :: v_dual_sub_f32 v83, v83, v97
	v_cvt_i32_f32_e32 v97, v97
	v_add_f32_e32 v83, v83, v96
	v_sub_f32_e32 v96, v199, v248
	s_delay_alu instid0(VALU_DEP_2) | instskip(NEXT) | instid1(VALU_DEP_1)
	v_exp_f32_e32 v83, v83
	v_mul_f32_e32 v98, 0x3fb8aa3b, v96
	v_cmp_ngt_f32_e64 s5, 0xc2ce8ed0, v96
	s_delay_alu instid0(VALU_DEP_2)
	v_fma_f32 v99, 0x3fb8aa3b, v96, -v98
	v_rndne_f32_e32 v100, v98
	s_waitcnt_depctr 0xfff
	v_ldexp_f32 v83, v83, v97
	v_fmac_f32_e32 v99, 0x32a5705f, v96
	v_sub_f32_e32 v98, v98, v100
	v_cvt_i32_f32_e32 v97, v100
	s_delay_alu instid0(VALU_DEP_4) | instskip(SKIP_1) | instid1(VALU_DEP_4)
	v_cndmask_b32_e64 v83, 0, v83, s4
	v_cmp_nlt_f32_e64 s4, 0x42b17218, v80
	v_add_f32_e32 v98, v98, v99
	s_delay_alu instid0(VALU_DEP_2) | instskip(NEXT) | instid1(VALU_DEP_2)
	v_cndmask_b32_e64 v105, 0x7f800000, v83, s4
	v_exp_f32_e32 v98, v98
	s_waitcnt_depctr 0xfff
	v_ldexp_f32 v97, v98, v97
	s_delay_alu instid0(VALU_DEP_1)
	v_cndmask_b32_e64 v80, 0, v97, s5
	v_cmp_nlt_f32_e64 s5, 0x42b17218, v96
	ds_bpermute_b32 v96, v249, v105
	v_cndmask_b32_e64 v104, 0x7f800000, v80, s5
	ds_bpermute_b32 v80, v249, v104
	s_waitcnt lgkmcnt(0)
	v_cndmask_b32_e32 v83, v104, v80, vcc_lo
	v_cndmask_b32_e64 v80, v104, v80, s1
	s_delay_alu instid0(VALU_DEP_1) | instskip(SKIP_1) | instid1(VALU_DEP_2)
	v_cndmask_b32_e64 v97, v80, v105, s3
	v_cvt_f16_f32_e32 v80, v80
	v_cndmask_b32_e64 v98, v97, v96, s1
	v_cndmask_b32_e64 v97, v83, v105, s2
	v_cvt_f16_f32_e32 v83, v83
	s_delay_alu instid0(VALU_DEP_2) | instskip(NEXT) | instid1(VALU_DEP_2)
	v_cndmask_b32_e32 v99, v97, v96, vcc_lo
	v_pack_b32_f16 v96, v80, v83
	v_sub_f32_e32 v80, v201, v248
	v_cvt_f16_f32_e32 v97, v98
	s_delay_alu instid0(VALU_DEP_4) | instskip(NEXT) | instid1(VALU_DEP_3)
	v_cvt_f16_f32_e32 v100, v99
	v_mul_f32_e32 v83, 0x3fb8aa3b, v80
	v_cmp_ngt_f32_e64 s4, 0xc2ce8ed0, v80
	s_delay_alu instid0(VALU_DEP_3) | instskip(NEXT) | instid1(VALU_DEP_3)
	v_pack_b32_f16 v97, v97, v100
	v_fma_f32 v100, 0x3fb8aa3b, v80, -v83
	v_rndne_f32_e32 v101, v83
	s_delay_alu instid0(VALU_DEP_1) | instskip(NEXT) | instid1(VALU_DEP_1)
	v_dual_fmac_f32 v100, 0x32a5705f, v80 :: v_dual_sub_f32 v83, v83, v101
	v_add_f32_e32 v83, v83, v100
	v_cvt_i32_f32_e32 v100, v101
	s_delay_alu instid0(VALU_DEP_2) | instskip(SKIP_2) | instid1(VALU_DEP_1)
	v_exp_f32_e32 v83, v83
	s_waitcnt_depctr 0xfff
	v_ldexp_f32 v83, v83, v100
	v_cndmask_b32_e64 v83, 0, v83, s4
	v_cmp_nlt_f32_e64 s4, 0x42b17218, v80
	s_delay_alu instid0(VALU_DEP_1) | instskip(NEXT) | instid1(VALU_DEP_1)
	v_cndmask_b32_e64 v106, 0x7f800000, v83, s4
	v_cndmask_b32_e64 v80, v98, v106, s3
	ds_bpermute_b32 v98, v249, v106
	v_cndmask_b32_e64 v83, v99, v106, s2
	s_waitcnt lgkmcnt(0)
	v_cndmask_b32_e64 v80, v80, v98, s1
	s_delay_alu instid0(VALU_DEP_2) | instskip(NEXT) | instid1(VALU_DEP_2)
	v_cndmask_b32_e32 v83, v83, v98, vcc_lo
	v_cvt_f16_f32_e32 v98, v80
	s_delay_alu instid0(VALU_DEP_2) | instskip(NEXT) | instid1(VALU_DEP_1)
	v_cvt_f16_f32_e32 v99, v83
	v_pack_b32_f16 v98, v98, v99
	v_sub_f32_e32 v99, v215, v248
	s_delay_alu instid0(VALU_DEP_1) | instskip(SKIP_1) | instid1(VALU_DEP_2)
	v_mul_f32_e32 v100, 0x3fb8aa3b, v99
	v_cmp_ngt_f32_e64 s4, 0xc2ce8ed0, v99
	v_fma_f32 v101, 0x3fb8aa3b, v99, -v100
	v_rndne_f32_e32 v102, v100
	s_delay_alu instid0(VALU_DEP_1) | instskip(NEXT) | instid1(VALU_DEP_1)
	v_dual_fmac_f32 v101, 0x32a5705f, v99 :: v_dual_sub_f32 v100, v100, v102
	v_add_f32_e32 v100, v100, v101
	v_cvt_i32_f32_e32 v101, v102
	s_delay_alu instid0(VALU_DEP_2) | instskip(SKIP_2) | instid1(VALU_DEP_1)
	v_exp_f32_e32 v100, v100
	s_waitcnt_depctr 0xfff
	v_ldexp_f32 v100, v100, v101
	v_cndmask_b32_e64 v100, 0, v100, s4
	v_cmp_nlt_f32_e64 s4, 0x42b17218, v99
	s_delay_alu instid0(VALU_DEP_1) | instskip(SKIP_4) | instid1(VALU_DEP_2)
	v_cndmask_b32_e64 v107, 0x7f800000, v100, s4
	ds_bpermute_b32 v99, v249, v107
	v_cndmask_b32_e64 v80, v80, v107, s3
	v_cndmask_b32_e64 v83, v83, v107, s2
	s_waitcnt lgkmcnt(0)
	v_cndmask_b32_e64 v80, v80, v99, s1
	s_delay_alu instid0(VALU_DEP_2) | instskip(NEXT) | instid1(VALU_DEP_2)
	v_cndmask_b32_e32 v83, v83, v99, vcc_lo
	v_cvt_f16_f32_e32 v99, v80
	s_delay_alu instid0(VALU_DEP_2) | instskip(NEXT) | instid1(VALU_DEP_1)
	v_cvt_f16_f32_e32 v100, v83
	v_pack_b32_f16 v99, v99, v100
	v_sub_f32_e32 v100, v196, v248
	s_delay_alu instid0(VALU_DEP_1) | instskip(SKIP_1) | instid1(VALU_DEP_2)
	v_mul_f32_e32 v101, 0x3fb8aa3b, v100
	v_cmp_ngt_f32_e64 s4, 0xc2ce8ed0, v100
	v_fma_f32 v102, 0x3fb8aa3b, v100, -v101
	v_rndne_f32_e32 v103, v101
	s_delay_alu instid0(VALU_DEP_1) | instskip(NEXT) | instid1(VALU_DEP_1)
	v_dual_fmac_f32 v102, 0x32a5705f, v100 :: v_dual_sub_f32 v101, v101, v103
	v_add_f32_e32 v101, v101, v102
	v_cvt_i32_f32_e32 v102, v103
	s_delay_alu instid0(VALU_DEP_2) | instskip(SKIP_2) | instid1(VALU_DEP_1)
	v_exp_f32_e32 v101, v101
	s_waitcnt_depctr 0xfff
	v_ldexp_f32 v101, v101, v102
	v_cndmask_b32_e64 v101, 0, v101, s4
	v_cmp_nlt_f32_e64 s4, 0x42b17218, v100
	s_delay_alu instid0(VALU_DEP_1) | instskip(SKIP_4) | instid1(VALU_DEP_2)
	v_cndmask_b32_e64 v108, 0x7f800000, v101, s4
	ds_bpermute_b32 v100, v249, v108
	v_cndmask_b32_e64 v80, v80, v108, s3
	v_cndmask_b32_e64 v83, v83, v108, s2
	s_waitcnt lgkmcnt(0)
	v_cndmask_b32_e64 v80, v80, v100, s1
	s_delay_alu instid0(VALU_DEP_2) | instskip(NEXT) | instid1(VALU_DEP_2)
	v_cndmask_b32_e32 v83, v83, v100, vcc_lo
	v_cvt_f16_f32_e32 v100, v80
	s_delay_alu instid0(VALU_DEP_2) | instskip(NEXT) | instid1(VALU_DEP_1)
	v_cvt_f16_f32_e32 v101, v83
	v_pack_b32_f16 v100, v100, v101
	v_sub_f32_e32 v101, v159, v248
	s_delay_alu instid0(VALU_DEP_1) | instskip(SKIP_1) | instid1(VALU_DEP_2)
	v_mul_f32_e32 v102, 0x3fb8aa3b, v101
	v_cmp_ngt_f32_e64 s4, 0xc2ce8ed0, v101
	v_fma_f32 v103, 0x3fb8aa3b, v101, -v102
	v_rndne_f32_e32 v109, v102
	s_delay_alu instid0(VALU_DEP_2) | instskip(NEXT) | instid1(VALU_DEP_2)
	v_fmac_f32_e32 v103, 0x32a5705f, v101
	v_sub_f32_e32 v102, v102, v109
	s_delay_alu instid0(VALU_DEP_1) | instskip(SKIP_1) | instid1(VALU_DEP_2)
	v_add_f32_e32 v102, v102, v103
	v_cvt_i32_f32_e32 v103, v109
	v_exp_f32_e32 v102, v102
	s_waitcnt_depctr 0xfff
	v_ldexp_f32 v102, v102, v103
	s_delay_alu instid0(VALU_DEP_1) | instskip(SKIP_1) | instid1(VALU_DEP_1)
	v_cndmask_b32_e64 v102, 0, v102, s4
	v_cmp_nlt_f32_e64 s4, 0x42b17218, v101
	v_cndmask_b32_e64 v109, 0x7f800000, v102, s4
	ds_bpermute_b32 v101, v249, v109
	v_cndmask_b32_e64 v80, v80, v109, s3
	v_cndmask_b32_e64 v83, v83, v109, s2
	s_waitcnt lgkmcnt(0)
	s_delay_alu instid0(VALU_DEP_2) | instskip(NEXT) | instid1(VALU_DEP_2)
	v_cndmask_b32_e64 v80, v80, v101, s1
	v_cndmask_b32_e32 v83, v83, v101, vcc_lo
	s_delay_alu instid0(VALU_DEP_2) | instskip(NEXT) | instid1(VALU_DEP_2)
	v_cvt_f16_f32_e32 v101, v80
	v_cvt_f16_f32_e32 v102, v83
	s_delay_alu instid0(VALU_DEP_1) | instskip(SKIP_1) | instid1(VALU_DEP_1)
	v_pack_b32_f16 v101, v101, v102
	v_sub_f32_e32 v102, v158, v248
	v_mul_f32_e32 v103, 0x3fb8aa3b, v102
	v_cmp_ngt_f32_e64 s4, 0xc2ce8ed0, v102
	s_delay_alu instid0(VALU_DEP_2) | instskip(SKIP_1) | instid1(VALU_DEP_1)
	v_fma_f32 v110, 0x3fb8aa3b, v102, -v103
	v_rndne_f32_e32 v111, v103
	v_dual_fmac_f32 v110, 0x32a5705f, v102 :: v_dual_sub_f32 v103, v103, v111
	s_delay_alu instid0(VALU_DEP_1) | instskip(SKIP_1) | instid1(VALU_DEP_2)
	v_add_f32_e32 v103, v103, v110
	v_cvt_i32_f32_e32 v110, v111
	v_exp_f32_e32 v103, v103
	s_waitcnt_depctr 0xfff
	v_ldexp_f32 v103, v103, v110
	s_delay_alu instid0(VALU_DEP_1) | instskip(SKIP_1) | instid1(VALU_DEP_1)
	v_cndmask_b32_e64 v103, 0, v103, s4
	v_cmp_nlt_f32_e64 s4, 0x42b17218, v102
	v_cndmask_b32_e64 v110, 0x7f800000, v103, s4
	ds_bpermute_b32 v102, v249, v110
	v_cndmask_b32_e64 v80, v80, v110, s3
	v_cndmask_b32_e64 v83, v83, v110, s2
	s_waitcnt lgkmcnt(0)
	s_delay_alu instid0(VALU_DEP_2) | instskip(NEXT) | instid1(VALU_DEP_2)
	v_cndmask_b32_e64 v80, v80, v102, s1
	v_cndmask_b32_e32 v83, v83, v102, vcc_lo
	s_delay_alu instid0(VALU_DEP_2) | instskip(NEXT) | instid1(VALU_DEP_2)
	v_cvt_f16_f32_e32 v102, v80
	v_cvt_f16_f32_e32 v103, v83
	s_delay_alu instid0(VALU_DEP_1) | instskip(SKIP_1) | instid1(VALU_DEP_1)
	v_pack_b32_f16 v102, v102, v103
	v_sub_f32_e32 v103, v157, v248
	v_mul_f32_e32 v111, 0x3fb8aa3b, v103
	v_cmp_ngt_f32_e64 s4, 0xc2ce8ed0, v103
	s_delay_alu instid0(VALU_DEP_2) | instskip(SKIP_1) | instid1(VALU_DEP_2)
	v_fma_f32 v116, 0x3fb8aa3b, v103, -v111
	v_rndne_f32_e32 v119, v111
	v_fmac_f32_e32 v116, 0x32a5705f, v103
	s_delay_alu instid0(VALU_DEP_2) | instskip(NEXT) | instid1(VALU_DEP_1)
	v_sub_f32_e32 v111, v111, v119
	v_add_f32_e32 v111, v111, v116
	v_cvt_i32_f32_e32 v116, v119
	s_delay_alu instid0(VALU_DEP_2) | instskip(SKIP_2) | instid1(VALU_DEP_1)
	v_exp_f32_e32 v111, v111
	s_waitcnt_depctr 0xfff
	v_ldexp_f32 v111, v111, v116
	v_cndmask_b32_e64 v111, 0, v111, s4
	v_cmp_nlt_f32_e64 s4, 0x42b17218, v103
	s_delay_alu instid0(VALU_DEP_1) | instskip(SKIP_4) | instid1(VALU_DEP_2)
	v_cndmask_b32_e64 v111, 0x7f800000, v111, s4
	ds_bpermute_b32 v103, v249, v111
	v_cndmask_b32_e64 v80, v80, v111, s3
	v_cndmask_b32_e64 v83, v83, v111, s2
	s_waitcnt lgkmcnt(0)
	v_cndmask_b32_e64 v80, v80, v103, s1
	s_delay_alu instid0(VALU_DEP_2) | instskip(NEXT) | instid1(VALU_DEP_2)
	v_cndmask_b32_e32 v83, v83, v103, vcc_lo
	v_cvt_f16_f32_e32 v80, v80
	s_delay_alu instid0(VALU_DEP_2) | instskip(NEXT) | instid1(VALU_DEP_1)
	v_cvt_f16_f32_e32 v83, v83
	v_pack_b32_f16 v103, v80, v83
	ds_load_u16 v151, v232 offset:1760
	ds_load_u16 v158, v240 offset:1760
	;; [unrolled: 1-line block ×7, first 2 shown]
	ds_load_u16_d16_hi v153, v225 offset:11120
	ds_load_u16_d16_hi v148, v225 offset:9360
	;; [unrolled: 1-line block ×8, first 2 shown]
	s_waitcnt lgkmcnt(14)
	ds_load_u16_d16_hi v151, v225 offset:10416
	ds_load_u16_d16_hi v124, v225 offset:10448
	s_waitcnt lgkmcnt(15)
	ds_load_u16_d16_hi v158, v225 offset:10480
	s_waitcnt lgkmcnt(15)
	ds_load_u16_d16_hi v152, v225 offset:10768
	ds_load_u16_d16_hi v125, v225 offset:10800
	s_waitcnt lgkmcnt(16)
	ds_load_u16_d16_hi v159, v225 offset:10832
	ds_load_u16_d16_hi v120, v225 offset:9040
	;; [unrolled: 1-line block ×3, first 2 shown]
	s_waitcnt lgkmcnt(18)
	ds_load_u16_d16_hi v116, v225 offset:10032
	s_waitcnt lgkmcnt(18)
	ds_load_u16_d16_hi v83, v225 offset:9808
	ds_load_u16_d16_hi v115, v225 offset:9680
	;; [unrolled: 1-line block ×5, first 2 shown]
	s_waitcnt lgkmcnt(22)
	ds_load_u16_d16_hi v119, v225 offset:11088
	ds_load_u16_d16_hi v86, v225 offset:10864
	;; [unrolled: 1-line block ×7, first 2 shown]
	ds_load_u16 v80, v225 offset:8576
	ds_load_u16 v150, v232 offset:1408
	;; [unrolled: 1-line block ×3, first 2 shown]
	ds_load_u16_d16_hi v147, v225 offset:9008
	s_waitcnt lgkmcnt(2)
	ds_load_u16_d16_hi v150, v225 offset:10064
	ds_load_u16_d16_hi v123, v225 offset:10096
	s_waitcnt lgkmcnt(3)
	ds_load_u16_d16_hi v157, v225 offset:10128
	ds_load_u16_d16_hi v80, v225 offset:8752
	v_wmma_f32_16x16x16_f16 v[32:39], v[112:119], v[96:103], v[32:39]
	s_waitcnt lgkmcnt(3)
	v_wmma_f32_16x16x16_f16 v[24:31], v[146:153], v[96:103], v[24:31]
	ds_load_u16 v126, v236 offset:2464
	ds_load_u16 v119, v225 offset:8512
	;; [unrolled: 1-line block ×3, first 2 shown]
	s_waitcnt lgkmcnt(2)
	ds_load_u16_d16_hi v126, v225 offset:11152
	ds_load_u16_d16_hi v160, v225 offset:11184
	s_waitcnt lgkmcnt(3)
	ds_load_u16_d16_hi v119, v225 offset:8688
	s_waitcnt lgkmcnt(3)
	ds_load_u16_d16_hi v153, v225 offset:8720
	v_wmma_f32_16x16x16_f16 v[0:7], v[80:87], v[96:103], v[0:7]
	v_add_f32_e32 v80, v213, v208
	scratch_load_b64 v[208:209], off, off offset:12 ; 8-byte Folded Reload
	v_mov_b32_e32 v81, v185
	ds_load_u16_d16_hi v155, v225 offset:9424
	v_add_f32_e32 v80, v162, v80
	s_delay_alu instid0(VALU_DEP_1)
	v_add_f32_e32 v80, v210, v80
	scratch_load_b64 v[210:211], off, off offset:20 ; 8-byte Folded Reload
	v_add_f32_e32 v80, v212, v80
	scratch_load_b64 v[212:213], off, off offset:28 ; 8-byte Folded Reload
	s_waitcnt lgkmcnt(2)
	v_wmma_f32_16x16x16_f16 v[16:23], v[119:126], v[96:103], v[16:23]
	v_add_f32_e32 v80, v245, v80
	scratch_load_b64 v[245:246], off, off offset:52 ; 8-byte Folded Reload
	s_waitcnt lgkmcnt(0)
	v_wmma_f32_16x16x16_f16 v[8:15], v[153:160], v[96:103], v[8:15]
	v_add_f32_e32 v80, v186, v80
	s_delay_alu instid0(VALU_DEP_1) | instskip(NEXT) | instid1(VALU_DEP_1)
	v_add_f32_e32 v80, v163, v80
	v_add_f32_e32 v80, v88, v80
	s_delay_alu instid0(VALU_DEP_1) | instskip(NEXT) | instid1(VALU_DEP_1)
	v_add_f32_e32 v80, v89, v80
	v_add_f32_e32 v80, v90, v80
	s_delay_alu instid0(VALU_DEP_1) | instskip(NEXT) | instid1(VALU_DEP_1)
	v_add_f32_e32 v80, v91, v80
	v_add_f32_e32 v80, v92, v80
	s_delay_alu instid0(VALU_DEP_1) | instskip(NEXT) | instid1(VALU_DEP_1)
	v_add_f32_e32 v80, v93, v80
	v_add_f32_e32 v80, v94, v80
	s_delay_alu instid0(VALU_DEP_1) | instskip(NEXT) | instid1(VALU_DEP_1)
	v_add_f32_e32 v80, v95, v80
	v_add_f32_e32 v80, v143, v80
	s_delay_alu instid0(VALU_DEP_1) | instskip(NEXT) | instid1(VALU_DEP_1)
	v_add_f32_e32 v80, v144, v80
	v_add_f32_e32 v80, v145, v80
	s_delay_alu instid0(VALU_DEP_1) | instskip(NEXT) | instid1(VALU_DEP_1)
	v_add_f32_e32 v80, v161, v80
	v_add_f32_e32 v80, v165, v80
	s_delay_alu instid0(VALU_DEP_1) | instskip(NEXT) | instid1(VALU_DEP_1)
	v_add_f32_e32 v80, v166, v80
	v_add_f32_e32 v80, v167, v80
	s_delay_alu instid0(VALU_DEP_1)
	v_add_f32_e32 v80, v168, v80
	scratch_load_b64 v[168:169], off, off offset:36 ; 8-byte Folded Reload
	s_waitcnt vmcnt(0)
	s_barrier
	buffer_gl0_inv
	v_add_f32_e32 v80, v104, v80
	s_delay_alu instid0(VALU_DEP_1) | instskip(NEXT) | instid1(VALU_DEP_1)
	v_add_f32_e32 v80, v105, v80
	v_add_f32_e32 v80, v106, v80
	s_delay_alu instid0(VALU_DEP_1) | instskip(NEXT) | instid1(VALU_DEP_1)
	v_add_f32_e32 v80, v107, v80
	;; [unrolled: 3-line block ×4, first 2 shown]
	v_fmac_f32_e32 v185, v81, v164
	s_cbranch_scc1 .LBB9_104
; %bb.105:                              ;   in Loop: Header=BB9_15 Depth=1
	s_clause 0x7
	scratch_load_b32 v201, off, off offset:272
	scratch_load_b64 v[179:180], off, off offset:368
	scratch_load_b32 v202, off, off offset:276
	scratch_load_b32 v190, off, off offset:244
	scratch_load_b64 v[80:81], off, off offset:344
	scratch_load_b32 v215, off, off offset:352
	scratch_load_b32 v216, off, off offset:356
	;; [unrolled: 1-line block ×3, first 2 shown]
	v_mov_b32_e32 v129, 32
	s_waitcnt vmcnt(7)
	v_dual_mov_b32 v221, v195 :: v_dual_add_nc_u32 v192, 48, v201
	s_waitcnt vmcnt(3)
	v_dual_mov_b32 v191, v80 :: v_dual_add_nc_u32 v194, 32, v201
	s_clause 0x10
	scratch_load_b32 v197, off, off offset:388
	scratch_load_b32 v254, off, off offset:392
	;; [unrolled: 1-line block ×5, first 2 shown]
	scratch_load_b64 v[206:207], off, off offset:208
	scratch_load_b64 v[80:81], off, off offset:216
	;; [unrolled: 1-line block ×3, first 2 shown]
	scratch_load_b32 v173, off, off offset:308
	scratch_load_b32 v174, off, off offset:312
	;; [unrolled: 1-line block ×9, first 2 shown]
	v_and_b32_e32 v193, 15, v201
	v_add_nc_u32_e32 v196, 12, v201
	v_add_nc_u32_e32 v199, 16, v201
	s_waitcnt vmcnt(10)
	v_mov_b32_e32 v207, v80
.LBB9_106:                              ;   in Loop: Header=BB9_15 Depth=1
	s_lshl_b32 s2, s10, 6
	v_dual_mov_b32 v119, s43 :: v_dual_lshlrev_b32 v82, 1, v195
	s_ashr_i32 s3, s2, 31
	v_lshlrev_b64 v[80:81], 1, v[226:227]
	s_lshl_b64 s[4:5], s[2:3], 1
	v_lshlrev_b64 v[84:85], 1, v[183:184]
	s_add_u32 s1, vcc_hi, s4
	s_addc_u32 s3, s66, s5
	v_add_co_u32 v88, s1, s1, v82
	s_delay_alu instid0(VALU_DEP_1) | instskip(SKIP_1) | instid1(VALU_DEP_3)
	v_add_co_ci_u32_e64 v89, null, s3, 0, s1
	v_lshlrev_b64 v[82:83], 1, v[217:218]
	v_add_co_u32 v80, vcc_lo, v88, v80
	s_delay_alu instid0(VALU_DEP_3) | instskip(SKIP_1) | instid1(VALU_DEP_4)
	v_add_co_ci_u32_e32 v81, vcc_lo, v89, v81, vcc_lo
	v_lshlrev_b64 v[86:87], 1, v[181:182]
	v_add_co_u32 v82, vcc_lo, v88, v82
	v_add_co_ci_u32_e32 v83, vcc_lo, v89, v83, vcc_lo
	v_add_co_u32 v84, vcc_lo, v88, v84
	v_add_co_ci_u32_e32 v85, vcc_lo, v89, v85, vcc_lo
	;; [unrolled: 2-line block ×3, first 2 shown]
	s_clause 0x3
	global_load_b32 v80, v[80:81], off
	global_load_b32 v81, v[82:83], off
	;; [unrolled: 1-line block ×4, first 2 shown]
	s_clause 0x1
	scratch_load_b32 v84, off, off
	scratch_load_b32 v226, off, off offset:196
	s_mul_hi_i32 s5, s52, s2
	s_mul_i32 s4, s52, s2
	v_dual_mov_b32 v116, s40 :: v_dual_mov_b32 v113, s37
	s_lshl_b64 s[4:5], s[4:5], 2
	v_mov_b32_e32 v114, s38
	s_add_u32 s1, s103, s4
	s_addc_u32 s3, s104, s5
	v_dual_mov_b32 v112, s36 :: v_dual_mov_b32 v117, s41
	v_dual_mov_b32 v118, s42 :: v_dual_mov_b32 v115, s39
	s_waitcnt vmcnt(1)
	v_add_nc_u32_e32 v84, v221, v84
	s_delay_alu instid0(VALU_DEP_1)
	v_add_nc_u32_e32 v85, 0x2c00, v84
	ds_store_2addr_b32 v85, v80, v81 offset1:144
	v_add_nc_u32_e32 v80, 0x3000, v84
	ds_store_2addr_b32 v80, v82, v83 offset0:32 offset1:176
	v_add_co_u32 v80, vcc_lo, s1, v245
	v_add_co_ci_u32_e32 v81, vcc_lo, s3, v246, vcc_lo
	s_delay_alu instid0(VALU_DEP_2) | instskip(NEXT) | instid1(VALU_DEP_2)
	v_add_co_u32 v80, vcc_lo, v80, v251
	v_add_co_ci_u32_e32 v81, vcc_lo, 0, v81, vcc_lo
	v_add_co_u32 v82, vcc_lo, s1, v188
	v_add_co_ci_u32_e32 v83, vcc_lo, s3, v189, vcc_lo
	s_waitcnt vmcnt(0)
	s_delay_alu instid0(VALU_DEP_2) | instskip(NEXT) | instid1(VALU_DEP_2)
	v_add_co_u32 v84, vcc_lo, v82, v226
	v_add_co_ci_u32_e32 v85, vcc_lo, 0, v83, vcc_lo
	s_clause 0x1
	global_load_b128 v[80:83], v[80:81], off offset:128
	global_load_b128 v[84:87], v[84:85], off
	s_waitcnt vmcnt(1)
	ds_store_b128 v198, v[80:83]
	v_add_co_u32 v80, vcc_lo, s1, v208
	v_add_co_ci_u32_e32 v81, vcc_lo, s3, v209, vcc_lo
	s_delay_alu instid0(VALU_DEP_2) | instskip(NEXT) | instid1(VALU_DEP_2)
	v_add_co_u32 v80, vcc_lo, v80, v226
	v_add_co_ci_u32_e32 v81, vcc_lo, 0, v81, vcc_lo
	v_add_co_u32 v82, vcc_lo, s1, v210
	v_add_co_ci_u32_e32 v83, vcc_lo, s3, v211, vcc_lo
	s_delay_alu instid0(VALU_DEP_2) | instskip(NEXT) | instid1(VALU_DEP_2)
	v_add_co_u32 v88, vcc_lo, v82, v226
	v_add_co_ci_u32_e32 v89, vcc_lo, 0, v83, vcc_lo
	s_clause 0x1
	global_load_b128 v[80:83], v[80:81], off
	global_load_b128 v[88:91], v[88:89], off
	s_waitcnt vmcnt(2)
	ds_store_b128 v204, v[84:87]
	s_waitcnt vmcnt(1)
	ds_store_b128 v205, v[80:83]
	v_add_co_u32 v80, vcc_lo, s1, v212
	v_add_co_ci_u32_e32 v81, vcc_lo, s3, v213, vcc_lo
	s_mul_hi_i32 s3, s46, s2
	s_delay_alu instid0(VALU_DEP_2) | instskip(NEXT) | instid1(VALU_DEP_2)
	v_add_co_u32 v80, vcc_lo, v80, v226
	v_add_co_ci_u32_e32 v81, vcc_lo, 0, v81, vcc_lo
	v_cmp_lt_i32_e32 vcc_lo, v128, v129
	s_mul_i32 s2, s46, s2
	global_load_b128 v[80:83], v[80:81], off
	s_lshl_b64 s[2:3], s[2:3], 2
	s_waitcnt vmcnt(1)
	ds_store_b128 v247, v[88:91]
	s_waitcnt vmcnt(0)
	ds_store_b128 v222, v[80:83]
	s_waitcnt lgkmcnt(0)
	s_waitcnt_vscnt null, 0x0
	s_barrier
	buffer_gl0_inv
	ds_load_b128 v[80:83], v223
	ds_load_b128 v[84:87], v223 offset:16
	ds_load_b128 v[88:91], v223 offset:2816
	ds_load_b128 v[92:95], v223 offset:2832
	ds_load_b128 v[96:99], v223 offset:5632
	ds_load_b128 v[100:103], v223 offset:5648
	ds_load_b128 v[104:107], v223 offset:8448
	ds_load_b128 v[108:111], v223 offset:8464
	s_add_u32 s1, s80, s2
	s_addc_u32 s2, s102, s3
	v_cmp_eq_u32_e64 s3, 1, v203
	s_cmp_eq_u64 s[78:79], 0
	s_waitcnt lgkmcnt(6)
	v_wmma_f32_16x16x16_f16 v[120:127], v[80:87], v[72:79], v[112:119]
	s_waitcnt lgkmcnt(4)
	v_wmma_f32_16x16x16_f16 v[80:87], v[88:95], v[72:79], v[112:119]
	;; [unrolled: 2-line block ×4, first 2 shown]
	ds_load_b128 v[72:75], v223 offset:32
	ds_load_b128 v[76:79], v223 offset:48
	s_waitcnt lgkmcnt(0)
	v_wmma_f32_16x16x16_f16 v[120:127], v[72:79], v[64:71], v[120:127]
	ds_load_b128 v[72:75], v223 offset:2848
	ds_load_b128 v[76:79], v223 offset:2864
	s_waitcnt lgkmcnt(0)
	v_wmma_f32_16x16x16_f16 v[80:87], v[72:79], v[64:71], v[80:87]
	;; [unrolled: 4-line block ×15, first 2 shown]
	ds_load_b128 v[40:43], v223 offset:8576
	ds_load_b128 v[44:47], v223 offset:8592
	s_waitcnt lgkmcnt(0)
	s_barrier
	buffer_gl0_inv
	v_wmma_f32_16x16x16_f16 v[140:147], v[40:47], v[56:63], v[140:147]
	ds_load_u16 v40, v224
	ds_load_u16 v41, v224 offset:4
	ds_load_u16 v42, v224 offset:8
	ds_load_u16 v43, v224 offset:12
	ds_load_u16 v44, v224 offset:16
	ds_load_u16 v45, v224 offset:20
	ds_load_u16 v46, v224 offset:24
	ds_load_u16 v47, v224 offset:28
	ds_load_u16 v48, v224 offset:32
	ds_load_u16 v49, v224 offset:36
	ds_load_u16 v50, v224 offset:40
	ds_load_u16 v51, v224 offset:44
	ds_load_u16 v52, v224 offset:48
	ds_load_u16 v53, v224 offset:52
	ds_load_u16 v54, v224 offset:56
	ds_load_u16 v55, v224 offset:60
	s_waitcnt lgkmcnt(15)
	v_cvt_f32_f16_e32 v40, v40
	s_waitcnt lgkmcnt(7)
	v_cvt_f32_f16_e32 v48, v48
	;; [unrolled: 2-line block ×4, first 2 shown]
	v_cvt_f32_f16_e32 v44, v44
	s_waitcnt lgkmcnt(4)
	v_cvt_f32_f16_e32 v51, v51
	v_cvt_f32_f16_e32 v46, v46
	s_waitcnt lgkmcnt(3)
	v_cvt_f32_f16_e32 v52, v52
	s_waitcnt lgkmcnt(2)
	;; [unrolled: 2-line block ×4, first 2 shown]
	v_cvt_f32_f16_e32 v55, v55
	v_dual_add_f32 v44, v124, v44 :: v_dual_add_f32 v71, v82, v50
	v_dual_add_f32 v46, v126, v46 :: v_dual_add_f32 v69, v84, v52
	;; [unrolled: 1-line block ×3, first 2 shown]
	v_add_f32_e32 v78, v81, v49
	v_add_f32_e32 v70, v83, v51
	;; [unrolled: 1-line block ×4, first 2 shown]
	ds_load_u16 v48, v224 offset:64
	ds_load_u16 v49, v224 offset:68
	;; [unrolled: 1-line block ×8, first 2 shown]
	v_cvt_f32_f16_e32 v41, v41
	v_cvt_f32_f16_e32 v42, v42
	;; [unrolled: 1-line block ×4, first 2 shown]
	s_delay_alu instid0(VALU_DEP_4) | instskip(SKIP_1) | instid1(VALU_DEP_4)
	v_dual_add_f32 v40, v120, v40 :: v_dual_add_f32 v41, v121, v41
	v_cvt_f32_f16_e32 v47, v47
	v_dual_add_f32 v42, v122, v42 :: v_dual_add_f32 v43, v123, v43
	s_delay_alu instid0(VALU_DEP_4) | instskip(NEXT) | instid1(VALU_DEP_3)
	v_add_f32_e32 v45, v125, v45
	v_add_f32_e32 v47, v127, v47
	s_waitcnt lgkmcnt(7)
	v_cvt_f32_f16_e32 v48, v48
	s_waitcnt lgkmcnt(6)
	v_cvt_f32_f16_e32 v49, v49
	s_waitcnt lgkmcnt(5)
	v_cvt_f32_f16_e32 v50, v50
	s_waitcnt lgkmcnt(4)
	v_cvt_f32_f16_e32 v51, v51
	s_waitcnt lgkmcnt(3)
	v_cvt_f32_f16_e32 v52, v52
	s_waitcnt lgkmcnt(2)
	v_cvt_f32_f16_e32 v53, v53
	s_waitcnt lgkmcnt(1)
	v_cvt_f32_f16_e32 v54, v54
	s_waitcnt lgkmcnt(0)
	v_cvt_f32_f16_e32 v55, v55
	v_dual_add_f32 v138, v88, v48 :: v_dual_add_f32 v139, v89, v49
	v_dual_add_f32 v137, v90, v50 :: v_dual_add_f32 v136, v91, v51
	v_add_f32_e32 v135, v92, v52
	v_dual_add_f32 v99, v93, v53 :: v_dual_add_f32 v98, v94, v54
	v_add_f32_e32 v97, v95, v55
	ds_load_u16 v48, v224 offset:96
	ds_load_u16 v49, v224 offset:100
	;; [unrolled: 1-line block ×8, first 2 shown]
	s_waitcnt lgkmcnt(7)
	v_cvt_f32_f16_e32 v48, v48
	s_waitcnt lgkmcnt(6)
	v_cvt_f32_f16_e32 v49, v49
	;; [unrolled: 2-line block ×5, first 2 shown]
	v_add_f32_e32 v133, v140, v48
	s_waitcnt lgkmcnt(1)
	v_cvt_f32_f16_e32 v54, v54
	v_add_f32_e32 v134, v141, v49
	v_dual_add_f32 v132, v142, v50 :: v_dual_add_f32 v49, 0x40051340, v41
	v_add_f32_e32 v48, 0x40051340, v40
	v_cvt_f32_f16_e32 v53, v53
	v_add_f32_e32 v130, v144, v52
	v_add_f32_e32 v50, 0x40051340, v43
	s_waitcnt lgkmcnt(0)
	v_cvt_f32_f16_e32 v55, v55
	v_max3_f32 v48, v248, v48, v49
	v_dual_add_f32 v49, 0x40051340, v42 :: v_dual_add_f32 v102, v145, v53
	v_add_f32_e32 v131, v143, v51
	s_delay_alu instid0(VALU_DEP_4) | instskip(NEXT) | instid1(VALU_DEP_3)
	v_dual_add_f32 v100, v147, v55 :: v_dual_add_f32 v101, v146, v54
	v_max3_f32 v48, v48, v49, v50
	v_dual_add_f32 v49, 0x40051340, v44 :: v_dual_add_f32 v50, 0x40051340, v45
	s_delay_alu instid0(VALU_DEP_1) | instskip(SKIP_1) | instid1(VALU_DEP_1)
	v_max3_f32 v48, v48, v49, v50
	v_dual_add_f32 v49, 0x40051340, v46 :: v_dual_add_f32 v50, 0x40051340, v47
	v_max3_f32 v48, v48, v49, v50
	v_dual_add_f32 v49, 0x40051340, v76 :: v_dual_add_f32 v50, 0x40051340, v78
	s_delay_alu instid0(VALU_DEP_1) | instskip(SKIP_1) | instid1(VALU_DEP_1)
	v_max3_f32 v48, v48, v49, v50
	;; [unrolled: 5-line block ×4, first 2 shown]
	v_dual_add_f32 v49, 0x40051340, v137 :: v_dual_add_f32 v50, 0x40051340, v136
	v_max3_f32 v48, v48, v49, v50
	v_add_f32_e32 v49, 0x40051340, v135
	v_add_f32_e32 v50, 0x40051340, v99
	s_delay_alu instid0(VALU_DEP_1) | instskip(SKIP_1) | instid1(VALU_DEP_1)
	v_max3_f32 v48, v48, v49, v50
	v_dual_add_f32 v49, 0x40051340, v98 :: v_dual_add_f32 v50, 0x40051340, v97
	v_max3_f32 v48, v48, v49, v50
	v_dual_add_f32 v49, 0x40051340, v133 :: v_dual_add_f32 v50, 0x40051340, v134
	s_delay_alu instid0(VALU_DEP_1) | instskip(SKIP_1) | instid1(VALU_DEP_1)
	v_max3_f32 v48, v48, v49, v50
	v_dual_add_f32 v49, 0x40051340, v132 :: v_dual_add_f32 v50, 0x40051340, v131
	v_max3_f32 v48, v48, v49, v50
	v_add_f32_e32 v49, 0x40051340, v130
	v_add_f32_e32 v50, 0x40051340, v102
	s_delay_alu instid0(VALU_DEP_1) | instskip(SKIP_1) | instid1(VALU_DEP_1)
	v_max3_f32 v48, v48, v49, v50
	v_dual_add_f32 v49, 0x40051340, v101 :: v_dual_add_f32 v50, 0x40051340, v100
	v_max3_f32 v48, v48, v49, v50
	scratch_load_b32 v49, off, off offset:64 ; 4-byte Folded Reload
	s_waitcnt vmcnt(0)
	v_cndmask_b32_e32 v49, v49, v128, vcc_lo
	s_delay_alu instid0(VALU_DEP_1) | instskip(SKIP_3) | instid1(VALU_DEP_1)
	v_lshlrev_b32_e32 v129, 2, v49
	ds_bpermute_b32 v49, v129, v48
	s_waitcnt lgkmcnt(0)
	v_max_f32_e32 v49, v49, v49
	v_max_f32_e32 v128, v48, v49
	s_delay_alu instid0(VALU_DEP_1) | instskip(NEXT) | instid1(VALU_DEP_1)
	v_sub_f32_e32 v48, v248, v128
	v_mul_f32_e32 v49, 0x3fb8aa3b, v48
	v_sub_f32_e32 v41, v41, v128
	v_sub_f32_e32 v40, v40, v128
	;; [unrolled: 1-line block ×4, first 2 shown]
	v_fma_f32 v50, 0x3fb8aa3b, v48, -v49
	v_rndne_f32_e32 v51, v49
	v_sub_f32_e32 v45, v45, v128
	v_cmp_ngt_f32_e64 s4, 0xc2ce8ed0, v42
	v_sub_f32_e32 v46, v46, v128
	s_delay_alu instid0(VALU_DEP_4) | instskip(SKIP_1) | instid1(VALU_DEP_2)
	v_dual_fmac_f32 v50, 0x32a5705f, v48 :: v_dual_sub_f32 v49, v49, v51
	v_sub_f32_e32 v47, v47, v128
	v_add_f32_e32 v49, v49, v50
	v_cvt_i32_f32_e32 v50, v51
	v_cmp_ngt_f32_e32 vcc_lo, 0xc2ce8ed0, v48
	s_delay_alu instid0(VALU_DEP_3) | instskip(SKIP_2) | instid1(VALU_DEP_1)
	v_exp_f32_e32 v49, v49
	s_waitcnt_depctr 0xfff
	v_ldexp_f32 v49, v49, v50
	v_cndmask_b32_e32 v49, 0, v49, vcc_lo
	v_cmp_nlt_f32_e32 vcc_lo, 0x42b17218, v48
	s_delay_alu instid0(VALU_DEP_2) | instskip(SKIP_1) | instid1(VALU_DEP_2)
	v_cndmask_b32_e32 v49, 0x7f800000, v49, vcc_lo
	v_cmp_le_f32_e32 vcc_lo, 0xc1a00000, v48
	v_cndmask_b32_e32 v140, 0, v49, vcc_lo
	v_add_co_u32 v48, vcc_lo, s1, v168
	v_add_co_ci_u32_e32 v49, vcc_lo, s2, v169, vcc_lo
	s_delay_alu instid0(VALU_DEP_3) | instskip(NEXT) | instid1(VALU_DEP_3)
	v_mul_f32_e32 v33, v33, v140
	v_add_co_u32 v48, vcc_lo, v48, v251
	s_delay_alu instid0(VALU_DEP_3) | instskip(SKIP_3) | instid1(VALU_DEP_3)
	v_add_co_ci_u32_e32 v49, vcc_lo, 0, v49, vcc_lo
	v_add_co_u32 v50, vcc_lo, s1, v170
	v_add_co_ci_u32_e32 v51, vcc_lo, s2, v171, vcc_lo
	v_mul_f32_e32 v39, v39, v140
	v_add_co_u32 v52, vcc_lo, v50, v226
	s_delay_alu instid0(VALU_DEP_3)
	v_add_co_ci_u32_e32 v53, vcc_lo, 0, v51, vcc_lo
	s_clause 0x1
	global_load_b128 v[48:51], v[48:49], off offset:128
	global_load_b128 v[52:55], v[52:53], off
	s_clause 0x1
	scratch_load_b64 v[181:182], off, off offset:172
	scratch_load_b64 v[183:184], off, off offset:180
	v_mul_f32_e32 v24, v24, v140
	v_mul_f32_e32 v16, v16, v140
	;; [unrolled: 1-line block ×16, first 2 shown]
	s_waitcnt vmcnt(3)
	ds_store_b128 v198, v[48:51]
	s_waitcnt vmcnt(1)
	v_add_co_u32 v48, vcc_lo, s1, v181
	v_add_co_ci_u32_e32 v49, vcc_lo, s2, v182, vcc_lo
	s_delay_alu instid0(VALU_DEP_2) | instskip(NEXT) | instid1(VALU_DEP_2)
	v_add_co_u32 v48, vcc_lo, v48, v226
	v_add_co_ci_u32_e32 v49, vcc_lo, 0, v49, vcc_lo
	s_waitcnt vmcnt(0)
	v_add_co_u32 v50, vcc_lo, s1, v183
	v_add_co_ci_u32_e32 v51, vcc_lo, s2, v184, vcc_lo
	s_delay_alu instid0(VALU_DEP_2) | instskip(NEXT) | instid1(VALU_DEP_2)
	v_add_co_u32 v56, vcc_lo, v50, v226
	v_add_co_ci_u32_e32 v57, vcc_lo, 0, v51, vcc_lo
	s_clause 0x1
	global_load_b128 v[48:51], v[48:49], off
	global_load_b128 v[56:59], v[56:57], off
	ds_store_b128 v204, v[52:55]
	s_waitcnt vmcnt(1)
	ds_store_b128 v205, v[48:51]
	scratch_load_b64 v[252:253], off, off offset:188 ; 8-byte Folded Reload
	s_waitcnt vmcnt(0)
	v_add_co_u32 v48, vcc_lo, s1, v252
	v_add_co_ci_u32_e32 v49, vcc_lo, s2, v253, vcc_lo
	v_cmp_ngt_f32_e64 s1, 0xc2ce8ed0, v40
	s_delay_alu instid0(VALU_DEP_3) | instskip(NEXT) | instid1(VALU_DEP_3)
	v_add_co_u32 v48, vcc_lo, v48, v226
	v_add_co_ci_u32_e32 v49, vcc_lo, 0, v49, vcc_lo
	v_cmp_ngt_f32_e32 vcc_lo, 0xc2ce8ed0, v41
	v_cmp_eq_u32_e64 s2, 0, v203
	global_load_b128 v[48:51], v[48:49], off
	ds_store_b128 v247, v[56:59]
	s_waitcnt vmcnt(0)
	ds_store_b128 v222, v[48:51]
	scratch_load_b32 v217, off, off offset:60 ; 4-byte Folded Reload
	v_mul_f32_e32 v48, 0x3fb8aa3b, v41
	s_waitcnt vmcnt(0) lgkmcnt(0)
	s_barrier
	buffer_gl0_inv
	v_fma_f32 v49, 0x3fb8aa3b, v41, -v48
	v_rndne_f32_e32 v50, v48
	v_mul_f32_e32 v34, v34, v140
	v_mul_f32_e32 v35, v35, v140
	s_delay_alu instid0(VALU_DEP_3) | instskip(SKIP_2) | instid1(VALU_DEP_3)
	v_dual_fmac_f32 v49, 0x32a5705f, v41 :: v_dual_sub_f32 v48, v48, v50
	v_mul_f32_e32 v37, v37, v140
	v_cvt_i32_f32_e32 v50, v50
	v_dual_add_f32 v48, v48, v49 :: v_dual_mul_f32 v49, 0x3fb8aa3b, v40
	s_delay_alu instid0(VALU_DEP_1) | instskip(NEXT) | instid1(VALU_DEP_1)
	v_exp_f32_e32 v48, v48
	v_fma_f32 v51, 0x3fb8aa3b, v40, -v49
	v_rndne_f32_e32 v52, v49
	s_delay_alu instid0(VALU_DEP_2) | instskip(SKIP_3) | instid1(VALU_DEP_2)
	v_fmac_f32_e32 v51, 0x32a5705f, v40
	s_waitcnt_depctr 0xfff
	v_ldexp_f32 v48, v48, v50
	v_cvt_i32_f32_e32 v50, v52
	v_cndmask_b32_e32 v48, 0, v48, vcc_lo
	v_cmp_nlt_f32_e32 vcc_lo, 0x42b17218, v41
	s_delay_alu instid0(VALU_DEP_2)
	v_cndmask_b32_e32 v142, 0x7f800000, v48, vcc_lo
	ds_bpermute_b32 v48, v129, v142
	v_cmp_eq_u32_e32 vcc_lo, 1, v217
	v_sub_f32_e32 v49, v49, v52
	v_mul_f32_e32 v36, v36, v140
	v_sub_f32_e32 v44, v44, v128
	v_mul_f32_e32 v13, v13, v140
	s_delay_alu instid0(VALU_DEP_4) | instskip(NEXT) | instid1(VALU_DEP_1)
	v_add_f32_e32 v49, v49, v51
	v_exp_f32_e32 v49, v49
	s_waitcnt_depctr 0xfff
	v_ldexp_f32 v49, v49, v50
	s_delay_alu instid0(VALU_DEP_1) | instskip(SKIP_1) | instid1(VALU_DEP_1)
	v_cndmask_b32_e64 v41, 0, v49, s1
	v_cmp_nlt_f32_e64 s1, 0x42b17218, v40
	v_cndmask_b32_e64 v141, 0x7f800000, v41, s1
	v_cmp_eq_u32_e64 s1, 0, v217
	ds_bpermute_b32 v40, v129, v141
	s_waitcnt lgkmcnt(0)
	v_cndmask_b32_e64 v41, v141, v40, s1
	v_cndmask_b32_e32 v40, v141, v40, vcc_lo
	s_delay_alu instid0(VALU_DEP_2) | instskip(NEXT) | instid1(VALU_DEP_2)
	v_cndmask_b32_e64 v49, v41, v142, s2
	v_cndmask_b32_e64 v50, v40, v142, s3
	v_cvt_f16_f32_e32 v41, v41
	v_cvt_f16_f32_e32 v40, v40
	s_delay_alu instid0(VALU_DEP_4) | instskip(NEXT) | instid1(VALU_DEP_4)
	v_cndmask_b32_e64 v49, v49, v48, s1
	v_cndmask_b32_e32 v48, v50, v48, vcc_lo
	s_delay_alu instid0(VALU_DEP_3) | instskip(NEXT) | instid1(VALU_DEP_3)
	v_pack_b32_f16 v40, v41, v40
	v_cvt_f16_f32_e32 v50, v49
	s_delay_alu instid0(VALU_DEP_3) | instskip(NEXT) | instid1(VALU_DEP_1)
	v_cvt_f16_f32_e32 v51, v48
	v_pack_b32_f16 v41, v50, v51
	v_mul_f32_e32 v50, 0x3fb8aa3b, v42
	s_delay_alu instid0(VALU_DEP_1) | instskip(SKIP_1) | instid1(VALU_DEP_2)
	v_fma_f32 v51, 0x3fb8aa3b, v42, -v50
	v_rndne_f32_e32 v52, v50
	v_dual_mul_f32 v38, v38, v140 :: v_dual_fmac_f32 v51, 0x32a5705f, v42
	s_delay_alu instid0(VALU_DEP_2) | instskip(NEXT) | instid1(VALU_DEP_1)
	v_sub_f32_e32 v50, v50, v52
	v_dual_mul_f32 v25, v25, v140 :: v_dual_add_f32 v50, v50, v51
	v_cvt_i32_f32_e32 v51, v52
	s_delay_alu instid0(VALU_DEP_2) | instskip(SKIP_2) | instid1(VALU_DEP_1)
	v_exp_f32_e32 v50, v50
	s_waitcnt_depctr 0xfff
	v_ldexp_f32 v50, v50, v51
	v_cndmask_b32_e64 v50, 0, v50, s4
	v_cmp_nlt_f32_e64 s4, 0x42b17218, v42
	s_delay_alu instid0(VALU_DEP_1) | instskip(SKIP_1) | instid1(VALU_DEP_2)
	v_cndmask_b32_e64 v143, 0x7f800000, v50, s4
	v_cmp_ngt_f32_e64 s4, 0xc2ce8ed0, v43
	v_cndmask_b32_e64 v42, v49, v143, s2
	ds_bpermute_b32 v49, v129, v143
	v_cndmask_b32_e64 v48, v48, v143, s3
	s_waitcnt lgkmcnt(0)
	s_delay_alu instid0(VALU_DEP_1) | instskip(SKIP_1) | instid1(VALU_DEP_2)
	v_dual_mul_f32 v27, v27, v140 :: v_dual_cndmask_b32 v48, v48, v49
	v_cndmask_b32_e64 v50, v42, v49, s1
	v_cvt_f16_f32_e32 v49, v48
	s_delay_alu instid0(VALU_DEP_2) | instskip(NEXT) | instid1(VALU_DEP_1)
	v_cvt_f16_f32_e32 v42, v50
	v_pack_b32_f16 v42, v42, v49
	v_mul_f32_e32 v49, 0x3fb8aa3b, v43
	s_delay_alu instid0(VALU_DEP_1) | instskip(SKIP_1) | instid1(VALU_DEP_2)
	v_fma_f32 v51, 0x3fb8aa3b, v43, -v49
	v_rndne_f32_e32 v52, v49
	v_dual_mul_f32 v26, v26, v140 :: v_dual_fmac_f32 v51, 0x32a5705f, v43
	s_delay_alu instid0(VALU_DEP_2) | instskip(NEXT) | instid1(VALU_DEP_1)
	v_sub_f32_e32 v49, v49, v52
	v_dual_mul_f32 v28, v28, v140 :: v_dual_add_f32 v49, v49, v51
	v_cvt_i32_f32_e32 v51, v52
	s_delay_alu instid0(VALU_DEP_2) | instskip(SKIP_2) | instid1(VALU_DEP_1)
	v_exp_f32_e32 v49, v49
	s_waitcnt_depctr 0xfff
	v_ldexp_f32 v49, v49, v51
	v_cndmask_b32_e64 v49, 0, v49, s4
	v_cmp_nlt_f32_e64 s4, 0x42b17218, v43
	s_delay_alu instid0(VALU_DEP_1)
	v_cndmask_b32_e64 v144, 0x7f800000, v49, s4
	v_cmp_ngt_f32_e64 s4, 0xc2ce8ed0, v44
	ds_bpermute_b32 v49, v129, v144
	v_cndmask_b32_e64 v43, v50, v144, s2
	v_cndmask_b32_e64 v48, v48, v144, s3
	s_waitcnt lgkmcnt(0)
	s_delay_alu instid0(VALU_DEP_1) | instskip(NEXT) | instid1(VALU_DEP_3)
	v_dual_mul_f32 v29, v29, v140 :: v_dual_cndmask_b32 v48, v48, v49
	v_cndmask_b32_e64 v50, v43, v49, s1
	s_delay_alu instid0(VALU_DEP_2) | instskip(NEXT) | instid1(VALU_DEP_2)
	v_cvt_f16_f32_e32 v49, v48
	v_cvt_f16_f32_e32 v43, v50
	s_delay_alu instid0(VALU_DEP_1) | instskip(SKIP_1) | instid1(VALU_DEP_1)
	v_pack_b32_f16 v43, v43, v49
	v_mul_f32_e32 v49, 0x3fb8aa3b, v44
	v_fma_f32 v51, 0x3fb8aa3b, v44, -v49
	v_rndne_f32_e32 v52, v49
	s_delay_alu instid0(VALU_DEP_2) | instskip(NEXT) | instid1(VALU_DEP_2)
	v_fmac_f32_e32 v51, 0x32a5705f, v44
	v_sub_f32_e32 v49, v49, v52
	s_delay_alu instid0(VALU_DEP_1) | instskip(SKIP_1) | instid1(VALU_DEP_2)
	v_dual_mul_f32 v30, v30, v140 :: v_dual_add_f32 v49, v49, v51
	v_cvt_i32_f32_e32 v51, v52
	v_exp_f32_e32 v49, v49
	s_waitcnt_depctr 0xfff
	v_ldexp_f32 v49, v49, v51
	s_delay_alu instid0(VALU_DEP_1) | instskip(SKIP_1) | instid1(VALU_DEP_1)
	v_cndmask_b32_e64 v49, 0, v49, s4
	v_cmp_nlt_f32_e64 s4, 0x42b17218, v44
	v_cndmask_b32_e64 v145, 0x7f800000, v49, s4
	v_cmp_ngt_f32_e64 s4, 0xc2ce8ed0, v45
	ds_bpermute_b32 v49, v129, v145
	v_cndmask_b32_e64 v44, v50, v145, s2
	v_cndmask_b32_e64 v48, v48, v145, s3
	s_waitcnt lgkmcnt(0)
	s_delay_alu instid0(VALU_DEP_1) | instskip(NEXT) | instid1(VALU_DEP_3)
	v_dual_mul_f32 v31, v31, v140 :: v_dual_cndmask_b32 v48, v48, v49
	v_cndmask_b32_e64 v50, v44, v49, s1
	s_delay_alu instid0(VALU_DEP_2) | instskip(NEXT) | instid1(VALU_DEP_2)
	v_cvt_f16_f32_e32 v49, v48
	v_cvt_f16_f32_e32 v44, v50
	s_delay_alu instid0(VALU_DEP_1) | instskip(SKIP_1) | instid1(VALU_DEP_1)
	v_pack_b32_f16 v44, v44, v49
	v_mul_f32_e32 v49, 0x3fb8aa3b, v45
	v_fma_f32 v51, 0x3fb8aa3b, v45, -v49
	v_rndne_f32_e32 v52, v49
	s_delay_alu instid0(VALU_DEP_2) | instskip(NEXT) | instid1(VALU_DEP_2)
	v_dual_mul_f32 v18, v18, v140 :: v_dual_fmac_f32 v51, 0x32a5705f, v45
	v_sub_f32_e32 v49, v49, v52
	s_delay_alu instid0(VALU_DEP_1) | instskip(SKIP_1) | instid1(VALU_DEP_2)
	v_dual_mul_f32 v20, v20, v140 :: v_dual_add_f32 v49, v49, v51
	v_cvt_i32_f32_e32 v51, v52
	v_exp_f32_e32 v49, v49
	s_waitcnt_depctr 0xfff
	v_ldexp_f32 v49, v49, v51
	s_delay_alu instid0(VALU_DEP_1) | instskip(SKIP_1) | instid1(VALU_DEP_1)
	v_cndmask_b32_e64 v49, 0, v49, s4
	v_cmp_nlt_f32_e64 s4, 0x42b17218, v45
	v_cndmask_b32_e64 v146, 0x7f800000, v49, s4
	v_cmp_ngt_f32_e64 s4, 0xc2ce8ed0, v46
	ds_bpermute_b32 v49, v129, v146
	v_cndmask_b32_e64 v45, v50, v146, s2
	v_cndmask_b32_e64 v48, v48, v146, s3
	s_waitcnt lgkmcnt(0)
	s_delay_alu instid0(VALU_DEP_1) | instskip(NEXT) | instid1(VALU_DEP_3)
	v_dual_mul_f32 v17, v17, v140 :: v_dual_cndmask_b32 v48, v48, v49
	v_cndmask_b32_e64 v50, v45, v49, s1
	s_delay_alu instid0(VALU_DEP_2) | instskip(NEXT) | instid1(VALU_DEP_2)
	v_cvt_f16_f32_e32 v49, v48
	v_cvt_f16_f32_e32 v45, v50
	s_delay_alu instid0(VALU_DEP_1) | instskip(SKIP_1) | instid1(VALU_DEP_1)
	v_pack_b32_f16 v45, v45, v49
	v_mul_f32_e32 v49, 0x3fb8aa3b, v46
	v_fma_f32 v51, 0x3fb8aa3b, v46, -v49
	v_rndne_f32_e32 v52, v49
	s_delay_alu instid0(VALU_DEP_2) | instskip(NEXT) | instid1(VALU_DEP_2)
	v_dual_mul_f32 v8, v8, v140 :: v_dual_fmac_f32 v51, 0x32a5705f, v46
	;; [unrolled: 29-line block ×3, first 2 shown]
	v_sub_f32_e32 v49, v49, v52
	s_delay_alu instid0(VALU_DEP_1) | instskip(SKIP_1) | instid1(VALU_DEP_2)
	v_dual_mul_f32 v0, v0, v140 :: v_dual_add_f32 v49, v49, v51
	v_cvt_i32_f32_e32 v51, v52
	v_exp_f32_e32 v49, v49
	s_waitcnt_depctr 0xfff
	v_ldexp_f32 v49, v49, v51
	s_delay_alu instid0(VALU_DEP_1) | instskip(SKIP_1) | instid1(VALU_DEP_1)
	v_cndmask_b32_e64 v49, 0, v49, s4
	v_cmp_nlt_f32_e64 s4, 0x42b17218, v47
	v_cndmask_b32_e64 v148, 0x7f800000, v49, s4
	ds_bpermute_b32 v49, v129, v148
	v_cndmask_b32_e64 v47, v50, v148, s2
	v_cndmask_b32_e64 v48, v48, v148, s3
	s_waitcnt lgkmcnt(0)
	s_delay_alu instid0(VALU_DEP_1) | instskip(NEXT) | instid1(VALU_DEP_3)
	v_dual_mul_f32 v21, v21, v140 :: v_dual_cndmask_b32 v48, v48, v49
	v_cndmask_b32_e64 v47, v47, v49, s1
	s_delay_alu instid0(VALU_DEP_2) | instskip(NEXT) | instid1(VALU_DEP_2)
	v_cvt_f16_f32_e32 v48, v48
	v_cvt_f16_f32_e32 v47, v47
	s_delay_alu instid0(VALU_DEP_1)
	v_pack_b32_f16 v47, v47, v48
	ds_load_u16 v49, v225 offset:352
	ds_load_u16 v52, v225 offset:1408
	;; [unrolled: 1-line block ×33, first 2 shown]
	ds_load_u16 v48, v225
	ds_load_u16 v56, v225 offset:32
	ds_load_u16 v104, v225 offset:64
	ds_load_u16 v112, v225 offset:96
	ds_load_u16 v121, v241 offset:352
	ds_load_u16 v124, v241 offset:1408
	ds_load_u16 v123, v241 offset:1056
	ds_load_u16 v122, v241 offset:704
	ds_load_u16 v127, v241 offset:2464
	ds_load_u16 v89, v242 offset:352
	ds_load_u16 v90, v242 offset:704
	ds_load_u16 v91, v242 offset:1056
	ds_load_u16 v92, v242 offset:1408
	ds_load_u16 v126, v241 offset:2112
	ds_load_u16 v125, v241 offset:1760
	s_waitcnt lgkmcnt(41)
	ds_load_u16_d16_hi v57, v225 offset:560
	s_waitcnt lgkmcnt(23)
	ds_load_u16_d16_hi v113, v225 offset:624
	ds_load_u16 v120, v225 offset:128
	ds_load_u16_d16_hi v49, v225 offset:528
	ds_load_u16_d16_hi v59, v225 offset:1264
	;; [unrolled: 1-line block ×4, first 2 shown]
	ds_load_u16 v55, v225 offset:2464
	ds_load_u16_d16_hi v63, v225 offset:2672
	ds_load_u16_d16_hi v58, v225 offset:912
	;; [unrolled: 1-line block ×3, first 2 shown]
	s_waitcnt lgkmcnt(31)
	ds_load_u16_d16_hi v118, v225 offset:2384
	s_waitcnt lgkmcnt(29)
	ds_load_u16_d16_hi v117, v225 offset:2032
	ds_load_u16_d16_hi v54, v225 offset:2288
	;; [unrolled: 1-line block ×3, first 2 shown]
	s_waitcnt lgkmcnt(31)
	ds_load_u16_d16_hi v115, v225 offset:1328
	s_waitcnt lgkmcnt(31)
	ds_load_u16_d16_hi v114, v225 offset:976
	ds_load_u16_d16_hi v50, v225 offset:880
	;; [unrolled: 1-line block ×7, first 2 shown]
	s_waitcnt lgkmcnt(32)
	ds_load_u16_d16_hi v124, v225 offset:1712
	ds_load_u16_d16_hi v53, v225 offset:1936
	;; [unrolled: 1-line block ×3, first 2 shown]
	s_waitcnt lgkmcnt(27)
	ds_load_u16_d16_hi v126, v225 offset:2416
	s_waitcnt lgkmcnt(19)
	ds_load_u16_d16_hi v55, v225 offset:2640
	ds_load_u16_d16_hi v111, v225 offset:2704
	ds_load_u16 v96, v232 offset:2464
	ds_load_u16_d16_hi v105, v225 offset:592
	ds_load_u16_d16_hi v48, v225 offset:176
	;; [unrolled: 1-line block ×5, first 2 shown]
	ds_load_u16 v103, v240 offset:2464
	ds_load_u16_d16_hi v121, v225 offset:656
	ds_load_u16_d16_hi v123, v225 offset:1360
	;; [unrolled: 1-line block ×4, first 2 shown]
	ds_load_u16 v64, v225 offset:2848
	ds_load_u16 v72, v225 offset:2880
	;; [unrolled: 1-line block ×3, first 2 shown]
	ds_load_u16_d16_hi v120, v225 offset:304
	ds_load_u16_d16_hi v119, v225 offset:2736
	;; [unrolled: 1-line block ×3, first 2 shown]
	ds_load_u16 v149, v225 offset:2816
	ds_load_u16_d16_hi v116, v225 offset:1680
	s_waitcnt lgkmcnt(15)
	v_wmma_f32_16x16x16_f16 v[24:31], v[56:63], v[40:47], v[24:31]
	v_wmma_f32_16x16x16_f16 v[32:39], v[48:55], v[40:47], v[32:39]
	s_waitcnt lgkmcnt(14)
	v_wmma_f32_16x16x16_f16 v[16:23], v[104:111], v[40:47], v[16:23]
	s_waitcnt lgkmcnt(2)
	;; [unrolled: 2-line block ×3, first 2 shown]
	v_wmma_f32_16x16x16_f16 v[8:15], v[112:119], v[40:47], v[8:15]
	v_sub_f32_e32 v40, v78, v128
	s_delay_alu instid0(VALU_DEP_1) | instskip(SKIP_1) | instid1(VALU_DEP_2)
	v_mul_f32_e32 v41, 0x3fb8aa3b, v40
	v_cmp_ngt_f32_e64 s4, 0xc2ce8ed0, v40
	v_fma_f32 v42, 0x3fb8aa3b, v40, -v41
	v_rndne_f32_e32 v43, v41
	s_delay_alu instid0(VALU_DEP_1) | instskip(SKIP_1) | instid1(VALU_DEP_2)
	v_dual_fmac_f32 v42, 0x32a5705f, v40 :: v_dual_sub_f32 v41, v41, v43
	v_cvt_i32_f32_e32 v43, v43
	v_dual_add_f32 v41, v41, v42 :: v_dual_sub_f32 v42, v76, v128
	s_delay_alu instid0(VALU_DEP_1) | instskip(NEXT) | instid1(VALU_DEP_1)
	v_exp_f32_e32 v41, v41
	v_mul_f32_e32 v44, 0x3fb8aa3b, v42
	v_cmp_ngt_f32_e64 s5, 0xc2ce8ed0, v42
	s_delay_alu instid0(VALU_DEP_2)
	v_fma_f32 v45, 0x3fb8aa3b, v42, -v44
	v_rndne_f32_e32 v46, v44
	s_waitcnt_depctr 0xfff
	v_ldexp_f32 v41, v41, v43
	v_fmac_f32_e32 v45, 0x32a5705f, v42
	v_sub_f32_e32 v44, v44, v46
	s_delay_alu instid0(VALU_DEP_3) | instskip(SKIP_1) | instid1(VALU_DEP_3)
	v_cndmask_b32_e64 v41, 0, v41, s4
	v_cmp_nlt_f32_e64 s4, 0x42b17218, v40
	v_add_f32_e32 v44, v44, v45
	s_delay_alu instid0(VALU_DEP_2) | instskip(NEXT) | instid1(VALU_DEP_2)
	v_cndmask_b32_e64 v49, 0x7f800000, v41, s4
	v_exp_f32_e32 v43, v44
	v_cvt_i32_f32_e32 v44, v46
	s_waitcnt_depctr 0xfff
	v_ldexp_f32 v43, v43, v44
	s_delay_alu instid0(VALU_DEP_1)
	v_cndmask_b32_e64 v40, 0, v43, s5
	v_cmp_nlt_f32_e64 s5, 0x42b17218, v42
	ds_bpermute_b32 v42, v129, v49
	v_cndmask_b32_e64 v48, 0x7f800000, v40, s5
	ds_bpermute_b32 v40, v129, v48
	s_waitcnt lgkmcnt(0)
	v_cndmask_b32_e64 v41, v48, v40, s1
	v_cndmask_b32_e32 v40, v48, v40, vcc_lo
	s_delay_alu instid0(VALU_DEP_2) | instskip(NEXT) | instid1(VALU_DEP_2)
	v_cndmask_b32_e64 v43, v41, v49, s2
	v_cndmask_b32_e64 v44, v40, v49, s3
	v_cvt_f16_f32_e32 v41, v41
	v_cvt_f16_f32_e32 v40, v40
	s_delay_alu instid0(VALU_DEP_4) | instskip(NEXT) | instid1(VALU_DEP_4)
	v_cndmask_b32_e64 v43, v43, v42, s1
	v_cndmask_b32_e32 v42, v44, v42, vcc_lo
	s_delay_alu instid0(VALU_DEP_3) | instskip(SKIP_1) | instid1(VALU_DEP_4)
	v_pack_b32_f16 v56, v41, v40
	v_sub_f32_e32 v40, v71, v128
	v_cvt_f16_f32_e32 v44, v43
	s_delay_alu instid0(VALU_DEP_4) | instskip(NEXT) | instid1(VALU_DEP_3)
	v_cvt_f16_f32_e32 v45, v42
	v_mul_f32_e32 v41, 0x3fb8aa3b, v40
	v_cmp_ngt_f32_e64 s4, 0xc2ce8ed0, v40
	s_delay_alu instid0(VALU_DEP_3) | instskip(NEXT) | instid1(VALU_DEP_3)
	v_pack_b32_f16 v57, v44, v45
	v_fma_f32 v44, 0x3fb8aa3b, v40, -v41
	v_rndne_f32_e32 v45, v41
	s_delay_alu instid0(VALU_DEP_1) | instskip(NEXT) | instid1(VALU_DEP_1)
	v_dual_fmac_f32 v44, 0x32a5705f, v40 :: v_dual_sub_f32 v41, v41, v45
	v_add_f32_e32 v41, v41, v44
	v_cvt_i32_f32_e32 v44, v45
	s_delay_alu instid0(VALU_DEP_2) | instskip(SKIP_2) | instid1(VALU_DEP_1)
	v_exp_f32_e32 v41, v41
	s_waitcnt_depctr 0xfff
	v_ldexp_f32 v41, v41, v44
	v_cndmask_b32_e64 v41, 0, v41, s4
	v_cmp_nlt_f32_e64 s4, 0x42b17218, v40
	s_delay_alu instid0(VALU_DEP_1) | instskip(NEXT) | instid1(VALU_DEP_1)
	v_cndmask_b32_e64 v50, 0x7f800000, v41, s4
	v_cndmask_b32_e64 v41, v42, v50, s3
	ds_bpermute_b32 v42, v129, v50
	v_cndmask_b32_e64 v40, v43, v50, s2
	s_waitcnt lgkmcnt(0)
	s_delay_alu instid0(VALU_DEP_1) | instskip(SKIP_1) | instid1(VALU_DEP_2)
	v_cndmask_b32_e64 v40, v40, v42, s1
	v_cndmask_b32_e32 v41, v41, v42, vcc_lo
	v_cvt_f16_f32_e32 v42, v40
	s_delay_alu instid0(VALU_DEP_2) | instskip(NEXT) | instid1(VALU_DEP_1)
	v_cvt_f16_f32_e32 v43, v41
	v_pack_b32_f16 v58, v42, v43
	v_sub_f32_e32 v42, v70, v128
	s_delay_alu instid0(VALU_DEP_1) | instskip(SKIP_1) | instid1(VALU_DEP_2)
	v_mul_f32_e32 v43, 0x3fb8aa3b, v42
	v_cmp_ngt_f32_e64 s4, 0xc2ce8ed0, v42
	v_fma_f32 v44, 0x3fb8aa3b, v42, -v43
	v_rndne_f32_e32 v45, v43
	s_delay_alu instid0(VALU_DEP_1) | instskip(NEXT) | instid1(VALU_DEP_1)
	v_dual_fmac_f32 v44, 0x32a5705f, v42 :: v_dual_sub_f32 v43, v43, v45
	v_add_f32_e32 v43, v43, v44
	v_cvt_i32_f32_e32 v44, v45
	s_delay_alu instid0(VALU_DEP_2) | instskip(SKIP_2) | instid1(VALU_DEP_1)
	v_exp_f32_e32 v43, v43
	s_waitcnt_depctr 0xfff
	v_ldexp_f32 v43, v43, v44
	v_cndmask_b32_e64 v43, 0, v43, s4
	v_cmp_nlt_f32_e64 s4, 0x42b17218, v42
	s_delay_alu instid0(VALU_DEP_1) | instskip(SKIP_4) | instid1(VALU_DEP_2)
	v_cndmask_b32_e64 v51, 0x7f800000, v43, s4
	ds_bpermute_b32 v42, v129, v51
	v_cndmask_b32_e64 v40, v40, v51, s2
	v_cndmask_b32_e64 v41, v41, v51, s3
	s_waitcnt lgkmcnt(0)
	v_cndmask_b32_e64 v40, v40, v42, s1
	s_delay_alu instid0(VALU_DEP_2) | instskip(NEXT) | instid1(VALU_DEP_2)
	v_cndmask_b32_e32 v41, v41, v42, vcc_lo
	v_cvt_f16_f32_e32 v42, v40
	s_delay_alu instid0(VALU_DEP_2) | instskip(NEXT) | instid1(VALU_DEP_1)
	v_cvt_f16_f32_e32 v43, v41
	v_pack_b32_f16 v59, v42, v43
	v_sub_f32_e32 v42, v69, v128
	s_delay_alu instid0(VALU_DEP_1) | instskip(SKIP_1) | instid1(VALU_DEP_2)
	v_mul_f32_e32 v43, 0x3fb8aa3b, v42
	v_cmp_ngt_f32_e64 s4, 0xc2ce8ed0, v42
	v_fma_f32 v44, 0x3fb8aa3b, v42, -v43
	v_rndne_f32_e32 v45, v43
	s_delay_alu instid0(VALU_DEP_1) | instskip(NEXT) | instid1(VALU_DEP_1)
	v_dual_fmac_f32 v44, 0x32a5705f, v42 :: v_dual_sub_f32 v43, v43, v45
	v_add_f32_e32 v43, v43, v44
	v_cvt_i32_f32_e32 v44, v45
	s_delay_alu instid0(VALU_DEP_2) | instskip(SKIP_2) | instid1(VALU_DEP_1)
	v_exp_f32_e32 v43, v43
	s_waitcnt_depctr 0xfff
	v_ldexp_f32 v43, v43, v44
	v_cndmask_b32_e64 v43, 0, v43, s4
	v_cmp_nlt_f32_e64 s4, 0x42b17218, v42
	s_delay_alu instid0(VALU_DEP_1) | instskip(SKIP_4) | instid1(VALU_DEP_2)
	v_cndmask_b32_e64 v52, 0x7f800000, v43, s4
	ds_bpermute_b32 v42, v129, v52
	v_cndmask_b32_e64 v40, v40, v52, s2
	v_cndmask_b32_e64 v41, v41, v52, s3
	s_waitcnt lgkmcnt(0)
	v_cndmask_b32_e64 v40, v40, v42, s1
	s_delay_alu instid0(VALU_DEP_2) | instskip(NEXT) | instid1(VALU_DEP_2)
	;; [unrolled: 29-line block ×4, first 2 shown]
	v_cndmask_b32_e32 v41, v41, v42, vcc_lo
	v_cvt_f16_f32_e32 v42, v40
	s_delay_alu instid0(VALU_DEP_2) | instskip(NEXT) | instid1(VALU_DEP_1)
	v_cvt_f16_f32_e32 v43, v41
	v_pack_b32_f16 v62, v42, v43
	v_sub_f32_e32 v42, v66, v128
	ds_load_u16 v155, v200 offset:2112
	ds_load_u16 v154, v200 offset:1760
	ds_load_u16 v156, v200 offset:2464
	ds_load_u16 v76, v234 offset:1408
	ds_load_u16 v150, v200 offset:352
	ds_load_u16 v151, v200 offset:704
	ds_load_u16 v152, v200 offset:1056
	ds_load_u16 v153, v200 offset:1408
	ds_load_u16 v93, v242 offset:1760
	ds_load_u16 v68, v230 offset:1408
	ds_load_u16 v66, v230 offset:704
	ds_load_u16 v105, v214 offset:352
	ds_load_u16 v106, v214 offset:704
	ds_load_u16 v107, v214 offset:1056
	ds_load_u16 v110, v214 offset:2112
	ds_load_u16 v108, v214 offset:1408
	s_waitcnt lgkmcnt(15)
	ds_load_u16_d16_hi v155, v225 offset:5104
	s_waitcnt lgkmcnt(15)
	ds_load_u16_d16_hi v154, v225 offset:4752
	;; [unrolled: 2-line block ×3, first 2 shown]
	ds_load_u16 v69, v230 offset:1760
	ds_load_u16 v70, v230 offset:2112
	;; [unrolled: 1-line block ×6, first 2 shown]
	ds_load_u16_d16_hi v149, v225 offset:2992
	ds_load_u16_d16_hi v64, v225 offset:3024
	;; [unrolled: 1-line block ×3, first 2 shown]
	s_waitcnt lgkmcnt(20)
	ds_load_u16_d16_hi v153, v225 offset:4400
	s_waitcnt lgkmcnt(19)
	ds_load_u16_d16_hi v68, v225 offset:4432
	ds_load_u16_d16_hi v76, v225 offset:4464
	s_waitcnt lgkmcnt(20)
	ds_load_u16_d16_hi v66, v225 offset:3728
	ds_load_u16_d16_hi v74, v225 offset:3760
	ds_load_u16 v82, v238 offset:704
	ds_load_u16 v83, v238 offset:1056
	;; [unrolled: 1-line block ×6, first 2 shown]
	ds_load_u16_d16_hi v73, v225 offset:3408
	ds_load_u16_d16_hi v89, v225 offset:3472
	ds_load_u16 v47, v244 offset:2464
	ds_load_u16 v46, v244 offset:2112
	v_mul_f32_e32 v43, 0x3fb8aa3b, v42
	v_cmp_ngt_f32_e64 s4, 0xc2ce8ed0, v42
	s_waitcnt lgkmcnt(1)
	ds_load_u16_d16_hi v47, v225 offset:11216
	ds_load_u16_d16_hi v150, v225 offset:3344
	;; [unrolled: 1-line block ×3, first 2 shown]
	ds_load_u16 v121, v239 offset:352
	ds_load_u16_d16_hi v82, v225 offset:3792
	ds_load_u16_d16_hi v90, v225 offset:3824
	;; [unrolled: 1-line block ×4, first 2 shown]
	ds_load_u16 v157, v243 offset:352
	ds_load_u16 v158, v243 offset:704
	;; [unrolled: 1-line block ×6, first 2 shown]
	ds_load_u16_d16_hi v152, v225 offset:4048
	ds_load_u16_d16_hi v67, v225 offset:4080
	;; [unrolled: 1-line block ×7, first 2 shown]
	ds_load_u16 v165, v235 offset:352
	ds_load_u16 v168, v235 offset:1408
	;; [unrolled: 1-line block ×5, first 2 shown]
	ds_load_u16_d16_hi v71, v225 offset:5488
	ds_load_u16_d16_hi v79, v225 offset:5520
	;; [unrolled: 1-line block ×3, first 2 shown]
	ds_load_u16 v88, v225 offset:2944
	ds_load_u16_d16_hi v91, v225 offset:4176
	ds_load_u16_d16_hi v93, v225 offset:4880
	;; [unrolled: 1-line block ×3, first 2 shown]
	v_fma_f32 v44, 0x3fb8aa3b, v42, -v43
	v_rndne_f32_e32 v45, v43
	s_waitcnt lgkmcnt(19)
	ds_load_u16_d16_hi v94, v225 offset:5232
	ds_load_u16 v78, v234 offset:2112
	ds_load_u16_d16_hi v65, v225 offset:3376
	ds_load_u16_d16_hi v70, v225 offset:5136
	s_waitcnt lgkmcnt(2)
	ds_load_u16_d16_hi v78, v225 offset:5168
	ds_load_u16_d16_hi v86, v225 offset:5200
	;; [unrolled: 1-line block ×3, first 2 shown]
	v_dual_fmac_f32 v44, 0x32a5705f, v42 :: v_dual_sub_f32 v43, v43, v45
	ds_load_u16_d16_hi v84, v225 offset:4496
	ds_load_u16 v95, v242 offset:2464
	v_add_f32_e32 v43, v43, v44
	v_cvt_i32_f32_e32 v44, v45
	s_delay_alu instid0(VALU_DEP_2) | instskip(SKIP_2) | instid1(VALU_DEP_1)
	v_exp_f32_e32 v43, v43
	s_waitcnt_depctr 0xfff
	v_ldexp_f32 v43, v43, v44
	v_cndmask_b32_e64 v43, 0, v43, s4
	v_cmp_nlt_f32_e64 s4, 0x42b17218, v42
	s_delay_alu instid0(VALU_DEP_1) | instskip(SKIP_4) | instid1(VALU_DEP_2)
	v_cndmask_b32_e64 v55, 0x7f800000, v43, s4
	ds_bpermute_b32 v42, v129, v55
	v_cndmask_b32_e64 v40, v40, v55, s2
	v_cndmask_b32_e64 v41, v41, v55, s3
	s_waitcnt lgkmcnt(0)
	v_cndmask_b32_e64 v40, v40, v42, s1
	s_delay_alu instid0(VALU_DEP_2) | instskip(NEXT) | instid1(VALU_DEP_2)
	v_cndmask_b32_e32 v41, v41, v42, vcc_lo
	v_cvt_f16_f32_e32 v40, v40
	s_delay_alu instid0(VALU_DEP_2) | instskip(NEXT) | instid1(VALU_DEP_1)
	v_cvt_f16_f32_e32 v41, v41
	v_pack_b32_f16 v63, v40, v41
	v_sub_f32_e32 v40, v139, v128
	s_delay_alu instid0(VALU_DEP_2) | instskip(NEXT) | instid1(VALU_DEP_2)
	v_wmma_f32_16x16x16_f16 v[32:39], v[149:156], v[56:63], v[32:39]
	v_mul_f32_e32 v41, 0x3fb8aa3b, v40
	ds_load_u16_d16_hi v95, v225 offset:5584
	ds_load_u16_d16_hi v165, v225 offset:6224
	ds_load_u16 v104, v225 offset:5632
	ds_load_u16 v112, v225 offset:5664
	;; [unrolled: 1-line block ×5, first 2 shown]
	v_wmma_f32_16x16x16_f16 v[24:31], v[64:71], v[56:63], v[24:31]
	v_wmma_f32_16x16x16_f16 v[16:23], v[72:79], v[56:63], v[16:23]
	;; [unrolled: 1-line block ×3, first 2 shown]
	v_fma_f32 v42, 0x3fb8aa3b, v40, -v41
	v_rndne_f32_e32 v43, v41
	v_cmp_ngt_f32_e64 s4, 0xc2ce8ed0, v40
	ds_load_u16 v111, v214 offset:2464
	ds_load_u16 v109, v214 offset:1760
	;; [unrolled: 1-line block ×4, first 2 shown]
	ds_load_u16_d16_hi v105, v225 offset:6160
	ds_load_u16 v160, v243 offset:1408
	ds_load_u16 v114, v231 offset:704
	;; [unrolled: 1-line block ×6, first 2 shown]
	v_dual_fmac_f32 v42, 0x32a5705f, v40 :: v_dual_sub_f32 v41, v41, v43
	v_cvt_i32_f32_e32 v43, v43
	s_waitcnt lgkmcnt(17)
	v_wmma_f32_16x16x16_f16 v[0:7], v[88:95], v[56:63], v[0:7]
	s_delay_alu instid0(VALU_DEP_3) | instskip(NEXT) | instid1(VALU_DEP_1)
	v_dual_add_f32 v41, v41, v42 :: v_dual_sub_f32 v42, v138, v128
	v_exp_f32_e32 v41, v41
	s_delay_alu instid0(VALU_DEP_1) | instskip(SKIP_1) | instid1(VALU_DEP_2)
	v_mul_f32_e32 v44, 0x3fb8aa3b, v42
	v_cmp_ngt_f32_e64 s5, 0xc2ce8ed0, v42
	v_fma_f32 v45, 0x3fb8aa3b, v42, -v44
	v_rndne_f32_e32 v56, v44
	s_waitcnt_depctr 0xfff
	v_ldexp_f32 v41, v41, v43
	v_dual_fmac_f32 v45, 0x32a5705f, v42 :: v_dual_sub_f32 v44, v44, v56
	s_delay_alu instid0(VALU_DEP_2) | instskip(SKIP_1) | instid1(VALU_DEP_3)
	v_cndmask_b32_e64 v41, 0, v41, s4
	v_cmp_nlt_f32_e64 s4, 0x42b17218, v40
	v_add_f32_e32 v44, v44, v45
	s_delay_alu instid0(VALU_DEP_2) | instskip(NEXT) | instid1(VALU_DEP_2)
	v_cndmask_b32_e64 v80, 0x7f800000, v41, s4
	v_exp_f32_e32 v43, v44
	v_cvt_i32_f32_e32 v44, v56
	s_waitcnt_depctr 0xfff
	v_ldexp_f32 v43, v43, v44
	s_delay_alu instid0(VALU_DEP_1)
	v_cndmask_b32_e64 v40, 0, v43, s5
	v_cmp_nlt_f32_e64 s5, 0x42b17218, v42
	ds_bpermute_b32 v42, v129, v80
	v_cndmask_b32_e64 v79, 0x7f800000, v40, s5
	ds_bpermute_b32 v40, v129, v79
	s_waitcnt lgkmcnt(0)
	v_cndmask_b32_e64 v41, v79, v40, s1
	v_cndmask_b32_e32 v40, v79, v40, vcc_lo
	s_delay_alu instid0(VALU_DEP_2) | instskip(NEXT) | instid1(VALU_DEP_2)
	v_cndmask_b32_e64 v43, v41, v80, s2
	v_cndmask_b32_e64 v44, v40, v80, s3
	v_cvt_f16_f32_e32 v41, v41
	v_cvt_f16_f32_e32 v40, v40
	s_delay_alu instid0(VALU_DEP_4) | instskip(NEXT) | instid1(VALU_DEP_4)
	v_cndmask_b32_e64 v43, v43, v42, s1
	v_cndmask_b32_e32 v42, v44, v42, vcc_lo
	s_delay_alu instid0(VALU_DEP_3) | instskip(SKIP_1) | instid1(VALU_DEP_4)
	v_pack_b32_f16 v56, v41, v40
	v_sub_f32_e32 v40, v137, v128
	v_cvt_f16_f32_e32 v44, v43
	s_delay_alu instid0(VALU_DEP_4) | instskip(NEXT) | instid1(VALU_DEP_3)
	v_cvt_f16_f32_e32 v45, v42
	v_mul_f32_e32 v41, 0x3fb8aa3b, v40
	v_cmp_ngt_f32_e64 s4, 0xc2ce8ed0, v40
	s_delay_alu instid0(VALU_DEP_3) | instskip(NEXT) | instid1(VALU_DEP_3)
	v_pack_b32_f16 v57, v44, v45
	v_fma_f32 v44, 0x3fb8aa3b, v40, -v41
	v_rndne_f32_e32 v45, v41
	s_delay_alu instid0(VALU_DEP_1) | instskip(NEXT) | instid1(VALU_DEP_1)
	v_dual_fmac_f32 v44, 0x32a5705f, v40 :: v_dual_sub_f32 v41, v41, v45
	v_add_f32_e32 v41, v41, v44
	v_cvt_i32_f32_e32 v44, v45
	s_delay_alu instid0(VALU_DEP_2) | instskip(SKIP_2) | instid1(VALU_DEP_1)
	v_exp_f32_e32 v41, v41
	s_waitcnt_depctr 0xfff
	v_ldexp_f32 v41, v41, v44
	v_cndmask_b32_e64 v41, 0, v41, s4
	v_cmp_nlt_f32_e64 s4, 0x42b17218, v40
	s_delay_alu instid0(VALU_DEP_1) | instskip(NEXT) | instid1(VALU_DEP_1)
	v_cndmask_b32_e64 v81, 0x7f800000, v41, s4
	v_cndmask_b32_e64 v41, v42, v81, s3
	ds_bpermute_b32 v42, v129, v81
	v_cndmask_b32_e64 v40, v43, v81, s2
	s_waitcnt lgkmcnt(0)
	s_delay_alu instid0(VALU_DEP_1) | instskip(SKIP_1) | instid1(VALU_DEP_2)
	v_cndmask_b32_e64 v40, v40, v42, s1
	v_cndmask_b32_e32 v41, v41, v42, vcc_lo
	v_cvt_f16_f32_e32 v42, v40
	s_delay_alu instid0(VALU_DEP_2) | instskip(NEXT) | instid1(VALU_DEP_1)
	v_cvt_f16_f32_e32 v43, v41
	v_pack_b32_f16 v58, v42, v43
	v_sub_f32_e32 v42, v136, v128
	s_delay_alu instid0(VALU_DEP_1) | instskip(SKIP_1) | instid1(VALU_DEP_2)
	v_mul_f32_e32 v43, 0x3fb8aa3b, v42
	v_cmp_ngt_f32_e64 s4, 0xc2ce8ed0, v42
	v_fma_f32 v44, 0x3fb8aa3b, v42, -v43
	v_rndne_f32_e32 v45, v43
	s_delay_alu instid0(VALU_DEP_1) | instskip(NEXT) | instid1(VALU_DEP_1)
	v_dual_fmac_f32 v44, 0x32a5705f, v42 :: v_dual_sub_f32 v43, v43, v45
	v_add_f32_e32 v43, v43, v44
	v_cvt_i32_f32_e32 v44, v45
	s_delay_alu instid0(VALU_DEP_2) | instskip(SKIP_2) | instid1(VALU_DEP_1)
	v_exp_f32_e32 v43, v43
	s_waitcnt_depctr 0xfff
	v_ldexp_f32 v43, v43, v44
	v_cndmask_b32_e64 v43, 0, v43, s4
	v_cmp_nlt_f32_e64 s4, 0x42b17218, v42
	s_delay_alu instid0(VALU_DEP_1) | instskip(SKIP_4) | instid1(VALU_DEP_2)
	v_cndmask_b32_e64 v82, 0x7f800000, v43, s4
	ds_bpermute_b32 v42, v129, v82
	v_cndmask_b32_e64 v40, v40, v82, s2
	v_cndmask_b32_e64 v41, v41, v82, s3
	s_waitcnt lgkmcnt(0)
	v_cndmask_b32_e64 v40, v40, v42, s1
	s_delay_alu instid0(VALU_DEP_2) | instskip(NEXT) | instid1(VALU_DEP_2)
	v_cndmask_b32_e32 v41, v41, v42, vcc_lo
	v_cvt_f16_f32_e32 v42, v40
	s_delay_alu instid0(VALU_DEP_2) | instskip(NEXT) | instid1(VALU_DEP_1)
	v_cvt_f16_f32_e32 v43, v41
	v_pack_b32_f16 v59, v42, v43
	v_sub_f32_e32 v42, v135, v128
	s_delay_alu instid0(VALU_DEP_1) | instskip(SKIP_1) | instid1(VALU_DEP_2)
	v_mul_f32_e32 v43, 0x3fb8aa3b, v42
	v_cmp_ngt_f32_e64 s4, 0xc2ce8ed0, v42
	v_fma_f32 v44, 0x3fb8aa3b, v42, -v43
	v_rndne_f32_e32 v45, v43
	s_delay_alu instid0(VALU_DEP_1) | instskip(NEXT) | instid1(VALU_DEP_1)
	v_dual_fmac_f32 v44, 0x32a5705f, v42 :: v_dual_sub_f32 v43, v43, v45
	v_add_f32_e32 v43, v43, v44
	v_cvt_i32_f32_e32 v44, v45
	s_delay_alu instid0(VALU_DEP_2) | instskip(SKIP_2) | instid1(VALU_DEP_1)
	v_exp_f32_e32 v43, v43
	s_waitcnt_depctr 0xfff
	v_ldexp_f32 v43, v43, v44
	v_cndmask_b32_e64 v43, 0, v43, s4
	v_cmp_nlt_f32_e64 s4, 0x42b17218, v42
	s_delay_alu instid0(VALU_DEP_1) | instskip(SKIP_4) | instid1(VALU_DEP_2)
	v_cndmask_b32_e64 v83, 0x7f800000, v43, s4
	ds_bpermute_b32 v42, v129, v83
	v_cndmask_b32_e64 v40, v40, v83, s2
	v_cndmask_b32_e64 v41, v41, v83, s3
	s_waitcnt lgkmcnt(0)
	v_cndmask_b32_e64 v40, v40, v42, s1
	s_delay_alu instid0(VALU_DEP_2) | instskip(NEXT) | instid1(VALU_DEP_2)
	;; [unrolled: 29-line block ×4, first 2 shown]
	v_cndmask_b32_e32 v41, v41, v42, vcc_lo
	v_cvt_f16_f32_e32 v42, v40
	s_delay_alu instid0(VALU_DEP_2) | instskip(NEXT) | instid1(VALU_DEP_1)
	v_cvt_f16_f32_e32 v43, v41
	v_pack_b32_f16 v62, v42, v43
	v_sub_f32_e32 v42, v97, v128
	ds_load_u16_d16_hi v111, v225 offset:8272
	ds_load_u16 v116, v231 offset:1408
	ds_load_u16 v117, v231 offset:1760
	;; [unrolled: 1-line block ×10, first 2 shown]
	ds_load_u16_d16_hi v115, v225 offset:6896
	ds_load_u16_d16_hi v167, v225 offset:6928
	;; [unrolled: 1-line block ×10, first 2 shown]
	ds_load_u16 v127, v239 offset:2464
	ds_load_u16 v97, v240 offset:352
	;; [unrolled: 1-line block ×4, first 2 shown]
	v_mul_f32_e32 v43, 0x3fb8aa3b, v42
	v_cmp_ngt_f32_e64 s4, 0xc2ce8ed0, v42
	s_delay_alu instid0(VALU_DEP_2) | instskip(SKIP_1) | instid1(VALU_DEP_1)
	v_fma_f32 v44, 0x3fb8aa3b, v42, -v43
	v_rndne_f32_e32 v45, v43
	v_dual_fmac_f32 v44, 0x32a5705f, v42 :: v_dual_sub_f32 v43, v43, v45
	s_delay_alu instid0(VALU_DEP_1) | instskip(SKIP_1) | instid1(VALU_DEP_2)
	v_add_f32_e32 v43, v43, v44
	v_cvt_i32_f32_e32 v44, v45
	v_exp_f32_e32 v43, v43
	s_waitcnt_depctr 0xfff
	v_ldexp_f32 v43, v43, v44
	s_delay_alu instid0(VALU_DEP_1) | instskip(SKIP_1) | instid1(VALU_DEP_1)
	v_cndmask_b32_e64 v43, 0, v43, s4
	v_cmp_nlt_f32_e64 s4, 0x42b17218, v42
	v_cndmask_b32_e64 v86, 0x7f800000, v43, s4
	ds_bpermute_b32 v42, v129, v86
	v_cndmask_b32_e64 v40, v40, v86, s2
	v_cndmask_b32_e64 v41, v41, v86, s3
	s_waitcnt lgkmcnt(0)
	s_delay_alu instid0(VALU_DEP_2) | instskip(NEXT) | instid1(VALU_DEP_2)
	v_cndmask_b32_e64 v40, v40, v42, s1
	v_cndmask_b32_e32 v41, v41, v42, vcc_lo
	s_delay_alu instid0(VALU_DEP_2) | instskip(NEXT) | instid1(VALU_DEP_2)
	v_cvt_f16_f32_e32 v40, v40
	v_cvt_f16_f32_e32 v41, v41
	s_delay_alu instid0(VALU_DEP_1)
	v_pack_b32_f16 v63, v40, v41
	ds_load_u16_d16_hi v116, v225 offset:7248
	ds_load_u16_d16_hi v168, v225 offset:7280
	;; [unrolled: 1-line block ×7, first 2 shown]
	ds_load_u16 v163, v243 offset:2464
	ds_load_u16_d16_hi v121, v225 offset:6256
	ds_load_u16_d16_hi v157, v225 offset:6288
	;; [unrolled: 1-line block ×10, first 2 shown]
	ds_load_u16 v72, v236 offset:352
	ds_load_u16 v73, v236 offset:704
	;; [unrolled: 1-line block ×10, first 2 shown]
	ds_load_u16_d16_hi v119, v225 offset:8304
	ds_load_u16_d16_hi v171, v225 offset:8336
	ds_load_u16_d16_hi v127, v225 offset:8368
	s_waitcnt lgkmcnt(23)
	ds_load_u16_d16_hi v163, v225 offset:8400
	ds_load_u16 v64, v225 offset:8448
	ds_load_u16 v89, v225 offset:8480
	ds_load_u16_d16_hi v162, v225 offset:8048
	ds_load_u16_d16_hi v113, v225 offset:6192
	;; [unrolled: 1-line block ×5, first 2 shown]
	ds_load_u16 v123, v239 offset:1056
	v_sub_f32_e32 v40, v134, v128
	s_waitcnt lgkmcnt(24)
	v_wmma_f32_16x16x16_f16 v[32:39], v[104:111], v[56:63], v[32:39]
	s_delay_alu instid0(VALU_DEP_2)
	v_mul_f32_e32 v43, 0x3fb8aa3b, v40
	v_cmp_ngt_f32_e64 s4, 0xc2ce8ed0, v40
	s_waitcnt lgkmcnt(3)
	v_wmma_f32_16x16x16_f16 v[24:31], v[112:119], v[56:63], v[24:31]
	s_waitcnt lgkmcnt(2)
	v_wmma_f32_16x16x16_f16 v[16:23], v[164:171], v[56:63], v[16:23]
	v_wmma_f32_16x16x16_f16 v[0:7], v[156:163], v[56:63], v[0:7]
	s_waitcnt lgkmcnt(0)
	ds_load_u16_d16_hi v123, v225 offset:6960
	s_waitcnt lgkmcnt(0)
	v_wmma_f32_16x16x16_f16 v[8:15], v[120:127], v[56:63], v[8:15]
	v_fma_f32 v56, 0x3fb8aa3b, v40, -v43
	v_rndne_f32_e32 v57, v43
	s_delay_alu instid0(VALU_DEP_1) | instskip(SKIP_1) | instid1(VALU_DEP_2)
	v_dual_fmac_f32 v56, 0x32a5705f, v40 :: v_dual_sub_f32 v43, v43, v57
	v_cvt_i32_f32_e32 v57, v57
	v_add_f32_e32 v43, v43, v56
	v_sub_f32_e32 v56, v133, v128
	s_delay_alu instid0(VALU_DEP_2) | instskip(NEXT) | instid1(VALU_DEP_1)
	v_exp_f32_e32 v43, v43
	v_mul_f32_e32 v58, 0x3fb8aa3b, v56
	v_cmp_ngt_f32_e64 s5, 0xc2ce8ed0, v56
	s_delay_alu instid0(VALU_DEP_2)
	v_fma_f32 v59, 0x3fb8aa3b, v56, -v58
	v_rndne_f32_e32 v60, v58
	s_waitcnt_depctr 0xfff
	v_ldexp_f32 v43, v43, v57
	v_fmac_f32_e32 v59, 0x32a5705f, v56
	v_sub_f32_e32 v58, v58, v60
	s_delay_alu instid0(VALU_DEP_3) | instskip(SKIP_1) | instid1(VALU_DEP_3)
	v_cndmask_b32_e64 v43, 0, v43, s4
	v_cmp_nlt_f32_e64 s4, 0x42b17218, v40
	v_add_f32_e32 v58, v58, v59
	s_delay_alu instid0(VALU_DEP_2) | instskip(NEXT) | instid1(VALU_DEP_2)
	v_cndmask_b32_e64 v88, 0x7f800000, v43, s4
	v_exp_f32_e32 v57, v58
	v_cvt_i32_f32_e32 v58, v60
	s_waitcnt_depctr 0xfff
	v_ldexp_f32 v57, v57, v58
	s_delay_alu instid0(VALU_DEP_1)
	v_cndmask_b32_e64 v40, 0, v57, s5
	v_cmp_nlt_f32_e64 s5, 0x42b17218, v56
	ds_bpermute_b32 v56, v129, v88
	v_cndmask_b32_e64 v87, 0x7f800000, v40, s5
	ds_bpermute_b32 v40, v129, v87
	s_waitcnt lgkmcnt(0)
	v_cndmask_b32_e64 v43, v87, v40, s1
	v_cndmask_b32_e32 v40, v87, v40, vcc_lo
	s_delay_alu instid0(VALU_DEP_2) | instskip(SKIP_1) | instid1(VALU_DEP_2)
	v_cndmask_b32_e64 v57, v43, v88, s2
	v_cvt_f16_f32_e32 v43, v43
	v_cndmask_b32_e64 v58, v57, v56, s1
	s_delay_alu instid0(VALU_DEP_4) | instskip(SKIP_1) | instid1(VALU_DEP_2)
	v_cndmask_b32_e64 v57, v40, v88, s3
	v_cvt_f16_f32_e32 v40, v40
	v_cndmask_b32_e32 v59, v57, v56, vcc_lo
	s_delay_alu instid0(VALU_DEP_2) | instskip(SKIP_2) | instid1(VALU_DEP_4)
	v_pack_b32_f16 v56, v43, v40
	v_sub_f32_e32 v40, v132, v128
	v_cvt_f16_f32_e32 v57, v58
	v_cvt_f16_f32_e32 v60, v59
	s_delay_alu instid0(VALU_DEP_3) | instskip(SKIP_1) | instid1(VALU_DEP_3)
	v_mul_f32_e32 v43, 0x3fb8aa3b, v40
	v_cmp_ngt_f32_e64 s4, 0xc2ce8ed0, v40
	v_pack_b32_f16 v57, v57, v60
	s_delay_alu instid0(VALU_DEP_3) | instskip(SKIP_1) | instid1(VALU_DEP_1)
	v_fma_f32 v60, 0x3fb8aa3b, v40, -v43
	v_rndne_f32_e32 v61, v43
	v_dual_fmac_f32 v60, 0x32a5705f, v40 :: v_dual_sub_f32 v43, v43, v61
	s_delay_alu instid0(VALU_DEP_1) | instskip(SKIP_1) | instid1(VALU_DEP_2)
	v_add_f32_e32 v43, v43, v60
	v_cvt_i32_f32_e32 v60, v61
	v_exp_f32_e32 v43, v43
	s_waitcnt_depctr 0xfff
	v_ldexp_f32 v43, v43, v60
	s_delay_alu instid0(VALU_DEP_1) | instskip(SKIP_1) | instid1(VALU_DEP_1)
	v_cndmask_b32_e64 v43, 0, v43, s4
	v_cmp_nlt_f32_e64 s4, 0x42b17218, v40
	v_cndmask_b32_e64 v104, 0x7f800000, v43, s4
	s_delay_alu instid0(VALU_DEP_1) | instskip(SKIP_4) | instid1(VALU_DEP_2)
	v_cndmask_b32_e64 v40, v58, v104, s2
	ds_bpermute_b32 v58, v129, v104
	v_cndmask_b32_e64 v43, v59, v104, s3
	s_waitcnt lgkmcnt(0)
	v_cndmask_b32_e64 v40, v40, v58, s1
	v_cndmask_b32_e32 v43, v43, v58, vcc_lo
	s_delay_alu instid0(VALU_DEP_2) | instskip(NEXT) | instid1(VALU_DEP_2)
	v_cvt_f16_f32_e32 v58, v40
	v_cvt_f16_f32_e32 v59, v43
	s_delay_alu instid0(VALU_DEP_1) | instskip(SKIP_1) | instid1(VALU_DEP_1)
	v_pack_b32_f16 v58, v58, v59
	v_sub_f32_e32 v59, v131, v128
	v_mul_f32_e32 v60, 0x3fb8aa3b, v59
	v_cmp_ngt_f32_e64 s4, 0xc2ce8ed0, v59
	s_delay_alu instid0(VALU_DEP_2) | instskip(SKIP_1) | instid1(VALU_DEP_1)
	v_fma_f32 v61, 0x3fb8aa3b, v59, -v60
	v_rndne_f32_e32 v62, v60
	v_dual_fmac_f32 v61, 0x32a5705f, v59 :: v_dual_sub_f32 v60, v60, v62
	s_delay_alu instid0(VALU_DEP_1) | instskip(SKIP_1) | instid1(VALU_DEP_2)
	v_add_f32_e32 v60, v60, v61
	v_cvt_i32_f32_e32 v61, v62
	v_exp_f32_e32 v60, v60
	s_waitcnt_depctr 0xfff
	v_ldexp_f32 v60, v60, v61
	s_delay_alu instid0(VALU_DEP_1) | instskip(SKIP_1) | instid1(VALU_DEP_1)
	v_cndmask_b32_e64 v60, 0, v60, s4
	v_cmp_nlt_f32_e64 s4, 0x42b17218, v59
	v_cndmask_b32_e64 v105, 0x7f800000, v60, s4
	ds_bpermute_b32 v59, v129, v105
	v_cndmask_b32_e64 v40, v40, v105, s2
	v_cndmask_b32_e64 v43, v43, v105, s3
	s_waitcnt lgkmcnt(0)
	s_delay_alu instid0(VALU_DEP_2) | instskip(NEXT) | instid1(VALU_DEP_2)
	v_cndmask_b32_e64 v40, v40, v59, s1
	v_cndmask_b32_e32 v43, v43, v59, vcc_lo
	s_delay_alu instid0(VALU_DEP_2) | instskip(NEXT) | instid1(VALU_DEP_2)
	v_cvt_f16_f32_e32 v59, v40
	v_cvt_f16_f32_e32 v60, v43
	s_delay_alu instid0(VALU_DEP_1) | instskip(SKIP_1) | instid1(VALU_DEP_1)
	v_pack_b32_f16 v59, v59, v60
	v_sub_f32_e32 v60, v130, v128
	v_mul_f32_e32 v61, 0x3fb8aa3b, v60
	v_cmp_ngt_f32_e64 s4, 0xc2ce8ed0, v60
	s_delay_alu instid0(VALU_DEP_2) | instskip(SKIP_1) | instid1(VALU_DEP_1)
	v_fma_f32 v62, 0x3fb8aa3b, v60, -v61
	v_rndne_f32_e32 v63, v61
	v_dual_fmac_f32 v62, 0x32a5705f, v60 :: v_dual_sub_f32 v61, v61, v63
	s_delay_alu instid0(VALU_DEP_1) | instskip(SKIP_1) | instid1(VALU_DEP_2)
	v_add_f32_e32 v61, v61, v62
	v_cvt_i32_f32_e32 v62, v63
	v_exp_f32_e32 v61, v61
	s_waitcnt_depctr 0xfff
	v_ldexp_f32 v61, v61, v62
	s_delay_alu instid0(VALU_DEP_1) | instskip(SKIP_1) | instid1(VALU_DEP_1)
	v_cndmask_b32_e64 v61, 0, v61, s4
	v_cmp_nlt_f32_e64 s4, 0x42b17218, v60
	v_cndmask_b32_e64 v106, 0x7f800000, v61, s4
	ds_bpermute_b32 v60, v129, v106
	v_cndmask_b32_e64 v40, v40, v106, s2
	v_cndmask_b32_e64 v43, v43, v106, s3
	s_waitcnt lgkmcnt(0)
	s_delay_alu instid0(VALU_DEP_2) | instskip(NEXT) | instid1(VALU_DEP_2)
	;; [unrolled: 29-line block ×5, first 2 shown]
	v_cndmask_b32_e64 v40, v40, v63, s1
	v_cndmask_b32_e32 v43, v43, v63, vcc_lo
	s_delay_alu instid0(VALU_DEP_2) | instskip(NEXT) | instid1(VALU_DEP_2)
	v_cvt_f16_f32_e32 v40, v40
	v_cvt_f16_f32_e32 v43, v43
	s_delay_alu instid0(VALU_DEP_1)
	v_pack_b32_f16 v63, v40, v43
	ds_load_u16 v69, v228 offset:1760
	ds_load_u16 v70, v228 offset:2112
	ds_load_u16 v68, v228 offset:1408
	ds_load_u16 v71, v228 offset:2464
	ds_load_u16 v91, v232 offset:704
	ds_load_u16 v43, v244 offset:1056
	ds_load_u16_d16_hi v64, v225 offset:8624
	ds_load_u16_d16_hi v66, v225 offset:9328
	ds_load_u16 v94, v232 offset:1760
	s_waitcnt lgkmcnt(8)
	ds_load_u16_d16_hi v69, v225 offset:10384
	ds_load_u16 v101, v240 offset:1760
	ds_load_u16 v95, v232 offset:2112
	s_waitcnt lgkmcnt(10)
	ds_load_u16_d16_hi v70, v225 offset:10736
	ds_load_u16 v102, v240 offset:2112
	s_waitcnt lgkmcnt(11)
	ds_load_u16_d16_hi v68, v225 offset:10032
	ds_load_u16_d16_hi v67, v225 offset:9680
	;; [unrolled: 1-line block ×6, first 2 shown]
	s_waitcnt lgkmcnt(16)
	ds_load_u16_d16_hi v71, v225 offset:11088
	ds_load_u16_d16_hi v96, v225 offset:11120
	s_waitcnt lgkmcnt(17)
	ds_load_u16_d16_hi v91, v225 offset:9360
	ds_load_u16_d16_hi v73, v225 offset:9392
	;; [unrolled: 1-line block ×6, first 2 shown]
	s_waitcnt lgkmcnt(19)
	ds_load_u16_d16_hi v94, v225 offset:10416
	ds_load_u16_d16_hi v76, v225 offset:10448
	s_waitcnt lgkmcnt(19)
	ds_load_u16_d16_hi v101, v225 offset:10480
	s_waitcnt lgkmcnt(19)
	ds_load_u16_d16_hi v95, v225 offset:10768
	ds_load_u16_d16_hi v77, v225 offset:10800
	s_waitcnt lgkmcnt(19)
	ds_load_u16_d16_hi v102, v225 offset:10832
	ds_load_u16 v40, v225 offset:8576
	ds_load_u16_d16_hi v43, v225 offset:9808
	ds_load_u16_d16_hi v42, v225 offset:9456
	;; [unrolled: 1-line block ×5, first 2 shown]
	ds_load_u16 v93, v232 offset:1408
	ds_load_u16 v100, v240 offset:1408
	ds_load_u16_d16_hi v90, v225 offset:9008
	s_waitcnt lgkmcnt(2)
	ds_load_u16_d16_hi v93, v225 offset:10064
	ds_load_u16_d16_hi v75, v225 offset:10096
	s_waitcnt lgkmcnt(3)
	ds_load_u16_d16_hi v100, v225 offset:10128
	ds_load_u16_d16_hi v40, v225 offset:8752
	v_wmma_f32_16x16x16_f16 v[32:39], v[64:71], v[56:63], v[32:39]
	s_waitcnt lgkmcnt(3)
	v_wmma_f32_16x16x16_f16 v[24:31], v[89:96], v[56:63], v[24:31]
	ds_load_u16 v71, v225 offset:8512
	ds_load_u16 v78, v236 offset:2464
	;; [unrolled: 1-line block ×3, first 2 shown]
	s_waitcnt lgkmcnt(2)
	ds_load_u16_d16_hi v71, v225 offset:8688
	s_waitcnt lgkmcnt(2)
	ds_load_u16_d16_hi v78, v225 offset:11152
	ds_load_u16_d16_hi v103, v225 offset:11184
	s_waitcnt lgkmcnt(3)
	ds_load_u16_d16_hi v96, v225 offset:8720
	v_wmma_f32_16x16x16_f16 v[0:7], v[40:47], v[56:63], v[0:7]
	v_add_f32_e32 v40, v141, v142
	ds_load_u16_d16_hi v98, v225 offset:9424
	s_waitcnt lgkmcnt(0)
	s_barrier
	buffer_gl0_inv
	v_add_f32_e32 v40, v143, v40
	s_delay_alu instid0(VALU_DEP_1) | instskip(NEXT) | instid1(VALU_DEP_1)
	v_add_f32_e32 v40, v144, v40
	v_add_f32_e32 v40, v145, v40
	v_wmma_f32_16x16x16_f16 v[16:23], v[71:78], v[56:63], v[16:23]
	s_delay_alu instid0(VALU_DEP_2) | instskip(SKIP_1) | instid1(VALU_DEP_2)
	v_add_f32_e32 v40, v146, v40
	v_wmma_f32_16x16x16_f16 v[8:15], v[96:103], v[56:63], v[8:15]
	v_add_f32_e32 v40, v147, v40
	s_delay_alu instid0(VALU_DEP_1) | instskip(NEXT) | instid1(VALU_DEP_1)
	v_add_f32_e32 v40, v148, v40
	v_add_f32_e32 v40, v48, v40
	s_delay_alu instid0(VALU_DEP_1) | instskip(NEXT) | instid1(VALU_DEP_1)
	v_add_f32_e32 v40, v49, v40
	;; [unrolled: 3-line block ×13, first 2 shown]
	v_fmac_f32_e32 v40, v185, v140
	ds_bpermute_b32 v41, v129, v40
	s_waitcnt lgkmcnt(0)
	v_add_f32_e32 v129, v40, v41
	s_cbranch_scc1 .LBB9_108
; %bb.107:                              ;   in Loop: Header=BB9_15 Depth=1
	scratch_load_b32 v40, off, off offset:236 ; 4-byte Folded Reload
	v_max_f32_e32 v41, v128, v128
	s_waitcnt vmcnt(0)
	v_lshlrev_b32_e32 v40, 2, v40
	global_load_b32 v40, v40, s[78:79]
	s_waitcnt vmcnt(0)
	v_max_f32_e32 v42, v40, v40
	s_delay_alu instid0(VALU_DEP_1) | instskip(NEXT) | instid1(VALU_DEP_1)
	v_max_f32_e32 v41, v41, v42
	v_sub_f32_e32 v42, v128, v41
	v_sub_f32_e32 v40, v40, v41
	s_delay_alu instid0(VALU_DEP_2) | instskip(NEXT) | instid1(VALU_DEP_2)
	v_dual_mov_b32 v128, v41 :: v_dual_mul_f32 v43, 0x3fb8aa3b, v42
	v_cmp_ngt_f32_e64 s1, 0xc2ce8ed0, v40
	s_delay_alu instid0(VALU_DEP_2) | instskip(SKIP_1) | instid1(VALU_DEP_1)
	v_fma_f32 v44, 0x3fb8aa3b, v42, -v43
	v_rndne_f32_e32 v45, v43
	v_dual_fmac_f32 v44, 0x32a5705f, v42 :: v_dual_sub_f32 v43, v43, v45
	v_cvt_i32_f32_e32 v45, v45
	s_delay_alu instid0(VALU_DEP_2) | instskip(SKIP_1) | instid1(VALU_DEP_2)
	v_add_f32_e32 v43, v43, v44
	v_cmp_ngt_f32_e32 vcc_lo, 0xc2ce8ed0, v42
	v_exp_f32_e32 v43, v43
	s_waitcnt_depctr 0xfff
	v_ldexp_f32 v43, v43, v45
	s_delay_alu instid0(VALU_DEP_1) | instskip(NEXT) | instid1(VALU_DEP_1)
	v_dual_mul_f32 v44, 0x3fb8aa3b, v40 :: v_dual_cndmask_b32 v43, 0, v43
	v_fma_f32 v46, 0x3fb8aa3b, v40, -v44
	v_rndne_f32_e32 v47, v44
	v_cmp_nlt_f32_e32 vcc_lo, 0x42b17218, v42
	s_delay_alu instid0(VALU_DEP_3) | instskip(NEXT) | instid1(VALU_DEP_3)
	v_fmac_f32_e32 v46, 0x32a5705f, v40
	v_sub_f32_e32 v44, v44, v47
	v_cndmask_b32_e32 v43, 0x7f800000, v43, vcc_lo
	v_cvt_i32_f32_e32 v45, v47
	v_cmp_le_f32_e32 vcc_lo, 0xc1a00000, v42
	s_delay_alu instid0(VALU_DEP_4) | instskip(NEXT) | instid1(VALU_DEP_1)
	v_add_f32_e32 v44, v44, v46
	v_exp_f32_e32 v44, v44
	s_waitcnt_depctr 0xfff
	v_ldexp_f32 v44, v44, v45
	s_delay_alu instid0(VALU_DEP_1) | instskip(SKIP_1) | instid1(VALU_DEP_1)
	v_cndmask_b32_e64 v42, 0, v44, s1
	v_cmp_nlt_f32_e64 s1, 0x42b17218, v40
	v_cndmask_b32_e64 v40, 0x7f800000, v42, s1
	v_cndmask_b32_e32 v42, 0, v43, vcc_lo
	s_delay_alu instid0(VALU_DEP_1) | instskip(NEXT) | instid1(VALU_DEP_1)
	v_fmac_f32_e32 v40, v129, v42
	v_mov_b32_e32 v129, v40
	v_mul_f32_e32 v32, v32, v42
	v_mul_f32_e32 v33, v33, v42
	;; [unrolled: 1-line block ×40, first 2 shown]
.LBB9_108:                              ;   in Loop: Header=BB9_15 Depth=1
	s_clause 0x3
	scratch_load_b32 v165, off, off offset:252
	scratch_load_b32 v167, off, off offset:260
	;; [unrolled: 1-line block ×4, first 2 shown]
	v_mov_b32_e32 v218, 0
	s_waitcnt vmcnt(0)
	s_barrier
	buffer_gl0_inv
	s_mov_b32 s1, exec_lo
	s_clause 0x4
	scratch_load_b32 v166, off, off offset:256
	scratch_load_b64 v[168:169], off, off offset:36
	scratch_load_b64 v[170:171], off, off offset:44
	scratch_load_b32 v248, off, off
	scratch_load_b32 v172, off, off offset:76
	v_readlane_b32 s2, v255, 18
	s_delay_alu instid0(VALU_DEP_1) | instskip(NEXT) | instid1(SALU_CYCLE_1)
	s_and_b32 s2, s1, s2
	s_mov_b32 exec_lo, s2
	s_cbranch_execz .LBB9_110
; %bb.109:                              ;   in Loop: Header=BB9_15 Depth=1
	scratch_load_b64 v[40:41], off, off offset:376 ; 8-byte Folded Reload
	s_waitcnt vmcnt(0)
	global_store_b64 v[40:41], v[128:129], off
.LBB9_110:                              ;   in Loop: Header=BB9_15 Depth=1
	s_or_b32 exec_lo, exec_lo, s1
	v_cvt_f16_f32_e32 v32, v32
	v_cvt_f16_f32_e32 v16, v16
	;; [unrolled: 1-line block ×31, first 2 shown]
	ds_store_b16 v219, v32
	ds_store_b16 v219, v33 offset:4
	ds_store_b16 v219, v34 offset:8
	;; [unrolled: 1-line block ×15, first 2 shown]
	v_cvt_f16_f32_e32 v21, v21
	v_cvt_f16_f32_e32 v22, v22
	v_cvt_f16_f32_e32 v23, v23
	ds_store_b16 v219, v16 offset:64
	ds_store_b16 v219, v17 offset:68
	ds_store_b16 v219, v18 offset:72
	ds_store_b16 v219, v19 offset:76
	ds_store_b16 v219, v20 offset:80
	ds_store_b16 v219, v21 offset:84
	ds_store_b16 v219, v22 offset:88
	ds_store_b16 v219, v23 offset:92
	v_cvt_f16_f32_e32 v13, v13
	v_cvt_f16_f32_e32 v14, v14
	v_cvt_f16_f32_e32 v15, v15
	ds_store_b16 v219, v8 offset:96
	ds_store_b16 v219, v9 offset:100
	ds_store_b16 v219, v10 offset:104
	ds_store_b16 v219, v11 offset:108
	ds_store_b16 v219, v12 offset:112
	ds_store_b16 v219, v13 offset:116
	ds_store_b16 v219, v14 offset:120
	ds_store_b16 v219, v15 offset:124
	;; [unrolled: 11-line block ×3, first 2 shown]
	scratch_load_b32 v2, off, off offset:84 ; 4-byte Folded Reload
	v_cmp_gt_i32_e64 s2, s33, v173
	v_cmp_le_i32_e32 vcc_lo, s33, v173
	v_mov_b32_e32 v0, 50
	s_waitcnt vmcnt(0) lgkmcnt(0)
	s_waitcnt_vscnt null, 0x0
	s_barrier
	buffer_gl0_inv
	v_cmp_gt_i32_e64 s1, s44, v2
	s_delay_alu instid0(VALU_DEP_1) | instskip(NEXT) | instid1(SALU_CYCLE_1)
	s_and_b32 s1, s1, s2
	s_and_saveexec_b32 s2, s1
	s_cbranch_execz .LBB9_112
; %bb.111:                              ;   in Loop: Header=BB9_15 Depth=1
	ds_load_b32 v3, v167
	v_mad_u64_u32 v[0:1], null, v2, s45, v[191:192]
	s_delay_alu instid0(VALU_DEP_1) | instskip(NEXT) | instid1(VALU_DEP_1)
	v_mad_u64_u32 v[1:2], null, v0, 40, v[179:180]
	v_ashrrev_i32_e32 v2, 31, v1
	s_waitcnt lgkmcnt(0)
	v_lshrrev_b32_e32 v0, 16, v3
	v_cvt_f32_f16_e32 v3, v3
	s_delay_alu instid0(VALU_DEP_2) | instskip(SKIP_1) | instid1(VALU_DEP_2)
	v_cvt_f32_f16_e32 v4, v0
	v_lshlrev_b64 v[0:1], 3, v[1:2]
	v_dual_add_f32 v2, 0, v3 :: v_dual_add_f32 v3, 0, v4
	s_delay_alu instid0(VALU_DEP_2) | instskip(NEXT) | instid1(VALU_DEP_1)
	v_add_co_u32 v4, s1, s57, v0
	v_add_co_ci_u32_e64 v5, s1, s73, v1, s1
	v_mov_b32_e32 v0, 0
	global_store_b64 v[4:5], v[2:3], off
.LBB9_112:                              ;   in Loop: Header=BB9_15 Depth=1
	s_or_b32 exec_lo, exec_lo, s2
	s_mov_b32 s3, -1
	s_mov_b32 s2, exec_lo
	v_cmpx_gt_i32_e32 50, v0
; %bb.113:                              ;   in Loop: Header=BB9_15 Depth=1
	v_cmp_eq_u32_e64 s1, 0, v0
	s_delay_alu instid0(VALU_DEP_1)
	s_or_not1_b32 s3, s1, exec_lo
; %bb.114:                              ;   in Loop: Header=BB9_15 Depth=1
	s_or_b32 exec_lo, exec_lo, s2
	s_and_saveexec_b32 s2, s3
	s_cbranch_execz .LBB9_187
; %bb.115:                              ;   in Loop: Header=BB9_15 Depth=1
	v_cmp_gt_i32_e64 s1, s44, v42
	v_mov_b32_e32 v0, 50
	s_xor_b32 s3, vcc_lo, -1
	s_delay_alu instid0(VALU_DEP_2) | instid1(SALU_CYCLE_1)
	s_and_b32 s4, s1, s3
	s_delay_alu instid0(SALU_CYCLE_1)
	s_and_saveexec_b32 s1, s4
	s_cbranch_execz .LBB9_117
; %bb.116:                              ;   in Loop: Header=BB9_15 Depth=1
	scratch_load_b32 v0, off, off offset:68 ; 4-byte Folded Reload
	s_waitcnt vmcnt(0)
	ds_load_b32 v3, v0
	v_mad_u64_u32 v[0:1], null, v42, s45, v[191:192]
	s_delay_alu instid0(VALU_DEP_1) | instskip(NEXT) | instid1(VALU_DEP_1)
	v_mad_u64_u32 v[1:2], null, v0, 40, v[179:180]
	v_ashrrev_i32_e32 v2, 31, v1
	s_waitcnt lgkmcnt(0)
	v_lshrrev_b32_e32 v0, 16, v3
	v_cvt_f32_f16_e32 v3, v3
	s_delay_alu instid0(VALU_DEP_2) | instskip(SKIP_1) | instid1(VALU_DEP_2)
	v_cvt_f32_f16_e32 v4, v0
	v_lshlrev_b64 v[0:1], 3, v[1:2]
	v_dual_add_f32 v2, 0, v3 :: v_dual_add_f32 v3, 0, v4
	s_delay_alu instid0(VALU_DEP_2) | instskip(NEXT) | instid1(VALU_DEP_3)
	v_add_co_u32 v4, vcc_lo, s57, v0
	v_add_co_ci_u32_e32 v5, vcc_lo, s73, v1, vcc_lo
	v_mov_b32_e32 v0, 0
	global_store_b64 v[4:5], v[2:3], off
.LBB9_117:                              ;   in Loop: Header=BB9_15 Depth=1
	s_or_b32 exec_lo, exec_lo, s1
	s_mov_b32 s1, -1
	s_mov_b32 s4, exec_lo
	v_cmpx_gt_i32_e32 50, v0
; %bb.118:                              ;   in Loop: Header=BB9_15 Depth=1
	v_cmp_eq_u32_e32 vcc_lo, 0, v0
	s_or_not1_b32 s1, vcc_lo, exec_lo
; %bb.119:                              ;   in Loop: Header=BB9_15 Depth=1
	s_or_b32 exec_lo, exec_lo, s4
	s_delay_alu instid0(SALU_CYCLE_1)
	s_and_b32 exec_lo, exec_lo, s1
	s_cbranch_execz .LBB9_187
; %bb.120:                              ;   in Loop: Header=BB9_15 Depth=1
	scratch_load_b32 v2, off, off offset:232 ; 4-byte Folded Reload
	v_mov_b32_e32 v0, 50
	s_waitcnt vmcnt(0)
	v_cmp_gt_i32_e32 vcc_lo, s44, v2
	s_and_b32 s4, vcc_lo, s3
	s_delay_alu instid0(SALU_CYCLE_1)
	s_and_saveexec_b32 s1, s4
	s_cbranch_execz .LBB9_122
; %bb.121:                              ;   in Loop: Header=BB9_15 Depth=1
	scratch_load_b32 v0, off, off offset:72 ; 4-byte Folded Reload
	s_waitcnt vmcnt(0)
	ds_load_b32 v3, v0
	v_mad_u64_u32 v[0:1], null, v2, s45, v[191:192]
	s_delay_alu instid0(VALU_DEP_1) | instskip(NEXT) | instid1(VALU_DEP_1)
	v_mad_u64_u32 v[1:2], null, v0, 40, v[179:180]
	v_ashrrev_i32_e32 v2, 31, v1
	s_waitcnt lgkmcnt(0)
	v_lshrrev_b32_e32 v0, 16, v3
	v_cvt_f32_f16_e32 v3, v3
	s_delay_alu instid0(VALU_DEP_2) | instskip(SKIP_1) | instid1(VALU_DEP_2)
	v_cvt_f32_f16_e32 v4, v0
	v_lshlrev_b64 v[0:1], 3, v[1:2]
	v_dual_add_f32 v2, 0, v3 :: v_dual_add_f32 v3, 0, v4
	s_delay_alu instid0(VALU_DEP_2) | instskip(NEXT) | instid1(VALU_DEP_3)
	v_add_co_u32 v4, vcc_lo, s57, v0
	v_add_co_ci_u32_e32 v5, vcc_lo, s73, v1, vcc_lo
	v_mov_b32_e32 v0, 0
	global_store_b64 v[4:5], v[2:3], off
.LBB9_122:                              ;   in Loop: Header=BB9_15 Depth=1
	s_or_b32 exec_lo, exec_lo, s1
	s_mov_b32 s1, -1
	s_mov_b32 s4, exec_lo
	v_cmpx_gt_i32_e32 50, v0
; %bb.123:                              ;   in Loop: Header=BB9_15 Depth=1
	v_cmp_eq_u32_e32 vcc_lo, 0, v0
	s_or_not1_b32 s1, vcc_lo, exec_lo
; %bb.124:                              ;   in Loop: Header=BB9_15 Depth=1
	s_or_b32 exec_lo, exec_lo, s4
	s_delay_alu instid0(SALU_CYCLE_1)
	s_and_b32 exec_lo, exec_lo, s1
	s_cbranch_execz .LBB9_187
; %bb.125:                              ;   in Loop: Header=BB9_15 Depth=1
	scratch_load_b32 v2, off, off offset:240 ; 4-byte Folded Reload
	v_mov_b32_e32 v0, 50
	s_waitcnt vmcnt(0)
	v_cmp_gt_i32_e32 vcc_lo, s44, v2
	s_and_b32 s4, vcc_lo, s3
	s_delay_alu instid0(SALU_CYCLE_1)
	s_and_saveexec_b32 s1, s4
	s_cbranch_execz .LBB9_127
; %bb.126:                              ;   in Loop: Header=BB9_15 Depth=1
	ds_load_b32 v3, v186
	v_mad_u64_u32 v[0:1], null, v2, s45, v[191:192]
	s_delay_alu instid0(VALU_DEP_1) | instskip(NEXT) | instid1(VALU_DEP_1)
	v_mad_u64_u32 v[1:2], null, v0, 40, v[179:180]
	v_ashrrev_i32_e32 v2, 31, v1
	s_waitcnt lgkmcnt(0)
	v_lshrrev_b32_e32 v0, 16, v3
	v_cvt_f32_f16_e32 v3, v3
	s_delay_alu instid0(VALU_DEP_2) | instskip(SKIP_1) | instid1(VALU_DEP_2)
	v_cvt_f32_f16_e32 v4, v0
	v_lshlrev_b64 v[0:1], 3, v[1:2]
	v_dual_add_f32 v2, 0, v3 :: v_dual_add_f32 v3, 0, v4
	s_delay_alu instid0(VALU_DEP_2) | instskip(NEXT) | instid1(VALU_DEP_3)
	v_add_co_u32 v4, vcc_lo, s57, v0
	v_add_co_ci_u32_e32 v5, vcc_lo, s73, v1, vcc_lo
	v_mov_b32_e32 v0, 0
	global_store_b64 v[4:5], v[2:3], off
.LBB9_127:                              ;   in Loop: Header=BB9_15 Depth=1
	s_or_b32 exec_lo, exec_lo, s1
	s_mov_b32 s1, -1
	s_mov_b32 s4, exec_lo
	v_cmpx_gt_i32_e32 50, v0
; %bb.128:                              ;   in Loop: Header=BB9_15 Depth=1
	v_cmp_eq_u32_e32 vcc_lo, 0, v0
	s_or_not1_b32 s1, vcc_lo, exec_lo
; %bb.129:                              ;   in Loop: Header=BB9_15 Depth=1
	s_or_b32 exec_lo, exec_lo, s4
	s_delay_alu instid0(SALU_CYCLE_1)
	s_and_b32 exec_lo, exec_lo, s1
	s_cbranch_execz .LBB9_187
; %bb.130:                              ;   in Loop: Header=BB9_15 Depth=1
	scratch_load_b32 v2, off, off offset:248 ; 4-byte Folded Reload
	v_mov_b32_e32 v0, 50
	s_waitcnt vmcnt(0)
	v_cmp_gt_i32_e32 vcc_lo, s44, v2
	s_and_b32 s4, vcc_lo, s3
	s_delay_alu instid0(SALU_CYCLE_1)
	s_and_saveexec_b32 s1, s4
	s_cbranch_execz .LBB9_132
; %bb.131:                              ;   in Loop: Header=BB9_15 Depth=1
	scratch_load_b32 v0, off, off offset:548 ; 4-byte Folded Reload
	s_waitcnt vmcnt(0)
	ds_load_b32 v3, v0
	v_mad_u64_u32 v[0:1], null, v2, s45, v[191:192]
	s_delay_alu instid0(VALU_DEP_1) | instskip(NEXT) | instid1(VALU_DEP_1)
	v_mad_u64_u32 v[1:2], null, v0, 40, v[179:180]
	v_ashrrev_i32_e32 v2, 31, v1
	s_waitcnt lgkmcnt(0)
	v_lshrrev_b32_e32 v0, 16, v3
	v_cvt_f32_f16_e32 v3, v3
	s_delay_alu instid0(VALU_DEP_2) | instskip(SKIP_1) | instid1(VALU_DEP_2)
	v_cvt_f32_f16_e32 v4, v0
	v_lshlrev_b64 v[0:1], 3, v[1:2]
	v_dual_add_f32 v2, 0, v3 :: v_dual_add_f32 v3, 0, v4
	s_delay_alu instid0(VALU_DEP_2) | instskip(NEXT) | instid1(VALU_DEP_3)
	v_add_co_u32 v4, vcc_lo, s57, v0
	v_add_co_ci_u32_e32 v5, vcc_lo, s73, v1, vcc_lo
	v_mov_b32_e32 v0, 0
	global_store_b64 v[4:5], v[2:3], off
.LBB9_132:                              ;   in Loop: Header=BB9_15 Depth=1
	s_or_b32 exec_lo, exec_lo, s1
	s_mov_b32 s1, -1
	s_mov_b32 s4, exec_lo
	v_cmpx_gt_i32_e32 50, v0
; %bb.133:                              ;   in Loop: Header=BB9_15 Depth=1
	v_cmp_eq_u32_e32 vcc_lo, 0, v0
	s_or_not1_b32 s1, vcc_lo, exec_lo
; %bb.134:                              ;   in Loop: Header=BB9_15 Depth=1
	s_or_b32 exec_lo, exec_lo, s4
	s_delay_alu instid0(SALU_CYCLE_1)
	s_and_b32 exec_lo, exec_lo, s1
	s_cbranch_execz .LBB9_187
; %bb.135:                              ;   in Loop: Header=BB9_15 Depth=1
	scratch_load_b32 v2, off, off offset:268 ; 4-byte Folded Reload
	v_mov_b32_e32 v0, 50
	s_waitcnt vmcnt(0)
	v_cmp_gt_i32_e32 vcc_lo, s44, v2
	s_and_b32 s4, vcc_lo, s3
	s_delay_alu instid0(SALU_CYCLE_1)
	s_and_saveexec_b32 s1, s4
	s_cbranch_execz .LBB9_137
; %bb.136:                              ;   in Loop: Header=BB9_15 Depth=1
	ds_load_b32 v3, v186 offset:1408
	v_mad_u64_u32 v[0:1], null, v2, s45, v[191:192]
	s_delay_alu instid0(VALU_DEP_1) | instskip(NEXT) | instid1(VALU_DEP_1)
	v_mad_u64_u32 v[1:2], null, v0, 40, v[179:180]
	v_ashrrev_i32_e32 v2, 31, v1
	s_waitcnt lgkmcnt(0)
	v_lshrrev_b32_e32 v0, 16, v3
	v_cvt_f32_f16_e32 v3, v3
	s_delay_alu instid0(VALU_DEP_2) | instskip(SKIP_1) | instid1(VALU_DEP_2)
	v_cvt_f32_f16_e32 v4, v0
	v_lshlrev_b64 v[0:1], 3, v[1:2]
	v_dual_add_f32 v2, 0, v3 :: v_dual_add_f32 v3, 0, v4
	s_delay_alu instid0(VALU_DEP_2) | instskip(NEXT) | instid1(VALU_DEP_3)
	v_add_co_u32 v4, vcc_lo, s57, v0
	v_add_co_ci_u32_e32 v5, vcc_lo, s73, v1, vcc_lo
	v_mov_b32_e32 v0, 0
	global_store_b64 v[4:5], v[2:3], off
.LBB9_137:                              ;   in Loop: Header=BB9_15 Depth=1
	s_or_b32 exec_lo, exec_lo, s1
	s_mov_b32 s1, -1
	s_mov_b32 s4, exec_lo
	v_cmpx_gt_i32_e32 50, v0
; %bb.138:                              ;   in Loop: Header=BB9_15 Depth=1
	v_cmp_eq_u32_e32 vcc_lo, 0, v0
	s_or_not1_b32 s1, vcc_lo, exec_lo
; %bb.139:                              ;   in Loop: Header=BB9_15 Depth=1
	s_or_b32 exec_lo, exec_lo, s4
	s_delay_alu instid0(SALU_CYCLE_1)
	s_and_b32 exec_lo, exec_lo, s1
	s_cbranch_execz .LBB9_187
; %bb.140:                              ;   in Loop: Header=BB9_15 Depth=1
	scratch_load_b32 v2, off, off offset:280 ; 4-byte Folded Reload
	v_mov_b32_e32 v0, 50
	s_waitcnt vmcnt(0)
	v_cmp_gt_i32_e32 vcc_lo, s44, v2
	s_and_b32 s4, vcc_lo, s3
	s_delay_alu instid0(SALU_CYCLE_1)
	s_and_saveexec_b32 s1, s4
	s_cbranch_execz .LBB9_142
; %bb.141:                              ;   in Loop: Header=BB9_15 Depth=1
	ds_load_b32 v3, v186 offset:2112
	v_mad_u64_u32 v[0:1], null, v2, s45, v[191:192]
	s_delay_alu instid0(VALU_DEP_1) | instskip(NEXT) | instid1(VALU_DEP_1)
	v_mad_u64_u32 v[1:2], null, v0, 40, v[179:180]
	v_ashrrev_i32_e32 v2, 31, v1
	s_waitcnt lgkmcnt(0)
	v_lshrrev_b32_e32 v0, 16, v3
	v_cvt_f32_f16_e32 v3, v3
	s_delay_alu instid0(VALU_DEP_2) | instskip(SKIP_1) | instid1(VALU_DEP_2)
	v_cvt_f32_f16_e32 v4, v0
	v_lshlrev_b64 v[0:1], 3, v[1:2]
	v_dual_add_f32 v2, 0, v3 :: v_dual_add_f32 v3, 0, v4
	s_delay_alu instid0(VALU_DEP_2) | instskip(NEXT) | instid1(VALU_DEP_3)
	v_add_co_u32 v4, vcc_lo, s57, v0
	v_add_co_ci_u32_e32 v5, vcc_lo, s73, v1, vcc_lo
	v_mov_b32_e32 v0, 0
	global_store_b64 v[4:5], v[2:3], off
.LBB9_142:                              ;   in Loop: Header=BB9_15 Depth=1
	;; [unrolled: 40-line block ×3, first 2 shown]
	s_or_b32 exec_lo, exec_lo, s1
	s_mov_b32 s1, -1
	s_mov_b32 s4, exec_lo
	v_cmpx_gt_i32_e32 50, v0
; %bb.148:                              ;   in Loop: Header=BB9_15 Depth=1
	v_cmp_eq_u32_e32 vcc_lo, 0, v0
	s_or_not1_b32 s1, vcc_lo, exec_lo
; %bb.149:                              ;   in Loop: Header=BB9_15 Depth=1
	s_or_b32 exec_lo, exec_lo, s4
	s_delay_alu instid0(SALU_CYCLE_1)
	s_and_b32 exec_lo, exec_lo, s1
	s_cbranch_execz .LBB9_187
; %bb.150:                              ;   in Loop: Header=BB9_15 Depth=1
	scratch_load_b32 v2, off, off offset:288 ; 4-byte Folded Reload
	v_mov_b32_e32 v0, 50
	s_waitcnt vmcnt(0)
	v_cmp_gt_i32_e32 vcc_lo, s44, v2
	s_and_b32 s4, vcc_lo, s3
	s_delay_alu instid0(SALU_CYCLE_1)
	s_and_saveexec_b32 s1, s4
	s_cbranch_execz .LBB9_152
; %bb.151:                              ;   in Loop: Header=BB9_15 Depth=1
	scratch_load_b32 v0, off, off offset:560 ; 4-byte Folded Reload
	s_waitcnt vmcnt(0)
	ds_load_b32 v3, v0
	v_mad_u64_u32 v[0:1], null, v2, s45, v[191:192]
	s_delay_alu instid0(VALU_DEP_1) | instskip(NEXT) | instid1(VALU_DEP_1)
	v_mad_u64_u32 v[1:2], null, v0, 40, v[179:180]
	v_ashrrev_i32_e32 v2, 31, v1
	s_waitcnt lgkmcnt(0)
	v_lshrrev_b32_e32 v0, 16, v3
	v_cvt_f32_f16_e32 v3, v3
	s_delay_alu instid0(VALU_DEP_2) | instskip(SKIP_1) | instid1(VALU_DEP_2)
	v_cvt_f32_f16_e32 v4, v0
	v_lshlrev_b64 v[0:1], 3, v[1:2]
	v_dual_add_f32 v2, 0, v3 :: v_dual_add_f32 v3, 0, v4
	s_delay_alu instid0(VALU_DEP_2) | instskip(NEXT) | instid1(VALU_DEP_3)
	v_add_co_u32 v4, vcc_lo, s57, v0
	v_add_co_ci_u32_e32 v5, vcc_lo, s73, v1, vcc_lo
	v_mov_b32_e32 v0, 0
	global_store_b64 v[4:5], v[2:3], off
.LBB9_152:                              ;   in Loop: Header=BB9_15 Depth=1
	s_or_b32 exec_lo, exec_lo, s1
	s_mov_b32 s1, -1
	s_mov_b32 s4, exec_lo
	v_cmpx_gt_i32_e32 50, v0
; %bb.153:                              ;   in Loop: Header=BB9_15 Depth=1
	v_cmp_eq_u32_e32 vcc_lo, 0, v0
	s_or_not1_b32 s1, vcc_lo, exec_lo
; %bb.154:                              ;   in Loop: Header=BB9_15 Depth=1
	s_or_b32 exec_lo, exec_lo, s4
	s_delay_alu instid0(SALU_CYCLE_1)
	s_and_b32 exec_lo, exec_lo, s1
	s_cbranch_execz .LBB9_187
; %bb.155:                              ;   in Loop: Header=BB9_15 Depth=1
	scratch_load_b32 v2, off, off offset:292 ; 4-byte Folded Reload
	v_mov_b32_e32 v0, 50
	s_waitcnt vmcnt(0)
	v_cmp_gt_i32_e32 vcc_lo, s44, v2
	s_and_b32 s4, vcc_lo, s3
	s_delay_alu instid0(SALU_CYCLE_1)
	s_and_saveexec_b32 s1, s4
	s_cbranch_execz .LBB9_157
; %bb.156:                              ;   in Loop: Header=BB9_15 Depth=1
	ds_load_b32 v3, v186 offset:4224
	v_mad_u64_u32 v[0:1], null, v2, s45, v[191:192]
	s_delay_alu instid0(VALU_DEP_1) | instskip(NEXT) | instid1(VALU_DEP_1)
	v_mad_u64_u32 v[1:2], null, v0, 40, v[179:180]
	v_ashrrev_i32_e32 v2, 31, v1
	s_waitcnt lgkmcnt(0)
	v_lshrrev_b32_e32 v0, 16, v3
	v_cvt_f32_f16_e32 v3, v3
	s_delay_alu instid0(VALU_DEP_2) | instskip(SKIP_1) | instid1(VALU_DEP_2)
	v_cvt_f32_f16_e32 v4, v0
	v_lshlrev_b64 v[0:1], 3, v[1:2]
	v_dual_add_f32 v2, 0, v3 :: v_dual_add_f32 v3, 0, v4
	s_delay_alu instid0(VALU_DEP_2) | instskip(NEXT) | instid1(VALU_DEP_3)
	v_add_co_u32 v4, vcc_lo, s57, v0
	v_add_co_ci_u32_e32 v5, vcc_lo, s73, v1, vcc_lo
	v_mov_b32_e32 v0, 0
	global_store_b64 v[4:5], v[2:3], off
.LBB9_157:                              ;   in Loop: Header=BB9_15 Depth=1
	s_or_b32 exec_lo, exec_lo, s1
	s_mov_b32 s1, -1
	s_mov_b32 s4, exec_lo
	v_cmpx_gt_i32_e32 50, v0
; %bb.158:                              ;   in Loop: Header=BB9_15 Depth=1
	v_cmp_eq_u32_e32 vcc_lo, 0, v0
	s_or_not1_b32 s1, vcc_lo, exec_lo
; %bb.159:                              ;   in Loop: Header=BB9_15 Depth=1
	s_or_b32 exec_lo, exec_lo, s4
	s_delay_alu instid0(SALU_CYCLE_1)
	s_and_b32 exec_lo, exec_lo, s1
	s_cbranch_execz .LBB9_187
; %bb.160:                              ;   in Loop: Header=BB9_15 Depth=1
	scratch_load_b32 v2, off, off offset:296 ; 4-byte Folded Reload
	v_mov_b32_e32 v0, 50
	s_waitcnt vmcnt(0)
	v_cmp_gt_i32_e32 vcc_lo, s44, v2
	s_and_b32 s4, vcc_lo, s3
	s_delay_alu instid0(SALU_CYCLE_1)
	s_and_saveexec_b32 s1, s4
	s_cbranch_execz .LBB9_162
; %bb.161:                              ;   in Loop: Header=BB9_15 Depth=1
	ds_load_b32 v3, v186 offset:4928
	v_mad_u64_u32 v[0:1], null, v2, s45, v[191:192]
	s_delay_alu instid0(VALU_DEP_1) | instskip(NEXT) | instid1(VALU_DEP_1)
	v_mad_u64_u32 v[1:2], null, v0, 40, v[179:180]
	v_ashrrev_i32_e32 v2, 31, v1
	s_waitcnt lgkmcnt(0)
	v_lshrrev_b32_e32 v0, 16, v3
	v_cvt_f32_f16_e32 v3, v3
	s_delay_alu instid0(VALU_DEP_2) | instskip(SKIP_1) | instid1(VALU_DEP_2)
	v_cvt_f32_f16_e32 v4, v0
	v_lshlrev_b64 v[0:1], 3, v[1:2]
	v_dual_add_f32 v2, 0, v3 :: v_dual_add_f32 v3, 0, v4
	s_delay_alu instid0(VALU_DEP_2) | instskip(NEXT) | instid1(VALU_DEP_3)
	v_add_co_u32 v4, vcc_lo, s57, v0
	v_add_co_ci_u32_e32 v5, vcc_lo, s73, v1, vcc_lo
	v_mov_b32_e32 v0, 0
	global_store_b64 v[4:5], v[2:3], off
.LBB9_162:                              ;   in Loop: Header=BB9_15 Depth=1
	;; [unrolled: 40-line block ×3, first 2 shown]
	s_or_b32 exec_lo, exec_lo, s1
	s_mov_b32 s1, -1
	s_mov_b32 s4, exec_lo
	v_cmpx_gt_i32_e32 50, v0
; %bb.168:                              ;   in Loop: Header=BB9_15 Depth=1
	v_cmp_eq_u32_e32 vcc_lo, 0, v0
	s_or_not1_b32 s1, vcc_lo, exec_lo
; %bb.169:                              ;   in Loop: Header=BB9_15 Depth=1
	s_or_b32 exec_lo, exec_lo, s4
	s_delay_alu instid0(SALU_CYCLE_1)
	s_and_b32 exec_lo, exec_lo, s1
	s_cbranch_execz .LBB9_187
; %bb.170:                              ;   in Loop: Header=BB9_15 Depth=1
	scratch_load_b32 v2, off, off offset:304 ; 4-byte Folded Reload
	v_mov_b32_e32 v0, 50
	s_waitcnt vmcnt(0)
	v_cmp_gt_i32_e32 vcc_lo, s44, v2
	s_and_b32 s4, vcc_lo, s3
	s_delay_alu instid0(SALU_CYCLE_1)
	s_and_saveexec_b32 s1, s4
	s_cbranch_execz .LBB9_172
; %bb.171:                              ;   in Loop: Header=BB9_15 Depth=1
	scratch_load_b32 v0, off, off offset:568 ; 4-byte Folded Reload
	s_waitcnt vmcnt(0)
	ds_load_b32 v3, v0
	v_mad_u64_u32 v[0:1], null, v2, s45, v[191:192]
	s_delay_alu instid0(VALU_DEP_1) | instskip(NEXT) | instid1(VALU_DEP_1)
	v_mad_u64_u32 v[1:2], null, v0, 40, v[179:180]
	v_ashrrev_i32_e32 v2, 31, v1
	s_waitcnt lgkmcnt(0)
	v_lshrrev_b32_e32 v0, 16, v3
	v_cvt_f32_f16_e32 v3, v3
	s_delay_alu instid0(VALU_DEP_2) | instskip(SKIP_1) | instid1(VALU_DEP_2)
	v_cvt_f32_f16_e32 v4, v0
	v_lshlrev_b64 v[0:1], 3, v[1:2]
	v_dual_add_f32 v2, 0, v3 :: v_dual_add_f32 v3, 0, v4
	s_delay_alu instid0(VALU_DEP_2) | instskip(NEXT) | instid1(VALU_DEP_3)
	v_add_co_u32 v4, vcc_lo, s57, v0
	v_add_co_ci_u32_e32 v5, vcc_lo, s73, v1, vcc_lo
	v_mov_b32_e32 v0, 0
	global_store_b64 v[4:5], v[2:3], off
.LBB9_172:                              ;   in Loop: Header=BB9_15 Depth=1
	s_or_b32 exec_lo, exec_lo, s1
	s_mov_b32 s1, -1
	s_mov_b32 s4, exec_lo
	v_cmpx_gt_i32_e32 50, v0
; %bb.173:                              ;   in Loop: Header=BB9_15 Depth=1
	v_cmp_eq_u32_e32 vcc_lo, 0, v0
	s_or_not1_b32 s1, vcc_lo, exec_lo
; %bb.174:                              ;   in Loop: Header=BB9_15 Depth=1
	s_or_b32 exec_lo, exec_lo, s4
	s_delay_alu instid0(SALU_CYCLE_1)
	s_and_b32 exec_lo, exec_lo, s1
	s_cbranch_execz .LBB9_187
; %bb.175:                              ;   in Loop: Header=BB9_15 Depth=1
	v_cmp_gt_i32_e32 vcc_lo, s44, v187
	v_mov_b32_e32 v0, 50
	s_and_b32 s4, vcc_lo, s3
	s_delay_alu instid0(SALU_CYCLE_1)
	s_and_saveexec_b32 s1, s4
	s_cbranch_execz .LBB9_177
; %bb.176:                              ;   in Loop: Header=BB9_15 Depth=1
	ds_load_b32 v3, v186 offset:7040
	v_mad_u64_u32 v[0:1], null, v187, s45, v[191:192]
	s_delay_alu instid0(VALU_DEP_1) | instskip(NEXT) | instid1(VALU_DEP_1)
	v_mad_u64_u32 v[1:2], null, v0, 40, v[179:180]
	v_ashrrev_i32_e32 v2, 31, v1
	s_waitcnt lgkmcnt(0)
	v_lshrrev_b32_e32 v0, 16, v3
	v_cvt_f32_f16_e32 v3, v3
	s_delay_alu instid0(VALU_DEP_2) | instskip(SKIP_1) | instid1(VALU_DEP_2)
	v_cvt_f32_f16_e32 v4, v0
	v_lshlrev_b64 v[0:1], 3, v[1:2]
	v_dual_add_f32 v2, 0, v3 :: v_dual_add_f32 v3, 0, v4
	s_delay_alu instid0(VALU_DEP_2) | instskip(NEXT) | instid1(VALU_DEP_3)
	v_add_co_u32 v4, vcc_lo, s57, v0
	v_add_co_ci_u32_e32 v5, vcc_lo, s73, v1, vcc_lo
	v_mov_b32_e32 v0, 0
	global_store_b64 v[4:5], v[2:3], off
.LBB9_177:                              ;   in Loop: Header=BB9_15 Depth=1
	s_or_b32 exec_lo, exec_lo, s1
	s_mov_b32 s1, -1
	s_mov_b32 s4, exec_lo
	v_cmpx_gt_i32_e32 50, v0
; %bb.178:                              ;   in Loop: Header=BB9_15 Depth=1
	v_cmp_eq_u32_e32 vcc_lo, 0, v0
	s_or_not1_b32 s1, vcc_lo, exec_lo
; %bb.179:                              ;   in Loop: Header=BB9_15 Depth=1
	s_or_b32 exec_lo, exec_lo, s4
	s_delay_alu instid0(SALU_CYCLE_1)
	s_and_b32 exec_lo, exec_lo, s1
	s_cbranch_execz .LBB9_187
; %bb.180:                              ;   in Loop: Header=BB9_15 Depth=1
	v_cmp_gt_i32_e32 vcc_lo, s44, v180
	v_mov_b32_e32 v0, 50
	s_and_b32 s4, vcc_lo, s3
	s_delay_alu instid0(SALU_CYCLE_1)
	s_and_saveexec_b32 s1, s4
	s_cbranch_execz .LBB9_182
; %bb.181:                              ;   in Loop: Header=BB9_15 Depth=1
	ds_load_b32 v3, v186 offset:7744
	v_mad_u64_u32 v[0:1], null, v180, s45, v[191:192]
	s_delay_alu instid0(VALU_DEP_1) | instskip(NEXT) | instid1(VALU_DEP_1)
	v_mad_u64_u32 v[1:2], null, v0, 40, v[179:180]
	v_ashrrev_i32_e32 v2, 31, v1
	s_waitcnt lgkmcnt(0)
	v_lshrrev_b32_e32 v0, 16, v3
	v_cvt_f32_f16_e32 v3, v3
	s_delay_alu instid0(VALU_DEP_2) | instskip(SKIP_1) | instid1(VALU_DEP_2)
	v_cvt_f32_f16_e32 v4, v0
	v_lshlrev_b64 v[0:1], 3, v[1:2]
	v_dual_add_f32 v2, 0, v3 :: v_dual_add_f32 v3, 0, v4
	s_delay_alu instid0(VALU_DEP_2) | instskip(NEXT) | instid1(VALU_DEP_3)
	v_add_co_u32 v4, vcc_lo, s57, v0
	v_add_co_ci_u32_e32 v5, vcc_lo, s73, v1, vcc_lo
	v_mov_b32_e32 v0, 0
	global_store_b64 v[4:5], v[2:3], off
.LBB9_182:                              ;   in Loop: Header=BB9_15 Depth=1
	s_or_b32 exec_lo, exec_lo, s1
	s_mov_b32 s1, -1
	s_mov_b32 s4, exec_lo
	v_cmpx_gt_i32_e32 50, v0
; %bb.183:                              ;   in Loop: Header=BB9_15 Depth=1
	v_cmp_eq_u32_e32 vcc_lo, 0, v0
	s_or_not1_b32 s1, vcc_lo, exec_lo
; %bb.184:                              ;   in Loop: Header=BB9_15 Depth=1
	s_or_b32 exec_lo, exec_lo, s4
	s_delay_alu instid0(SALU_CYCLE_1)
	s_and_b32 exec_lo, exec_lo, s1
	s_cbranch_execz .LBB9_187
; %bb.185:                              ;   in Loop: Header=BB9_15 Depth=1
	v_cmp_gt_i32_e32 vcc_lo, s44, v177
	s_and_b32 s1, vcc_lo, s3
	s_delay_alu instid0(SALU_CYCLE_1)
	s_and_b32 exec_lo, exec_lo, s1
	s_cbranch_execz .LBB9_187
; %bb.186:                              ;   in Loop: Header=BB9_15 Depth=1
	ds_load_b32 v3, v186 offset:8448
	v_mad_u64_u32 v[0:1], null, v177, s45, v[191:192]
	s_delay_alu instid0(VALU_DEP_1) | instskip(NEXT) | instid1(VALU_DEP_1)
	v_mad_u64_u32 v[1:2], null, v0, 40, v[179:180]
	v_ashrrev_i32_e32 v2, 31, v1
	s_waitcnt lgkmcnt(0)
	v_lshrrev_b32_e32 v0, 16, v3
	v_cvt_f32_f16_e32 v3, v3
	s_delay_alu instid0(VALU_DEP_2) | instskip(SKIP_1) | instid1(VALU_DEP_2)
	v_cvt_f32_f16_e32 v4, v0
	v_lshlrev_b64 v[0:1], 3, v[1:2]
	v_dual_add_f32 v2, 0, v3 :: v_dual_add_f32 v3, 0, v4
	s_delay_alu instid0(VALU_DEP_2) | instskip(NEXT) | instid1(VALU_DEP_3)
	v_add_co_u32 v0, vcc_lo, s57, v0
	v_add_co_ci_u32_e32 v1, vcc_lo, s73, v1, vcc_lo
	global_store_b64 v[0:1], v[2:3], off
.LBB9_187:                              ;   in Loop: Header=BB9_15 Depth=1
	s_or_b32 exec_lo, exec_lo, s2
	v_cmp_gt_i32_e64 s1, s44, v176
	v_cmp_gt_i32_e64 s2, s33, v178
	v_cmp_le_i32_e32 vcc_lo, s33, v178
	v_mov_b32_e32 v0, 50
	s_delay_alu instid0(VALU_DEP_3) | instskip(NEXT) | instid1(SALU_CYCLE_1)
	s_and_b32 s1, s1, s2
	s_and_saveexec_b32 s2, s1
	s_cbranch_execz .LBB9_189
; %bb.188:                              ;   in Loop: Header=BB9_15 Depth=1
	v_mad_u64_u32 v[0:1], null, v176, s45, v[206:207]
	ds_load_b32 v2, v165 offset:128
	v_mul_lo_u32 v0, v0, 40
	s_delay_alu instid0(VALU_DEP_1) | instskip(SKIP_1) | instid1(VALU_DEP_2)
	v_ashrrev_i32_e32 v1, 31, v0
	v_or_b32_e32 v0, v0, v216
	v_or_b32_e32 v1, 0, v1
	s_waitcnt lgkmcnt(0)
	v_lshrrev_b32_e32 v3, 16, v2
	v_cvt_f32_f16_e32 v2, v2
	s_delay_alu instid0(VALU_DEP_3) | instskip(NEXT) | instid1(VALU_DEP_3)
	v_lshlrev_b64 v[0:1], 3, v[0:1]
	v_cvt_f32_f16_e32 v3, v3
	s_delay_alu instid0(VALU_DEP_1) | instskip(NEXT) | instid1(VALU_DEP_3)
	v_dual_add_f32 v2, 0, v2 :: v_dual_add_f32 v3, 0, v3
	v_add_co_u32 v4, s1, s57, v0
	s_delay_alu instid0(VALU_DEP_1)
	v_add_co_ci_u32_e64 v5, s1, s73, v1, s1
	v_mov_b32_e32 v0, 0
	global_store_b64 v[4:5], v[2:3], off offset:256
.LBB9_189:                              ;   in Loop: Header=BB9_15 Depth=1
	s_or_b32 exec_lo, exec_lo, s2
	s_mov_b32 s4, -1
	s_mov_b32 s2, exec_lo
	v_cmpx_gt_i32_e32 50, v0
; %bb.190:                              ;   in Loop: Header=BB9_15 Depth=1
	v_cmp_eq_u32_e64 s1, 0, v0
	s_delay_alu instid0(VALU_DEP_1)
	s_or_not1_b32 s4, s1, exec_lo
; %bb.191:                              ;   in Loop: Header=BB9_15 Depth=1
	s_or_b32 exec_lo, exec_lo, s2
	s_mov_b32 s2, 0
	s_mov_b32 s81, 0
                                        ; implicit-def: $vgpr1
	s_and_saveexec_b32 s3, s4
	s_cbranch_execz .LBB9_207
; %bb.192:                              ;   in Loop: Header=BB9_15 Depth=1
	v_cmp_gt_i32_e64 s1, s44, v175
	v_mov_b32_e32 v0, 50
	s_xor_b32 s4, vcc_lo, -1
	s_delay_alu instid0(VALU_DEP_2) | instid1(SALU_CYCLE_1)
	s_and_b32 s5, s1, s4
	s_delay_alu instid0(SALU_CYCLE_1)
	s_and_saveexec_b32 s1, s5
	s_cbranch_execz .LBB9_194
; %bb.193:                              ;   in Loop: Header=BB9_15 Depth=1
	v_mad_u64_u32 v[0:1], null, v175, s45, v[206:207]
	scratch_load_b32 v1, off, off offset:400 ; 4-byte Folded Reload
	v_mul_lo_u32 v0, v0, 40
	s_waitcnt vmcnt(0)
	ds_load_b32 v2, v1 offset:128
	v_ashrrev_i32_e32 v1, 31, v0
	v_or_b32_e32 v0, v0, v216
	s_delay_alu instid0(VALU_DEP_2) | instskip(NEXT) | instid1(VALU_DEP_1)
	v_or_b32_e32 v1, 0, v1
	v_lshlrev_b64 v[0:1], 3, v[0:1]
	s_delay_alu instid0(VALU_DEP_1) | instskip(NEXT) | instid1(VALU_DEP_2)
	v_add_co_u32 v4, vcc_lo, s57, v0
	v_add_co_ci_u32_e32 v5, vcc_lo, s73, v1, vcc_lo
	s_waitcnt lgkmcnt(0)
	v_lshrrev_b32_e32 v3, 16, v2
	v_cvt_f32_f16_e32 v2, v2
	v_mov_b32_e32 v0, 0
	s_delay_alu instid0(VALU_DEP_3) | instskip(NEXT) | instid1(VALU_DEP_1)
	v_cvt_f32_f16_e32 v3, v3
	v_dual_add_f32 v2, 0, v2 :: v_dual_add_f32 v3, 0, v3
	global_store_b64 v[4:5], v[2:3], off offset:256
.LBB9_194:                              ;   in Loop: Header=BB9_15 Depth=1
	s_or_b32 exec_lo, exec_lo, s1
	s_mov_b32 s6, -1
	s_mov_b32 s1, exec_lo
	v_cmpx_gt_i32_e32 50, v0
; %bb.195:                              ;   in Loop: Header=BB9_15 Depth=1
	v_cmp_eq_u32_e32 vcc_lo, 0, v0
	s_or_not1_b32 s6, vcc_lo, exec_lo
; %bb.196:                              ;   in Loop: Header=BB9_15 Depth=1
	s_or_b32 exec_lo, exec_lo, s1
	s_mov_b32 s5, 0
                                        ; implicit-def: $vgpr1
	s_and_saveexec_b32 s1, s6
	s_cbranch_execz .LBB9_206
; %bb.197:                              ;   in Loop: Header=BB9_15 Depth=1
	v_cmp_gt_i32_e32 vcc_lo, s44, v174
	v_mov_b32_e32 v0, 50
	s_and_b32 s6, vcc_lo, s4
	s_delay_alu instid0(SALU_CYCLE_1)
	s_and_saveexec_b32 s5, s6
	s_cbranch_execz .LBB9_199
; %bb.198:                              ;   in Loop: Header=BB9_15 Depth=1
	v_mad_u64_u32 v[0:1], null, v174, s45, v[206:207]
	scratch_load_b32 v1, off, off offset:492 ; 4-byte Folded Reload
	v_mul_lo_u32 v0, v0, 40
	s_waitcnt vmcnt(0)
	ds_load_b32 v2, v1 offset:128
	v_ashrrev_i32_e32 v1, 31, v0
	v_or_b32_e32 v0, v0, v216
	s_delay_alu instid0(VALU_DEP_2) | instskip(NEXT) | instid1(VALU_DEP_1)
	v_or_b32_e32 v1, 0, v1
	v_lshlrev_b64 v[0:1], 3, v[0:1]
	s_delay_alu instid0(VALU_DEP_1) | instskip(NEXT) | instid1(VALU_DEP_2)
	v_add_co_u32 v4, vcc_lo, s57, v0
	v_add_co_ci_u32_e32 v5, vcc_lo, s73, v1, vcc_lo
	s_waitcnt lgkmcnt(0)
	v_lshrrev_b32_e32 v3, 16, v2
	v_cvt_f32_f16_e32 v2, v2
	v_mov_b32_e32 v0, 0
	s_delay_alu instid0(VALU_DEP_3) | instskip(NEXT) | instid1(VALU_DEP_1)
	v_cvt_f32_f16_e32 v3, v3
	v_dual_add_f32 v2, 0, v2 :: v_dual_add_f32 v3, 0, v3
	global_store_b64 v[4:5], v[2:3], off offset:256
.LBB9_199:                              ;   in Loop: Header=BB9_15 Depth=1
	s_or_b32 exec_lo, exec_lo, s5
	s_mov_b32 s7, -1
	s_mov_b32 s5, exec_lo
	v_cmpx_gt_i32_e32 50, v0
; %bb.200:                              ;   in Loop: Header=BB9_15 Depth=1
	v_cmp_eq_u32_e32 vcc_lo, 0, v0
	s_or_not1_b32 s7, vcc_lo, exec_lo
; %bb.201:                              ;   in Loop: Header=BB9_15 Depth=1
	s_or_b32 exec_lo, exec_lo, s5
	s_mov_b32 s6, 0
                                        ; implicit-def: $vgpr1
	s_and_saveexec_b32 s5, s7
	s_cbranch_execz .LBB9_205
; %bb.202:                              ;   in Loop: Header=BB9_15 Depth=1
	v_cmp_gt_i32_e32 vcc_lo, s44, v172
                                        ; implicit-def: $vgpr1
	s_and_b32 s6, vcc_lo, s4
	s_mov_b32 s4, 0
	s_and_saveexec_b32 s7, s6
	s_delay_alu instid0(SALU_CYCLE_1)
	s_xor_b32 s6, exec_lo, s7
	s_cbranch_execz .LBB9_204
; %bb.203:                              ;   in Loop: Header=BB9_15 Depth=1
	scratch_load_b32 v0, off, off offset:536 ; 4-byte Folded Reload
	s_mov_b32 s4, exec_lo
	s_waitcnt vmcnt(0)
	ds_load_b32 v0, v0 offset:128
	s_waitcnt lgkmcnt(0)
	v_lshrrev_b32_e32 v1, 16, v0
	v_cvt_f32_f16_e32 v0, v0
	s_delay_alu instid0(VALU_DEP_2) | instskip(NEXT) | instid1(VALU_DEP_1)
	v_cvt_f32_f16_e32 v1, v1
	v_dual_add_f32 v0, 0, v0 :: v_dual_add_f32 v1, 0, v1
.LBB9_204:                              ;   in Loop: Header=BB9_15 Depth=1
	s_or_b32 exec_lo, exec_lo, s6
	s_delay_alu instid0(SALU_CYCLE_1)
	s_and_b32 s6, s4, exec_lo
.LBB9_205:                              ;   in Loop: Header=BB9_15 Depth=1
	s_or_b32 exec_lo, exec_lo, s5
	s_delay_alu instid0(SALU_CYCLE_1)
	s_and_b32 s5, s6, exec_lo
.LBB9_206:                              ;   in Loop: Header=BB9_15 Depth=1
	s_or_b32 exec_lo, exec_lo, s1
	s_delay_alu instid0(SALU_CYCLE_1)
	s_and_b32 s81, s5, exec_lo
.LBB9_207:                              ;   in Loop: Header=BB9_15 Depth=1
	s_or_b32 exec_lo, exec_lo, s3
	s_delay_alu instid0(SALU_CYCLE_1)
	s_and_b32 vcc_lo, exec_lo, s2
	s_cbranch_vccz .LBB9_397
.LBB9_208:                              ;   in Loop: Header=BB9_15 Depth=1
	s_lshl_b32 s2, s0, 4
	v_cmp_gt_i32_e32 vcc_lo, s33, v173
	v_add_nc_u32_e32 v130, s2, v215
	s_delay_alu instid0(VALU_DEP_1) | instskip(NEXT) | instid1(VALU_DEP_1)
	v_cmp_gt_i32_e64 s1, s44, v130
	s_and_b32 s59, s1, vcc_lo
	s_delay_alu instid0(SALU_CYCLE_1) | instskip(NEXT) | instid1(SALU_CYCLE_1)
	s_xor_b32 s0, s59, -1
	s_and_saveexec_b32 s1, s0
	s_delay_alu instid0(SALU_CYCLE_1)
	s_xor_b32 s0, exec_lo, s1
	s_cbranch_execz .LBB9_210
; %bb.209:                              ;   in Loop: Header=BB9_15 Depth=1
	ds_store_b32 v167, v218
.LBB9_210:                              ;   in Loop: Header=BB9_15 Depth=1
	s_and_not1_saveexec_b32 s0, s0
	s_cbranch_execz .LBB9_212
; %bb.211:                              ;   in Loop: Header=BB9_15 Depth=1
	v_mad_u64_u32 v[0:1], null, v130, s65, v[249:250]
	s_delay_alu instid0(VALU_DEP_1) | instskip(NEXT) | instid1(VALU_DEP_1)
	v_ashrrev_i32_e32 v1, 31, v0
	v_lshlrev_b64 v[0:1], 3, v[0:1]
	s_delay_alu instid0(VALU_DEP_1) | instskip(NEXT) | instid1(VALU_DEP_1)
	v_add_co_u32 v0, s1, s69, v0
	v_add_co_ci_u32_e64 v1, s1, s58, v1, s1
	global_load_b64 v[0:1], v[0:1], off
	s_waitcnt vmcnt(0)
	v_cvt_f16_f32_e32 v0, v0
	v_cvt_f16_f32_e32 v1, v1
	s_delay_alu instid0(VALU_DEP_1) | instskip(NEXT) | instid1(VALU_DEP_1)
	v_pack_b32_f16 v0, v0, v1
	v_pk_mul_f16 v0, v220, v0
	ds_store_b32 v167, v0
.LBB9_212:                              ;   in Loop: Header=BB9_15 Depth=1
	s_or_b32 exec_lo, exec_lo, s0
	scratch_load_b32 v0, off, off offset:108 ; 4-byte Folded Reload
	s_waitcnt vmcnt(0)
	v_add_nc_u32_e32 v11, s2, v0
	s_delay_alu instid0(VALU_DEP_1) | instskip(NEXT) | instid1(VALU_DEP_1)
	v_cmp_gt_i32_e64 s1, s44, v11
	s_and_b32 s0, s1, vcc_lo
	s_delay_alu instid0(SALU_CYCLE_1) | instskip(NEXT) | instid1(SALU_CYCLE_1)
	s_xor_b32 s1, s0, -1
	s_and_saveexec_b32 s3, s1
	s_delay_alu instid0(SALU_CYCLE_1)
	s_xor_b32 s1, exec_lo, s3
	s_cbranch_execz .LBB9_214
; %bb.213:                              ;   in Loop: Header=BB9_15 Depth=1
	scratch_load_b32 v0, off, off offset:68 ; 4-byte Folded Reload
	s_waitcnt vmcnt(0)
	ds_store_b32 v0, v218
.LBB9_214:                              ;   in Loop: Header=BB9_15 Depth=1
	s_and_not1_saveexec_b32 s3, s1
	s_cbranch_execz .LBB9_216
; %bb.215:                              ;   in Loop: Header=BB9_15 Depth=1
	v_mad_u64_u32 v[0:1], null, v11, s65, v[249:250]
	s_delay_alu instid0(VALU_DEP_1) | instskip(NEXT) | instid1(VALU_DEP_1)
	v_ashrrev_i32_e32 v1, 31, v0
	v_lshlrev_b64 v[0:1], 3, v[0:1]
	s_delay_alu instid0(VALU_DEP_1) | instskip(NEXT) | instid1(VALU_DEP_1)
	v_add_co_u32 v0, s1, s69, v0
	v_add_co_ci_u32_e64 v1, s1, s58, v1, s1
	global_load_b64 v[0:1], v[0:1], off
	s_waitcnt vmcnt(0)
	v_cvt_f16_f32_e32 v0, v0
	v_cvt_f16_f32_e32 v1, v1
	s_delay_alu instid0(VALU_DEP_1)
	v_pack_b32_f16 v0, v0, v1
	scratch_load_b32 v1, off, off offset:68 ; 4-byte Folded Reload
	v_pk_mul_f16 v0, v220, v0
	s_waitcnt vmcnt(0)
	ds_store_b32 v1, v0
.LBB9_216:                              ;   in Loop: Header=BB9_15 Depth=1
	s_or_b32 exec_lo, exec_lo, s3
	scratch_load_b32 v0, off, off offset:112 ; 4-byte Folded Reload
	s_waitcnt vmcnt(0)
	v_add_nc_u32_e32 v10, s2, v0
	s_delay_alu instid0(VALU_DEP_1) | instskip(NEXT) | instid1(VALU_DEP_1)
	v_cmp_gt_i32_e64 s1, s44, v10
	s_and_b32 s88, s1, vcc_lo
	s_delay_alu instid0(SALU_CYCLE_1) | instskip(NEXT) | instid1(SALU_CYCLE_1)
	s_xor_b32 s1, s88, -1
	s_and_saveexec_b32 s3, s1
	s_delay_alu instid0(SALU_CYCLE_1)
	s_xor_b32 s1, exec_lo, s3
	s_cbranch_execz .LBB9_218
; %bb.217:                              ;   in Loop: Header=BB9_15 Depth=1
	scratch_load_b32 v0, off, off offset:72 ; 4-byte Folded Reload
	s_waitcnt vmcnt(0)
	ds_store_b32 v0, v218
.LBB9_218:                              ;   in Loop: Header=BB9_15 Depth=1
	s_and_not1_saveexec_b32 s3, s1
	s_cbranch_execz .LBB9_220
; %bb.219:                              ;   in Loop: Header=BB9_15 Depth=1
	v_mad_u64_u32 v[0:1], null, v10, s65, v[249:250]
	s_delay_alu instid0(VALU_DEP_1) | instskip(NEXT) | instid1(VALU_DEP_1)
	v_ashrrev_i32_e32 v1, 31, v0
	v_lshlrev_b64 v[0:1], 3, v[0:1]
	s_delay_alu instid0(VALU_DEP_1) | instskip(NEXT) | instid1(VALU_DEP_1)
	v_add_co_u32 v0, s1, s69, v0
	v_add_co_ci_u32_e64 v1, s1, s58, v1, s1
	global_load_b64 v[0:1], v[0:1], off
	s_waitcnt vmcnt(0)
	v_cvt_f16_f32_e32 v0, v0
	v_cvt_f16_f32_e32 v1, v1
	s_delay_alu instid0(VALU_DEP_1)
	v_pack_b32_f16 v0, v0, v1
	scratch_load_b32 v1, off, off offset:72 ; 4-byte Folded Reload
	v_pk_mul_f16 v0, v220, v0
	s_waitcnt vmcnt(0)
	ds_store_b32 v1, v0
.LBB9_220:                              ;   in Loop: Header=BB9_15 Depth=1
	s_or_b32 exec_lo, exec_lo, s3
	scratch_load_b32 v0, off, off offset:116 ; 4-byte Folded Reload
	s_waitcnt vmcnt(0)
	v_add_nc_u32_e32 v9, s2, v0
	s_delay_alu instid0(VALU_DEP_1) | instskip(NEXT) | instid1(VALU_DEP_1)
	v_cmp_gt_i32_e64 s1, s44, v9
	s_and_b32 s63, s1, vcc_lo
	s_delay_alu instid0(SALU_CYCLE_1) | instskip(NEXT) | instid1(SALU_CYCLE_1)
	s_xor_b32 s1, s63, -1
	s_and_saveexec_b32 s3, s1
	s_delay_alu instid0(SALU_CYCLE_1)
	s_xor_b32 s1, exec_lo, s3
	s_cbranch_execz .LBB9_222
; %bb.221:                              ;   in Loop: Header=BB9_15 Depth=1
	ds_store_b32 v186, v218
.LBB9_222:                              ;   in Loop: Header=BB9_15 Depth=1
	s_and_not1_saveexec_b32 s3, s1
	s_cbranch_execz .LBB9_224
; %bb.223:                              ;   in Loop: Header=BB9_15 Depth=1
	v_mad_u64_u32 v[0:1], null, v9, s65, v[249:250]
	s_delay_alu instid0(VALU_DEP_1) | instskip(NEXT) | instid1(VALU_DEP_1)
	v_ashrrev_i32_e32 v1, 31, v0
	v_lshlrev_b64 v[0:1], 3, v[0:1]
	s_delay_alu instid0(VALU_DEP_1) | instskip(NEXT) | instid1(VALU_DEP_1)
	v_add_co_u32 v0, s1, s69, v0
	v_add_co_ci_u32_e64 v1, s1, s58, v1, s1
	global_load_b64 v[0:1], v[0:1], off
	s_waitcnt vmcnt(0)
	v_cvt_f16_f32_e32 v0, v0
	v_cvt_f16_f32_e32 v1, v1
	s_delay_alu instid0(VALU_DEP_1) | instskip(NEXT) | instid1(VALU_DEP_1)
	v_pack_b32_f16 v0, v0, v1
	v_pk_mul_f16 v0, v220, v0
	ds_store_b32 v186, v0
.LBB9_224:                              ;   in Loop: Header=BB9_15 Depth=1
	s_or_b32 exec_lo, exec_lo, s3
	scratch_load_b32 v0, off, off offset:120 ; 4-byte Folded Reload
	s_waitcnt vmcnt(0)
	v_add_nc_u32_e32 v8, s2, v0
	s_delay_alu instid0(VALU_DEP_1) | instskip(NEXT) | instid1(VALU_DEP_1)
	v_cmp_gt_i32_e64 s1, s44, v8
	s_and_b32 s62, s1, vcc_lo
	s_delay_alu instid0(SALU_CYCLE_1) | instskip(NEXT) | instid1(SALU_CYCLE_1)
	s_xor_b32 s1, s62, -1
	s_and_saveexec_b32 s3, s1
	s_delay_alu instid0(SALU_CYCLE_1)
	s_xor_b32 s1, exec_lo, s3
	s_cbranch_execz .LBB9_226
; %bb.225:                              ;   in Loop: Header=BB9_15 Depth=1
	ds_store_b32 v186, v218 offset:704
.LBB9_226:                              ;   in Loop: Header=BB9_15 Depth=1
	s_and_not1_saveexec_b32 s3, s1
	s_cbranch_execz .LBB9_228
; %bb.227:                              ;   in Loop: Header=BB9_15 Depth=1
	v_mad_u64_u32 v[0:1], null, v8, s65, v[249:250]
	s_delay_alu instid0(VALU_DEP_1) | instskip(NEXT) | instid1(VALU_DEP_1)
	v_ashrrev_i32_e32 v1, 31, v0
	v_lshlrev_b64 v[0:1], 3, v[0:1]
	s_delay_alu instid0(VALU_DEP_1) | instskip(NEXT) | instid1(VALU_DEP_1)
	v_add_co_u32 v0, s1, s69, v0
	v_add_co_ci_u32_e64 v1, s1, s58, v1, s1
	global_load_b64 v[0:1], v[0:1], off
	s_waitcnt vmcnt(0)
	v_cvt_f16_f32_e32 v0, v0
	v_cvt_f16_f32_e32 v1, v1
	s_delay_alu instid0(VALU_DEP_1) | instskip(NEXT) | instid1(VALU_DEP_1)
	v_pack_b32_f16 v0, v0, v1
	v_pk_mul_f16 v0, v220, v0
	ds_store_b32 v186, v0 offset:704
.LBB9_228:                              ;   in Loop: Header=BB9_15 Depth=1
	s_or_b32 exec_lo, exec_lo, s3
	scratch_load_b32 v0, off, off offset:124 ; 4-byte Folded Reload
	s_waitcnt vmcnt(0)
	v_add_nc_u32_e32 v7, s2, v0
	s_delay_alu instid0(VALU_DEP_1) | instskip(NEXT) | instid1(VALU_DEP_1)
	v_cmp_gt_i32_e64 s1, s44, v7
	s_and_b32 s99, s1, vcc_lo
	s_delay_alu instid0(SALU_CYCLE_1) | instskip(NEXT) | instid1(SALU_CYCLE_1)
	s_xor_b32 s1, s99, -1
	s_and_saveexec_b32 s3, s1
	s_delay_alu instid0(SALU_CYCLE_1)
	s_xor_b32 s1, exec_lo, s3
	s_cbranch_execz .LBB9_230
; %bb.229:                              ;   in Loop: Header=BB9_15 Depth=1
	ds_store_b32 v186, v218 offset:1408
.LBB9_230:                              ;   in Loop: Header=BB9_15 Depth=1
	s_and_not1_saveexec_b32 s3, s1
	s_cbranch_execz .LBB9_232
; %bb.231:                              ;   in Loop: Header=BB9_15 Depth=1
	v_mad_u64_u32 v[0:1], null, v7, s65, v[249:250]
	s_delay_alu instid0(VALU_DEP_1) | instskip(NEXT) | instid1(VALU_DEP_1)
	v_ashrrev_i32_e32 v1, 31, v0
	v_lshlrev_b64 v[0:1], 3, v[0:1]
	s_delay_alu instid0(VALU_DEP_1) | instskip(NEXT) | instid1(VALU_DEP_1)
	v_add_co_u32 v0, s1, s69, v0
	v_add_co_ci_u32_e64 v1, s1, s58, v1, s1
	global_load_b64 v[0:1], v[0:1], off
	s_waitcnt vmcnt(0)
	v_cvt_f16_f32_e32 v0, v0
	v_cvt_f16_f32_e32 v1, v1
	s_delay_alu instid0(VALU_DEP_1) | instskip(NEXT) | instid1(VALU_DEP_1)
	v_pack_b32_f16 v0, v0, v1
	v_pk_mul_f16 v0, v220, v0
	ds_store_b32 v186, v0 offset:1408
.LBB9_232:                              ;   in Loop: Header=BB9_15 Depth=1
	s_or_b32 exec_lo, exec_lo, s3
	scratch_load_b32 v0, off, off offset:128 ; 4-byte Folded Reload
	s_waitcnt vmcnt(0)
	v_add_nc_u32_e32 v6, s2, v0
	s_delay_alu instid0(VALU_DEP_1) | instskip(NEXT) | instid1(VALU_DEP_1)
	v_cmp_gt_i32_e64 s1, s44, v6
	s_and_b32 s95, s1, vcc_lo
	s_delay_alu instid0(SALU_CYCLE_1) | instskip(NEXT) | instid1(SALU_CYCLE_1)
	s_xor_b32 s1, s95, -1
	s_and_saveexec_b32 s3, s1
	s_delay_alu instid0(SALU_CYCLE_1)
	s_xor_b32 s1, exec_lo, s3
	s_cbranch_execz .LBB9_234
; %bb.233:                              ;   in Loop: Header=BB9_15 Depth=1
	ds_store_b32 v186, v218 offset:2112
.LBB9_234:                              ;   in Loop: Header=BB9_15 Depth=1
	s_and_not1_saveexec_b32 s3, s1
	s_cbranch_execz .LBB9_236
; %bb.235:                              ;   in Loop: Header=BB9_15 Depth=1
	v_mad_u64_u32 v[0:1], null, v6, s65, v[249:250]
	s_delay_alu instid0(VALU_DEP_1) | instskip(NEXT) | instid1(VALU_DEP_1)
	v_ashrrev_i32_e32 v1, 31, v0
	v_lshlrev_b64 v[0:1], 3, v[0:1]
	s_delay_alu instid0(VALU_DEP_1) | instskip(NEXT) | instid1(VALU_DEP_1)
	v_add_co_u32 v0, s1, s69, v0
	v_add_co_ci_u32_e64 v1, s1, s58, v1, s1
	global_load_b64 v[0:1], v[0:1], off
	s_waitcnt vmcnt(0)
	v_cvt_f16_f32_e32 v0, v0
	v_cvt_f16_f32_e32 v1, v1
	s_delay_alu instid0(VALU_DEP_1) | instskip(NEXT) | instid1(VALU_DEP_1)
	v_pack_b32_f16 v0, v0, v1
	v_pk_mul_f16 v0, v220, v0
	ds_store_b32 v186, v0 offset:2112
.LBB9_236:                              ;   in Loop: Header=BB9_15 Depth=1
	s_or_b32 exec_lo, exec_lo, s3
	scratch_load_b32 v0, off, off offset:132 ; 4-byte Folded Reload
	s_waitcnt vmcnt(0)
	v_add_nc_u32_e32 v5, s2, v0
	s_delay_alu instid0(VALU_DEP_1) | instskip(NEXT) | instid1(VALU_DEP_1)
	v_cmp_gt_i32_e64 s1, s44, v5
	s_and_b32 s90, s1, vcc_lo
	s_delay_alu instid0(SALU_CYCLE_1) | instskip(NEXT) | instid1(SALU_CYCLE_1)
	s_xor_b32 s1, s90, -1
	s_and_saveexec_b32 s3, s1
	s_delay_alu instid0(SALU_CYCLE_1)
	s_xor_b32 s1, exec_lo, s3
	s_cbranch_execz .LBB9_238
; %bb.237:                              ;   in Loop: Header=BB9_15 Depth=1
	ds_store_b32 v186, v218 offset:2816
.LBB9_238:                              ;   in Loop: Header=BB9_15 Depth=1
	s_and_not1_saveexec_b32 s3, s1
	s_cbranch_execz .LBB9_240
; %bb.239:                              ;   in Loop: Header=BB9_15 Depth=1
	v_mad_u64_u32 v[0:1], null, v5, s65, v[249:250]
	s_delay_alu instid0(VALU_DEP_1) | instskip(NEXT) | instid1(VALU_DEP_1)
	v_ashrrev_i32_e32 v1, 31, v0
	v_lshlrev_b64 v[0:1], 3, v[0:1]
	s_delay_alu instid0(VALU_DEP_1) | instskip(NEXT) | instid1(VALU_DEP_1)
	v_add_co_u32 v0, s1, s69, v0
	v_add_co_ci_u32_e64 v1, s1, s58, v1, s1
	global_load_b64 v[0:1], v[0:1], off
	s_waitcnt vmcnt(0)
	v_cvt_f16_f32_e32 v0, v0
	v_cvt_f16_f32_e32 v1, v1
	s_delay_alu instid0(VALU_DEP_1) | instskip(NEXT) | instid1(VALU_DEP_1)
	v_pack_b32_f16 v0, v0, v1
	v_pk_mul_f16 v0, v220, v0
	ds_store_b32 v186, v0 offset:2816
.LBB9_240:                              ;   in Loop: Header=BB9_15 Depth=1
	s_or_b32 exec_lo, exec_lo, s3
	scratch_load_b32 v0, off, off offset:136 ; 4-byte Folded Reload
	s_waitcnt vmcnt(0)
	v_add_nc_u32_e32 v4, s2, v0
	s_delay_alu instid0(VALU_DEP_1) | instskip(NEXT) | instid1(VALU_DEP_1)
	v_cmp_gt_i32_e64 s1, s44, v4
	s_and_b32 s67, s1, vcc_lo
	s_delay_alu instid0(SALU_CYCLE_1) | instskip(NEXT) | instid1(SALU_CYCLE_1)
	s_xor_b32 s1, s67, -1
	s_and_saveexec_b32 s3, s1
	s_delay_alu instid0(SALU_CYCLE_1)
	s_xor_b32 s1, exec_lo, s3
	s_cbranch_execz .LBB9_242
; %bb.241:                              ;   in Loop: Header=BB9_15 Depth=1
	ds_store_b32 v186, v218 offset:3520
.LBB9_242:                              ;   in Loop: Header=BB9_15 Depth=1
	s_and_not1_saveexec_b32 s3, s1
	s_cbranch_execz .LBB9_244
; %bb.243:                              ;   in Loop: Header=BB9_15 Depth=1
	v_mad_u64_u32 v[0:1], null, v4, s65, v[249:250]
	s_delay_alu instid0(VALU_DEP_1) | instskip(NEXT) | instid1(VALU_DEP_1)
	v_ashrrev_i32_e32 v1, 31, v0
	v_lshlrev_b64 v[0:1], 3, v[0:1]
	s_delay_alu instid0(VALU_DEP_1) | instskip(NEXT) | instid1(VALU_DEP_1)
	v_add_co_u32 v0, s1, s69, v0
	v_add_co_ci_u32_e64 v1, s1, s58, v1, s1
	global_load_b64 v[0:1], v[0:1], off
	s_waitcnt vmcnt(0)
	v_cvt_f16_f32_e32 v0, v0
	v_cvt_f16_f32_e32 v1, v1
	s_delay_alu instid0(VALU_DEP_1) | instskip(NEXT) | instid1(VALU_DEP_1)
	v_pack_b32_f16 v0, v0, v1
	v_pk_mul_f16 v0, v220, v0
	ds_store_b32 v186, v0 offset:3520
.LBB9_244:                              ;   in Loop: Header=BB9_15 Depth=1
	s_or_b32 exec_lo, exec_lo, s3
	scratch_load_b32 v0, off, off offset:140 ; 4-byte Folded Reload
	s_waitcnt vmcnt(0)
	v_add_nc_u32_e32 v3, s2, v0
	s_delay_alu instid0(VALU_DEP_1) | instskip(NEXT) | instid1(VALU_DEP_1)
	v_cmp_gt_i32_e64 s1, s44, v3
	s_and_b32 s82, s1, vcc_lo
	s_delay_alu instid0(SALU_CYCLE_1) | instskip(NEXT) | instid1(SALU_CYCLE_1)
	s_xor_b32 s1, s82, -1
	s_and_saveexec_b32 s3, s1
	s_delay_alu instid0(SALU_CYCLE_1)
	s_xor_b32 s1, exec_lo, s3
	s_cbranch_execz .LBB9_246
; %bb.245:                              ;   in Loop: Header=BB9_15 Depth=1
	ds_store_b32 v186, v218 offset:4224
.LBB9_246:                              ;   in Loop: Header=BB9_15 Depth=1
	s_and_not1_saveexec_b32 s3, s1
	s_cbranch_execz .LBB9_248
; %bb.247:                              ;   in Loop: Header=BB9_15 Depth=1
	v_mad_u64_u32 v[0:1], null, v3, s65, v[249:250]
	s_delay_alu instid0(VALU_DEP_1) | instskip(NEXT) | instid1(VALU_DEP_1)
	v_ashrrev_i32_e32 v1, 31, v0
	v_lshlrev_b64 v[0:1], 3, v[0:1]
	s_delay_alu instid0(VALU_DEP_1) | instskip(NEXT) | instid1(VALU_DEP_1)
	v_add_co_u32 v0, s1, s69, v0
	v_add_co_ci_u32_e64 v1, s1, s58, v1, s1
	global_load_b64 v[0:1], v[0:1], off
	s_waitcnt vmcnt(0)
	v_cvt_f16_f32_e32 v0, v0
	v_cvt_f16_f32_e32 v1, v1
	s_delay_alu instid0(VALU_DEP_1) | instskip(NEXT) | instid1(VALU_DEP_1)
	v_pack_b32_f16 v0, v0, v1
	v_pk_mul_f16 v0, v220, v0
	ds_store_b32 v186, v0 offset:4224
.LBB9_248:                              ;   in Loop: Header=BB9_15 Depth=1
	s_or_b32 exec_lo, exec_lo, s3
	scratch_load_b32 v0, off, off offset:144 ; 4-byte Folded Reload
	s_waitcnt vmcnt(0)
	v_add_nc_u32_e32 v2, s2, v0
	s_delay_alu instid0(VALU_DEP_1) | instskip(NEXT) | instid1(VALU_DEP_1)
	v_cmp_gt_i32_e64 s1, s44, v2
	s_and_b32 s85, s1, vcc_lo
	s_delay_alu instid0(SALU_CYCLE_1) | instskip(NEXT) | instid1(SALU_CYCLE_1)
	s_xor_b32 s1, s85, -1
	s_and_saveexec_b32 s3, s1
	s_delay_alu instid0(SALU_CYCLE_1)
	s_xor_b32 s1, exec_lo, s3
	s_cbranch_execz .LBB9_250
; %bb.249:                              ;   in Loop: Header=BB9_15 Depth=1
	ds_store_b32 v186, v218 offset:4928
.LBB9_250:                              ;   in Loop: Header=BB9_15 Depth=1
	s_and_not1_saveexec_b32 s3, s1
	s_cbranch_execz .LBB9_252
; %bb.251:                              ;   in Loop: Header=BB9_15 Depth=1
	v_mad_u64_u32 v[0:1], null, v2, s65, v[249:250]
	s_delay_alu instid0(VALU_DEP_1) | instskip(NEXT) | instid1(VALU_DEP_1)
	v_ashrrev_i32_e32 v1, 31, v0
	v_lshlrev_b64 v[0:1], 3, v[0:1]
	s_delay_alu instid0(VALU_DEP_1) | instskip(NEXT) | instid1(VALU_DEP_1)
	v_add_co_u32 v0, s1, s69, v0
	v_add_co_ci_u32_e64 v1, s1, s58, v1, s1
	global_load_b64 v[0:1], v[0:1], off
	s_waitcnt vmcnt(0)
	v_cvt_f16_f32_e32 v0, v0
	v_cvt_f16_f32_e32 v1, v1
	s_delay_alu instid0(VALU_DEP_1) | instskip(NEXT) | instid1(VALU_DEP_1)
	v_pack_b32_f16 v0, v0, v1
	v_pk_mul_f16 v0, v220, v0
	ds_store_b32 v186, v0 offset:4928
.LBB9_252:                              ;   in Loop: Header=BB9_15 Depth=1
	s_or_b32 exec_lo, exec_lo, s3
	scratch_load_b32 v0, off, off offset:148 ; 4-byte Folded Reload
	s_waitcnt vmcnt(0)
	v_add_nc_u32_e32 v176, s2, v0
	s_delay_alu instid0(VALU_DEP_1) | instskip(NEXT) | instid1(VALU_DEP_1)
	v_cmp_gt_i32_e64 s1, s44, v176
	s_and_b32 s84, s1, vcc_lo
	s_delay_alu instid0(SALU_CYCLE_1) | instskip(NEXT) | instid1(SALU_CYCLE_1)
	s_xor_b32 s1, s84, -1
	s_and_saveexec_b32 s3, s1
	s_delay_alu instid0(SALU_CYCLE_1)
	s_xor_b32 s1, exec_lo, s3
	s_cbranch_execz .LBB9_254
; %bb.253:                              ;   in Loop: Header=BB9_15 Depth=1
	ds_store_b32 v186, v218 offset:5632
.LBB9_254:                              ;   in Loop: Header=BB9_15 Depth=1
	s_and_not1_saveexec_b32 s3, s1
	s_cbranch_execz .LBB9_256
; %bb.255:                              ;   in Loop: Header=BB9_15 Depth=1
	v_mad_u64_u32 v[0:1], null, v176, s65, v[249:250]
	s_delay_alu instid0(VALU_DEP_1) | instskip(NEXT) | instid1(VALU_DEP_1)
	v_ashrrev_i32_e32 v1, 31, v0
	v_lshlrev_b64 v[0:1], 3, v[0:1]
	s_delay_alu instid0(VALU_DEP_1) | instskip(NEXT) | instid1(VALU_DEP_1)
	v_add_co_u32 v0, s1, s69, v0
	v_add_co_ci_u32_e64 v1, s1, s58, v1, s1
	global_load_b64 v[0:1], v[0:1], off
	s_waitcnt vmcnt(0)
	v_cvt_f16_f32_e32 v0, v0
	v_cvt_f16_f32_e32 v1, v1
	s_delay_alu instid0(VALU_DEP_1) | instskip(NEXT) | instid1(VALU_DEP_1)
	v_pack_b32_f16 v0, v0, v1
	v_pk_mul_f16 v0, v220, v0
	ds_store_b32 v186, v0 offset:5632
.LBB9_256:                              ;   in Loop: Header=BB9_15 Depth=1
	s_or_b32 exec_lo, exec_lo, s3
	scratch_load_b32 v0, off, off offset:152 ; 4-byte Folded Reload
	s_waitcnt vmcnt(0)
	v_add_nc_u32_e32 v177, s2, v0
	s_delay_alu instid0(VALU_DEP_1) | instskip(NEXT) | instid1(VALU_DEP_1)
	v_cmp_gt_i32_e64 s1, s44, v177
	s_and_b32 s83, s1, vcc_lo
	s_delay_alu instid0(SALU_CYCLE_1) | instskip(NEXT) | instid1(SALU_CYCLE_1)
	s_xor_b32 s1, s83, -1
	s_and_saveexec_b32 s3, s1
	s_delay_alu instid0(SALU_CYCLE_1)
	s_xor_b32 s1, exec_lo, s3
	s_cbranch_execz .LBB9_258
; %bb.257:                              ;   in Loop: Header=BB9_15 Depth=1
	ds_store_b32 v186, v218 offset:6336
.LBB9_258:                              ;   in Loop: Header=BB9_15 Depth=1
	s_and_not1_saveexec_b32 s3, s1
	s_cbranch_execz .LBB9_260
; %bb.259:                              ;   in Loop: Header=BB9_15 Depth=1
	v_mad_u64_u32 v[0:1], null, v177, s65, v[249:250]
	s_delay_alu instid0(VALU_DEP_1) | instskip(NEXT) | instid1(VALU_DEP_1)
	v_ashrrev_i32_e32 v1, 31, v0
	v_lshlrev_b64 v[0:1], 3, v[0:1]
	s_delay_alu instid0(VALU_DEP_1) | instskip(NEXT) | instid1(VALU_DEP_1)
	v_add_co_u32 v0, s1, s69, v0
	v_add_co_ci_u32_e64 v1, s1, s58, v1, s1
	global_load_b64 v[0:1], v[0:1], off
	s_waitcnt vmcnt(0)
	v_cvt_f16_f32_e32 v0, v0
	v_cvt_f16_f32_e32 v1, v1
	s_delay_alu instid0(VALU_DEP_1) | instskip(NEXT) | instid1(VALU_DEP_1)
	v_pack_b32_f16 v0, v0, v1
	v_pk_mul_f16 v0, v220, v0
	ds_store_b32 v186, v0 offset:6336
.LBB9_260:                              ;   in Loop: Header=BB9_15 Depth=1
	s_or_b32 exec_lo, exec_lo, s3
	scratch_load_b32 v0, off, off offset:156 ; 4-byte Folded Reload
	s_waitcnt vmcnt(0)
	v_add_nc_u32_e32 v180, s2, v0
	s_delay_alu instid0(VALU_DEP_1) | instskip(NEXT) | instid1(VALU_DEP_1)
	v_cmp_gt_i32_e64 s1, s44, v180
	s_and_b32 s13, s1, vcc_lo
	s_delay_alu instid0(SALU_CYCLE_1) | instskip(NEXT) | instid1(SALU_CYCLE_1)
	s_xor_b32 s1, s13, -1
	s_and_saveexec_b32 s3, s1
	s_delay_alu instid0(SALU_CYCLE_1)
	s_xor_b32 s1, exec_lo, s3
	s_cbranch_execz .LBB9_262
; %bb.261:                              ;   in Loop: Header=BB9_15 Depth=1
	ds_store_b32 v186, v218 offset:7040
.LBB9_262:                              ;   in Loop: Header=BB9_15 Depth=1
	s_and_not1_saveexec_b32 s3, s1
	s_cbranch_execz .LBB9_264
; %bb.263:                              ;   in Loop: Header=BB9_15 Depth=1
	v_mad_u64_u32 v[0:1], null, v180, s65, v[249:250]
	s_delay_alu instid0(VALU_DEP_1) | instskip(NEXT) | instid1(VALU_DEP_1)
	v_ashrrev_i32_e32 v1, 31, v0
	v_lshlrev_b64 v[0:1], 3, v[0:1]
	s_delay_alu instid0(VALU_DEP_1) | instskip(NEXT) | instid1(VALU_DEP_1)
	v_add_co_u32 v0, s1, s69, v0
	v_add_co_ci_u32_e64 v1, s1, s58, v1, s1
	global_load_b64 v[0:1], v[0:1], off
	s_waitcnt vmcnt(0)
	v_cvt_f16_f32_e32 v0, v0
	v_cvt_f16_f32_e32 v1, v1
	s_delay_alu instid0(VALU_DEP_1) | instskip(NEXT) | instid1(VALU_DEP_1)
	v_pack_b32_f16 v0, v0, v1
	v_pk_mul_f16 v0, v220, v0
	ds_store_b32 v186, v0 offset:7040
.LBB9_264:                              ;   in Loop: Header=BB9_15 Depth=1
	s_or_b32 exec_lo, exec_lo, s3
	scratch_load_b32 v0, off, off offset:160 ; 4-byte Folded Reload
	s_waitcnt vmcnt(0)
	v_add_nc_u32_e32 v178, s2, v0
	s_delay_alu instid0(VALU_DEP_1) | instskip(NEXT) | instid1(VALU_DEP_1)
	v_cmp_gt_i32_e64 s1, s44, v178
	s_and_b32 s50, s1, vcc_lo
	s_delay_alu instid0(SALU_CYCLE_1) | instskip(NEXT) | instid1(SALU_CYCLE_1)
	s_xor_b32 s1, s50, -1
	s_and_saveexec_b32 s3, s1
	s_delay_alu instid0(SALU_CYCLE_1)
	s_xor_b32 s1, exec_lo, s3
	s_cbranch_execz .LBB9_266
; %bb.265:                              ;   in Loop: Header=BB9_15 Depth=1
	ds_store_b32 v186, v218 offset:7744
.LBB9_266:                              ;   in Loop: Header=BB9_15 Depth=1
	s_and_not1_saveexec_b32 s3, s1
	s_cbranch_execz .LBB9_268
; %bb.267:                              ;   in Loop: Header=BB9_15 Depth=1
	v_mad_u64_u32 v[0:1], null, v178, s65, v[249:250]
	s_delay_alu instid0(VALU_DEP_1) | instskip(NEXT) | instid1(VALU_DEP_1)
	v_ashrrev_i32_e32 v1, 31, v0
	v_lshlrev_b64 v[0:1], 3, v[0:1]
	s_delay_alu instid0(VALU_DEP_1) | instskip(NEXT) | instid1(VALU_DEP_1)
	v_add_co_u32 v0, s1, s69, v0
	v_add_co_ci_u32_e64 v1, s1, s58, v1, s1
	global_load_b64 v[0:1], v[0:1], off
	s_waitcnt vmcnt(0)
	v_cvt_f16_f32_e32 v0, v0
	v_cvt_f16_f32_e32 v1, v1
	s_delay_alu instid0(VALU_DEP_1) | instskip(NEXT) | instid1(VALU_DEP_1)
	v_pack_b32_f16 v0, v0, v1
	v_pk_mul_f16 v0, v220, v0
	ds_store_b32 v186, v0 offset:7744
.LBB9_268:                              ;   in Loop: Header=BB9_15 Depth=1
	s_or_b32 exec_lo, exec_lo, s3
	scratch_load_b32 v0, off, off offset:164 ; 4-byte Folded Reload
	s_waitcnt vmcnt(0)
	v_add_nc_u32_e32 v187, s2, v0
	s_delay_alu instid0(VALU_DEP_1) | instskip(NEXT) | instid1(VALU_DEP_1)
	v_cmp_gt_i32_e64 s1, s44, v187
	s_and_b32 s6, s1, vcc_lo
	s_delay_alu instid0(SALU_CYCLE_1) | instskip(NEXT) | instid1(SALU_CYCLE_1)
	s_xor_b32 s1, s6, -1
	s_and_saveexec_b32 s3, s1
	s_delay_alu instid0(SALU_CYCLE_1)
	s_xor_b32 s1, exec_lo, s3
	s_cbranch_execz .LBB9_270
; %bb.269:                              ;   in Loop: Header=BB9_15 Depth=1
	ds_store_b32 v186, v218 offset:8448
.LBB9_270:                              ;   in Loop: Header=BB9_15 Depth=1
	s_and_not1_saveexec_b32 s1, s1
	s_cbranch_execz .LBB9_272
; %bb.271:                              ;   in Loop: Header=BB9_15 Depth=1
	v_mad_u64_u32 v[0:1], null, v187, s65, v[249:250]
	s_delay_alu instid0(VALU_DEP_1) | instskip(NEXT) | instid1(VALU_DEP_1)
	v_ashrrev_i32_e32 v1, 31, v0
	v_lshlrev_b64 v[0:1], 3, v[0:1]
	s_delay_alu instid0(VALU_DEP_1) | instskip(NEXT) | instid1(VALU_DEP_2)
	v_add_co_u32 v0, vcc_lo, s69, v0
	v_add_co_ci_u32_e32 v1, vcc_lo, s58, v1, vcc_lo
	global_load_b64 v[0:1], v[0:1], off
	s_waitcnt vmcnt(0)
	v_cvt_f16_f32_e32 v0, v0
	v_cvt_f16_f32_e32 v1, v1
	s_delay_alu instid0(VALU_DEP_1) | instskip(NEXT) | instid1(VALU_DEP_1)
	v_pack_b32_f16 v0, v0, v1
	v_pk_mul_f16 v0, v220, v0
	ds_store_b32 v186, v0 offset:8448
.LBB9_272:                              ;   in Loop: Header=BB9_15 Depth=1
	s_or_b32 exec_lo, exec_lo, s1
	scratch_load_b32 v0, off, off offset:92 ; 4-byte Folded Reload
	s_waitcnt vmcnt(0)
	v_add_nc_u32_e32 v175, s2, v0
	v_or_b32_e32 v0, s14, v206
	s_delay_alu instid0(VALU_DEP_2) | instskip(NEXT) | instid1(VALU_DEP_2)
	v_cmp_gt_i32_e64 s1, s44, v175
	v_cmp_gt_i32_e32 vcc_lo, s33, v0
	s_delay_alu instid0(VALU_DEP_2) | instskip(NEXT) | instid1(SALU_CYCLE_1)
	s_and_b32 s15, s1, vcc_lo
	s_xor_b32 s1, s15, -1
	s_delay_alu instid0(SALU_CYCLE_1) | instskip(NEXT) | instid1(SALU_CYCLE_1)
	s_and_saveexec_b32 s3, s1
	s_xor_b32 s1, exec_lo, s3
	s_cbranch_execz .LBB9_274
; %bb.273:                              ;   in Loop: Header=BB9_15 Depth=1
	ds_store_b32 v165, v218 offset:128
.LBB9_274:                              ;   in Loop: Header=BB9_15 Depth=1
	s_and_not1_saveexec_b32 s3, s1
	s_cbranch_execz .LBB9_276
; %bb.275:                              ;   in Loop: Header=BB9_15 Depth=1
	v_mad_u64_u32 v[0:1], null, v175, s65, v[207:208]
	s_delay_alu instid0(VALU_DEP_1) | instskip(NEXT) | instid1(VALU_DEP_1)
	v_ashrrev_i32_e32 v1, 31, v0
	v_lshlrev_b64 v[0:1], 3, v[0:1]
	s_delay_alu instid0(VALU_DEP_1) | instskip(NEXT) | instid1(VALU_DEP_1)
	v_add_co_u32 v0, s1, s69, v0
	v_add_co_ci_u32_e64 v1, s1, s58, v1, s1
	global_load_b64 v[0:1], v[0:1], off
	s_waitcnt vmcnt(0)
	v_cvt_f16_f32_e32 v0, v0
	v_cvt_f16_f32_e32 v1, v1
	s_delay_alu instid0(VALU_DEP_1) | instskip(NEXT) | instid1(VALU_DEP_1)
	v_pack_b32_f16 v0, v0, v1
	v_pk_mul_f16 v0, v220, v0
	ds_store_b32 v165, v0 offset:128
.LBB9_276:                              ;   in Loop: Header=BB9_15 Depth=1
	s_or_b32 exec_lo, exec_lo, s3
	scratch_load_b32 v0, off, off offset:96 ; 4-byte Folded Reload
	s_waitcnt vmcnt(0)
	v_add_nc_u32_e32 v174, s2, v0
	s_delay_alu instid0(VALU_DEP_1) | instskip(NEXT) | instid1(VALU_DEP_1)
	v_cmp_gt_i32_e64 s1, s44, v174
	s_and_b32 s14, s1, vcc_lo
	s_delay_alu instid0(SALU_CYCLE_1) | instskip(NEXT) | instid1(SALU_CYCLE_1)
	s_xor_b32 s1, s14, -1
	s_and_saveexec_b32 s3, s1
	s_delay_alu instid0(SALU_CYCLE_1)
	s_xor_b32 s1, exec_lo, s3
	s_cbranch_execz .LBB9_278
; %bb.277:                              ;   in Loop: Header=BB9_15 Depth=1
	ds_store_b32 v166, v218 offset:128
.LBB9_278:                              ;   in Loop: Header=BB9_15 Depth=1
	s_and_not1_saveexec_b32 s3, s1
	s_cbranch_execz .LBB9_280
; %bb.279:                              ;   in Loop: Header=BB9_15 Depth=1
	v_mad_u64_u32 v[0:1], null, v174, s65, v[207:208]
	s_delay_alu instid0(VALU_DEP_1) | instskip(NEXT) | instid1(VALU_DEP_1)
	v_ashrrev_i32_e32 v1, 31, v0
	v_lshlrev_b64 v[0:1], 3, v[0:1]
	s_delay_alu instid0(VALU_DEP_1) | instskip(NEXT) | instid1(VALU_DEP_1)
	v_add_co_u32 v0, s1, s69, v0
	v_add_co_ci_u32_e64 v1, s1, s58, v1, s1
	global_load_b64 v[0:1], v[0:1], off
	s_waitcnt vmcnt(0)
	v_cvt_f16_f32_e32 v0, v0
	v_cvt_f16_f32_e32 v1, v1
	s_delay_alu instid0(VALU_DEP_1) | instskip(NEXT) | instid1(VALU_DEP_1)
	v_pack_b32_f16 v0, v0, v1
	v_pk_mul_f16 v0, v220, v0
	ds_store_b32 v166, v0 offset:128
.LBB9_280:                              ;   in Loop: Header=BB9_15 Depth=1
	s_or_b32 exec_lo, exec_lo, s3
	scratch_load_b32 v0, off, off offset:100 ; 4-byte Folded Reload
	s_waitcnt vmcnt(0)
	v_add_nc_u32_e32 v173, s2, v0
	s_delay_alu instid0(VALU_DEP_1) | instskip(NEXT) | instid1(VALU_DEP_1)
	v_cmp_gt_i32_e64 s1, s44, v173
	s_and_b32 s35, s1, vcc_lo
	s_delay_alu instid0(SALU_CYCLE_1) | instskip(NEXT) | instid1(SALU_CYCLE_1)
	s_xor_b32 s1, s35, -1
	s_and_saveexec_b32 s3, s1
	s_delay_alu instid0(SALU_CYCLE_1)
	;; [unrolled: 35-line block ×3, first 2 shown]
	s_xor_b32 s1, exec_lo, s3
	s_cbranch_execz .LBB9_286
; %bb.285:                              ;   in Loop: Header=BB9_15 Depth=1
	ds_store_b32 v166, v218 offset:5760
.LBB9_286:                              ;   in Loop: Header=BB9_15 Depth=1
	s_and_not1_saveexec_b32 s1, s1
	s_cbranch_execz .LBB9_288
; %bb.287:                              ;   in Loop: Header=BB9_15 Depth=1
	v_mad_u64_u32 v[0:1], null, v172, s65, v[207:208]
	s_delay_alu instid0(VALU_DEP_1) | instskip(NEXT) | instid1(VALU_DEP_1)
	v_ashrrev_i32_e32 v1, 31, v0
	v_lshlrev_b64 v[0:1], 3, v[0:1]
	s_delay_alu instid0(VALU_DEP_1) | instskip(NEXT) | instid1(VALU_DEP_2)
	v_add_co_u32 v0, vcc_lo, s69, v0
	v_add_co_ci_u32_e32 v1, vcc_lo, s58, v1, vcc_lo
	global_load_b64 v[0:1], v[0:1], off
	s_waitcnt vmcnt(0)
	v_cvt_f16_f32_e32 v0, v0
	v_cvt_f16_f32_e32 v1, v1
	s_delay_alu instid0(VALU_DEP_1) | instskip(NEXT) | instid1(VALU_DEP_1)
	v_pack_b32_f16 v0, v0, v1
	v_pk_mul_f16 v0, v220, v0
	ds_store_b32 v166, v0 offset:5760
.LBB9_288:                              ;   in Loop: Header=BB9_15 Depth=1
	s_or_b32 exec_lo, exec_lo, s1
	scratch_load_b32 v0, off, off offset:88 ; 4-byte Folded Reload
	s_waitcnt vmcnt(0) lgkmcnt(0)
	s_waitcnt_vscnt null, 0x0
	s_barrier
	buffer_gl0_inv
	s_cmp_gt_i32 s8, 1
	v_add_nc_u32_e32 v0, v254, v0
	ds_load_b128 v[72:75], v0
	ds_load_b128 v[76:79], v0 offset:16
	ds_load_b128 v[64:67], v0 offset:32
	ds_load_b128 v[68:71], v0 offset:48
	ds_load_b128 v[40:43], v0 offset:64
	ds_load_b128 v[44:47], v0 offset:80
	ds_load_b128 v[48:51], v0 offset:96
	ds_load_b128 v[52:55], v0 offset:112
	ds_load_b128 v[56:59], v0 offset:128
	ds_load_b128 v[60:63], v0 offset:144
	s_waitcnt lgkmcnt(0)
	s_barrier
	buffer_gl0_inv
	s_clause 0xb
	scratch_store_b32 off, v2, off offset:288
	scratch_store_b32 off, v3, off offset:284
	;; [unrolled: 1-line block ×12, first 2 shown]
	s_cbranch_scc1 .LBB9_290
; %bb.289:                              ;   in Loop: Header=BB9_15 Depth=1
	v_add_nc_u32_e32 v0, s2, v201
	v_dual_mov_b32 v118, 32 :: v_dual_add_nc_u32 v1, s2, v190
	v_add_nc_u32_e32 v2, s2, v202
	v_add_nc_u32_e32 v3, s2, v196
	s_delay_alu instid0(VALU_DEP_4) | instskip(NEXT) | instid1(VALU_DEP_4)
	v_mul_hi_u32 v4, s54, v0
	v_mul_hi_u32 v5, s54, v1
	s_mov_b32 s58, 0
	v_mul_hi_u32 v6, s54, v2
	v_mul_hi_u32 v7, s54, v3
	s_mov_b32 s1, 0xfeffffff
	s_delay_alu instid0(VALU_DEP_4) | instskip(NEXT) | instid1(VALU_DEP_4)
	v_add_nc_u32_e32 v4, v0, v4
	v_add_nc_u32_e32 v5, v1, v5
	s_delay_alu instid0(VALU_DEP_4) | instskip(NEXT) | instid1(VALU_DEP_4)
	v_add_nc_u32_e32 v6, v2, v6
	v_add_nc_u32_e32 v7, v3, v7
	s_delay_alu instid0(VALU_DEP_4) | instskip(NEXT) | instid1(VALU_DEP_4)
	v_lshrrev_b32_e32 v4, s55, v4
	v_lshrrev_b32_e32 v5, s55, v5
	s_delay_alu instid0(VALU_DEP_4) | instskip(NEXT) | instid1(VALU_DEP_4)
	v_lshrrev_b32_e32 v6, s55, v6
	v_lshrrev_b32_e32 v7, s55, v7
	s_delay_alu instid0(VALU_DEP_4) | instskip(NEXT) | instid1(VALU_DEP_4)
	v_mul_lo_u32 v4, v4, s44
	v_mul_lo_u32 v5, v5, s44
	s_delay_alu instid0(VALU_DEP_4) | instskip(NEXT) | instid1(VALU_DEP_4)
	v_mul_lo_u32 v6, v6, s44
	v_mul_lo_u32 v7, v7, s44
	s_delay_alu instid0(VALU_DEP_4) | instskip(NEXT) | instid1(VALU_DEP_4)
	v_sub_nc_u32_e32 v0, v0, v4
	v_sub_nc_u32_e32 v1, v1, v5
	s_delay_alu instid0(VALU_DEP_4) | instskip(NEXT) | instid1(VALU_DEP_4)
	v_sub_nc_u32_e32 v2, v2, v6
	v_sub_nc_u32_e32 v3, v3, v7
	s_delay_alu instid0(VALU_DEP_4)
	v_mad_i64_i32 v[128:129], null, v0, s56, 0
	scratch_load_b32 v0, off, off offset:64 ; 4-byte Folded Reload
	v_mad_i64_i32 v[249:250], null, v1, s56, 0
	v_mad_i64_i32 v[245:246], null, v2, s56, 0
	;; [unrolled: 1-line block ×3, first 2 shown]
	s_waitcnt vmcnt(0)
	v_xor_b32_e32 v117, 16, v0
	s_branch .LBB9_291
.LBB9_290:                              ;   in Loop: Header=BB9_15 Depth=1
	s_mov_b32 s58, -1
                                        ; implicit-def: $sgpr1
                                        ; implicit-def: $vgpr128_vgpr129
                                        ; implicit-def: $vgpr249_vgpr250
                                        ; implicit-def: $vgpr245_vgpr246
                                        ; implicit-def: $vgpr177_vgpr178
                                        ; implicit-def: $vgpr117
                                        ; implicit-def: $vgpr118
.LBB9_291:                              ;   in Loop: Header=BB9_15 Depth=1
	s_delay_alu instid0(SALU_CYCLE_1)
	v_dual_mov_b32 v7, s58 :: v_dual_mov_b32 v6, s58
	v_dual_mov_b32 v5, s58 :: v_dual_mov_b32 v4, s58
	;; [unrolled: 1-line block ×21, first 2 shown]
	s_and_not1_b32 vcc_lo, exec_lo, s58
	s_cbranch_vccnz .LBB9_295
; %bb.292:                              ;   in Loop: Header=BB9_15 Depth=1
	v_dual_mov_b32 v147, 0 :: v_dual_add_nc_u32 v0, s2, v201
	scratch_load_b32 v8, off, off offset:64 ; 4-byte Folded Reload
	v_writelane_b32 v255, s6, 30
	s_add_i32 s58, s8, -1
	v_mul_hi_u32 v4, s54, v0
	v_dual_mov_b32 v25, v147 :: v_dual_add_nc_u32 v2, s2, v202
	v_dual_mov_b32 v24, 0 :: v_dual_add_nc_u32 v3, s2, v196
	v_mov_b32_e32 v30, v147
	s_delay_alu instid0(VALU_DEP_3) | instskip(SKIP_4) | instid1(VALU_DEP_3)
	v_mul_hi_u32 v6, s54, v2
	v_dual_mov_b32 v31, v147 :: v_dual_mov_b32 v16, 0
	v_dual_mov_b32 v27, v147 :: v_dual_add_nc_u32 v4, v0, v4
	v_mul_hi_u32 v7, s54, v3
	v_dual_mov_b32 v29, v147 :: v_dual_mov_b32 v32, 0
	v_lshrrev_b32_e32 v4, s55, v4
	v_dual_mov_b32 v33, v147 :: v_dual_add_nc_u32 v6, v2, v6
	v_mov_b32_e32 v34, v147
	v_mov_b32_e32 v35, v147
	s_delay_alu instid0(VALU_DEP_4) | instskip(SKIP_4) | instid1(VALU_DEP_4)
	v_mul_lo_u32 v4, v4, s44
	v_add_nc_u32_e32 v7, v3, v7
	v_lshrrev_b32_e32 v6, s55, v6
	v_mov_b32_e32 v36, v147
	v_dual_mov_b32 v37, v147 :: v_dual_mov_b32 v118, 32
	v_lshrrev_b32_e32 v7, s55, v7
	s_delay_alu instid0(VALU_DEP_4)
	v_mul_lo_u32 v6, v6, s44
	v_sub_nc_u32_e32 v80, v0, v4
	scratch_load_b32 v0, off, off offset:408 ; 4-byte Folded Reload
	v_add_nc_u32_e32 v1, s2, v190
	s_add_u32 s2, s22, s96
	s_addc_u32 s3, s23, s97
	s_add_u32 s1, s100, s72
	s_addc_u32 s4, s98, s101
	s_add_u32 s5, s9, s12
	v_readlane_b32 s8, v255, 26
	v_mad_i64_i32 v[128:129], null, v80, s56, 0
	s_addc_u32 s6, s11, s70
	v_mul_lo_u32 v7, v7, s44
	s_delay_alu instid0(VALU_DEP_3)
	v_mad_i64_i32 v[108:109], null, s8, v80, s[2:3]
	scratch_load_b32 v80, off, off offset:428 ; 4-byte Folded Reload
	v_sub_nc_u32_e32 v82, v2, v6
	v_mov_b32_e32 v38, v147
	v_dual_mov_b32 v39, v147 :: v_dual_mov_b32 v116, 0xfeffffff
	v_sub_nc_u32_e32 v83, v3, v7
	s_delay_alu instid0(VALU_DEP_4) | instskip(SKIP_1) | instid1(VALU_DEP_3)
	v_mad_i64_i32 v[245:246], null, v82, s56, 0
	v_mad_i64_i32 v[112:113], null, s8, v82, s[2:3]
	v_mad_i64_i32 v[177:178], null, v83, s56, 0
	v_mad_i64_i32 v[114:115], null, s8, v83, s[2:3]
	v_mov_b32_e32 v17, v147
	v_mov_b32_e32 v18, v147
	;; [unrolled: 1-line block ×19, first 2 shown]
	s_mov_b32 s69, s58
	v_readlane_b32 s9, v255, 27
	v_mov_b32_e32 v28, v147
	v_mov_b32_e32 v26, v147
	s_waitcnt vmcnt(2)
	v_xor_b32_e32 v117, 16, v8
	s_delay_alu instid0(VALU_DEP_1) | instskip(SKIP_2) | instid1(VALU_DEP_2)
	v_cmp_gt_i32_e32 vcc_lo, 32, v117
	v_cndmask_b32_e32 v8, v8, v117, vcc_lo
	v_mul_hi_u32 v5, s54, v1
	v_dual_mov_b32 v8, 0 :: v_dual_lshlrev_b32 v119, 2, v8
	s_delay_alu instid0(VALU_DEP_2) | instskip(NEXT) | instid1(VALU_DEP_1)
	v_add_nc_u32_e32 v5, v1, v5
	v_lshrrev_b32_e32 v5, s55, v5
	s_delay_alu instid0(VALU_DEP_1)
	v_mul_lo_u32 v5, v5, s44
	s_waitcnt vmcnt(1)
	v_add_co_u32 v104, vcc_lo, v0, s1
	scratch_load_b32 v0, off, off offset:412 ; 4-byte Folded Reload
	v_sub_nc_u32_e32 v81, v1, v5
	v_mov_b32_e32 v1, v147
	v_mov_b32_e32 v5, v147
	s_delay_alu instid0(VALU_DEP_3)
	v_mad_i64_i32 v[249:250], null, v81, s56, 0
	v_mad_i64_i32 v[110:111], null, s8, v81, s[2:3]
	s_waitcnt vmcnt(0)
	v_add_co_ci_u32_e32 v105, vcc_lo, s4, v0, vcc_lo
	scratch_load_b32 v0, off, off offset:416 ; 4-byte Folded Reload
	s_waitcnt vmcnt(0)
	v_add_co_u32 v106, vcc_lo, v0, s5
	scratch_load_b32 v0, off, off offset:420 ; 4-byte Folded Reload
	s_waitcnt vmcnt(0)
	v_add_co_ci_u32_e32 v107, vcc_lo, s6, v0, vcc_lo
	v_add_co_u32 v120, vcc_lo, v80, s1
	scratch_load_b32 v80, off, off offset:432 ; 4-byte Folded Reload
	v_mov_b32_e32 v0, 0
	s_waitcnt vmcnt(0)
	v_add_co_ci_u32_e32 v121, vcc_lo, s4, v80, vcc_lo
	scratch_load_b32 v80, off, off offset:436 ; 4-byte Folded Reload
	s_waitcnt vmcnt(0)
	v_add_co_u32 v122, vcc_lo, v80, s1
	scratch_load_b32 v80, off, off offset:440 ; 4-byte Folded Reload
	s_waitcnt vmcnt(0)
	v_add_co_ci_u32_e32 v123, vcc_lo, s4, v80, vcc_lo
	scratch_load_b32 v80, off, off offset:444 ; 4-byte Folded Reload
	s_waitcnt vmcnt(0)
	v_add_co_u32 v124, vcc_lo, v80, s1
	scratch_load_b32 v80, off, off offset:448 ; 4-byte Folded Reload
	;; [unrolled: 6-line block ×7, first 2 shown]
	s_waitcnt vmcnt(0)
	v_add_co_ci_u32_e32 v155, vcc_lo, s6, v80, vcc_lo
.LBB9_293:                              ;   Parent Loop BB9_15 Depth=1
                                        ; =>  This Inner Loop Header: Depth=2
	v_add_co_u32 v80, vcc_lo, v108, v197
	v_add_co_ci_u32_e32 v81, vcc_lo, 0, v109, vcc_lo
	v_dual_mov_b32 v138, s43 :: v_dual_add_nc_u32 v83, v221, v248
	v_dual_mov_b32 v137, s42 :: v_dual_mov_b32 v132, s37
	global_load_b32 v82, v[80:81], off
	v_add_co_u32 v80, vcc_lo, v110, v197
	v_add_co_ci_u32_e32 v81, vcc_lo, 0, v111, vcc_lo
	v_dual_mov_b32 v135, s40 :: v_dual_mov_b32 v136, s41
	v_mov_b32_e32 v133, s38
	global_load_b32 v80, v[80:81], off
	v_add_nc_u32_e32 v81, 0x2c00, v83
	v_mov_b32_e32 v131, s36
	v_cmp_eq_u32_e64 s1, 0, v217
	v_cmp_eq_u32_e64 s2, 0, v203
	;; [unrolled: 1-line block ×3, first 2 shown]
	s_add_i32 s69, s69, -1
	v_mov_b32_e32 v134, s39
	s_cmp_lg_u32 s69, 0
	s_waitcnt vmcnt(0)
	ds_store_2addr_b32 v81, v82, v80 offset1:144
	v_add_co_u32 v80, vcc_lo, v112, v197
	v_add_co_ci_u32_e32 v81, vcc_lo, 0, v113, vcc_lo
	global_load_b32 v82, v[80:81], off
	v_add_co_u32 v80, vcc_lo, v114, v197
	v_add_co_ci_u32_e32 v81, vcc_lo, 0, v115, vcc_lo
	global_load_b32 v80, v[80:81], off
	v_add_nc_u32_e32 v81, 0x3000, v83
	s_waitcnt vmcnt(0)
	ds_store_2addr_b32 v81, v82, v80 offset0:32 offset1:176
	global_load_b128 v[80:83], v[106:107], off
	v_add_co_u32 v106, s8, v106, s76
	s_waitcnt vmcnt(0)
	ds_store_b128 v198, v[80:83]
	v_add_co_u32 v80, vcc_lo, v148, v227
	v_add_co_ci_u32_e32 v81, vcc_lo, 0, v149, vcc_lo
	v_add_co_u32 v148, s9, v148, s76
	global_load_b128 v[80:83], v[80:81], off
	s_waitcnt vmcnt(0)
	ds_store_b128 v204, v[80:83]
	v_add_co_u32 v80, vcc_lo, v150, v227
	v_add_co_ci_u32_e32 v81, vcc_lo, 0, v151, vcc_lo
	v_add_co_u32 v150, s10, v150, s76
	global_load_b128 v[80:83], v[80:81], off
	;; [unrolled: 6-line block ×4, first 2 shown]
	s_waitcnt vmcnt(0)
	ds_store_b128 v222, v[80:83]
	s_waitcnt lgkmcnt(0)
	s_waitcnt_vscnt null, 0x0
	s_barrier
	buffer_gl0_inv
	ds_load_b128 v[80:83], v223
	ds_load_b128 v[84:87], v223 offset:16
	ds_load_b128 v[88:91], v223 offset:2816
	;; [unrolled: 1-line block ×7, first 2 shown]
	s_waitcnt lgkmcnt(6)
	v_wmma_f32_16x16x16_f16 v[139:146], v[80:87], v[72:79], v[131:138]
	ds_load_b128 v[80:83], v223 offset:32
	ds_load_b128 v[84:87], v223 offset:48
	s_waitcnt lgkmcnt(6)
	v_wmma_f32_16x16x16_f16 v[96:103], v[88:95], v[72:79], v[131:138]
	s_waitcnt lgkmcnt(4)
	v_wmma_f32_16x16x16_f16 v[88:95], v[156:163], v[72:79], v[131:138]
	;; [unrolled: 2-line block ×4, first 2 shown]
	ds_load_b128 v[80:83], v223 offset:2848
	ds_load_b128 v[84:87], v223 offset:2864
	s_waitcnt lgkmcnt(0)
	v_wmma_f32_16x16x16_f16 v[96:103], v[80:87], v[64:71], v[96:103]
	ds_load_b128 v[80:83], v223 offset:5664
	ds_load_b128 v[84:87], v223 offset:5680
	s_waitcnt lgkmcnt(0)
	v_wmma_f32_16x16x16_f16 v[88:95], v[80:87], v[64:71], v[88:95]
	;; [unrolled: 4-line block ×14, first 2 shown]
	ds_load_b128 v[80:83], v223 offset:8576
	ds_load_b128 v[84:87], v223 offset:8592
	s_waitcnt lgkmcnt(0)
	s_barrier
	buffer_gl0_inv
	ds_load_u16 v132, v224 offset:36
	ds_load_u16 v133, v224 offset:40
	;; [unrolled: 1-line block ×7, first 2 shown]
	v_wmma_f32_16x16x16_f16 v[206:213], v[80:87], v[56:63], v[206:213]
	ds_load_u16 v80, v224
	ds_load_u16 v81, v224 offset:4
	s_waitcnt lgkmcnt(8)
	v_cvt_f32_f16_e64 v132, v132
	s_waitcnt lgkmcnt(7)
	v_cvt_f32_f16_e64 v133, v133
	s_delay_alu instid0(VALU_DEP_1)
	v_dual_add_f32 v193, v97, v132 :: v_dual_add_f32 v192, v98, v133
	ds_load_u16 v98, v224 offset:72
	s_waitcnt lgkmcnt(7)
	v_cvt_f32_f16_e64 v134, v134
	ds_load_u16 v97, v224 offset:68
	v_add_f32_e32 v191, v99, v134
	ds_load_u16 v99, v224 offset:76
	s_waitcnt lgkmcnt(8)
	v_cvt_f32_f16_e64 v135, v135
	s_waitcnt lgkmcnt(4)
	v_cvt_f32_f16_e32 v80, v80
	s_waitcnt lgkmcnt(3)
	v_cvt_f32_f16_e32 v82, v81
	ds_load_u16 v81, v224 offset:8
	v_add_f32_e32 v190, v100, v135
	ds_load_u16 v100, v224 offset:80
	s_waitcnt lgkmcnt(4)
	v_cvt_f32_f16_e32 v98, v98
	s_waitcnt lgkmcnt(2)
	v_cvt_f32_f16_e32 v99, v99
	s_delay_alu instid0(VALU_DEP_2)
	v_add_f32_e32 v161, v90, v98
	ds_load_u16 v90, v224 offset:104
	v_cvt_f32_f16_e32 v97, v97
	v_add_f32_e32 v160, v91, v99
	s_waitcnt lgkmcnt(2)
	v_cvt_f32_f16_e32 v83, v81
	ds_load_u16 v81, v224 offset:12
	ds_load_u16 v91, v224 offset:108
	v_cvt_f32_f16_e64 v136, v136
	s_waitcnt lgkmcnt(3)
	v_cvt_f32_f16_e32 v100, v100
	v_add_f32_e32 v164, v89, v97
	ds_load_u16 v89, v224 offset:100
	v_add_f32_e32 v189, v101, v136
	ds_load_u16 v101, v224 offset:84
	;; [unrolled: 2-line block ×3, first 2 shown]
	v_cvt_f32_f16_e64 v137, v137
	s_waitcnt lgkmcnt(5)
	v_cvt_f32_f16_e32 v90, v90
	s_delay_alu instid0(VALU_DEP_2)
	v_add_f32_e32 v188, v102, v137
	ds_load_u16 v102, v224 offset:88
	v_cvt_f32_f16_e64 v138, v138
	s_waitcnt lgkmcnt(5)
	v_cvt_f32_f16_e32 v84, v81
	ds_load_u16 v81, v224 offset:16
	s_waitcnt lgkmcnt(5)
	v_cvt_f32_f16_e32 v91, v91
	v_add_f32_e32 v186, v103, v138
	ds_load_u16 v103, v224 offset:92
	s_waitcnt lgkmcnt(5)
	v_cvt_f32_f16_e32 v89, v89
	s_waitcnt lgkmcnt(4)
	v_cvt_f32_f16_e32 v101, v101
	s_delay_alu instid0(VALU_DEP_1)
	v_add_f32_e32 v158, v93, v101
	s_waitcnt lgkmcnt(2)
	v_cvt_f32_f16_e32 v102, v102
	s_waitcnt lgkmcnt(1)
	v_cvt_f32_f16_e32 v85, v81
	ds_load_u16 v81, v224 offset:20
	v_dual_add_f32 v157, v94, v102 :: v_dual_add_f32 v94, v207, v89
	s_waitcnt lgkmcnt(1)
	v_cvt_f32_f16_e32 v103, v103
	s_delay_alu instid0(VALU_DEP_1)
	v_add_f32_e32 v156, v95, v103
	s_waitcnt lgkmcnt(0)
	v_cvt_f32_f16_e32 v86, v81
	ds_load_u16 v81, v224 offset:24
	s_waitcnt lgkmcnt(0)
	v_cvt_f32_f16_e32 v87, v81
	ds_load_u16 v81, v224 offset:28
	s_waitcnt lgkmcnt(0)
	v_cvt_f32_f16_e64 v131, v81
	v_dual_add_f32 v81, v139, v80 :: v_dual_add_f32 v80, v140, v82
	v_dual_add_f32 v82, v141, v83 :: v_dual_add_f32 v83, v142, v84
	;; [unrolled: 1-line block ×3, first 2 shown]
	v_add_f32_e32 v86, v145, v87
	v_add_f32_e32 v87, v146, v131
	ds_load_u16 v131, v224 offset:32
	s_waitcnt lgkmcnt(0)
	v_cvt_f32_f16_e64 v131, v131
	s_delay_alu instid0(VALU_DEP_1) | instskip(SKIP_3) | instid1(VALU_DEP_1)
	v_add_f32_e32 v194, v96, v131
	ds_load_u16 v96, v224 offset:64
	s_waitcnt lgkmcnt(0)
	v_cvt_f32_f16_e32 v96, v96
	v_add_f32_e32 v185, v88, v96
	ds_load_u16 v88, v224 offset:96
	v_cvt_f32_f16_e32 v96, v92
	ds_load_u16 v92, v224 offset:116
	s_waitcnt lgkmcnt(1)
	v_cvt_f32_f16_e32 v88, v88
	s_waitcnt lgkmcnt(0)
	v_cvt_f32_f16_e32 v97, v92
	ds_load_u16 v92, v224 offset:120
	v_add_f32_e32 v93, v208, v90
	v_dual_add_f32 v95, v206, v88 :: v_dual_add_f32 v90, v211, v97
	s_waitcnt lgkmcnt(0)
	v_cvt_f32_f16_e32 v98, v92
	ds_load_u16 v92, v224 offset:124
	v_add_f32_e32 v89, v212, v98
	s_waitcnt lgkmcnt(0)
	v_cvt_f32_f16_e32 v99, v92
	v_dual_add_f32 v92, v209, v91 :: v_dual_add_f32 v91, v210, v96
	s_delay_alu instid0(VALU_DEP_2)
	v_add_f32_e32 v88, v213, v99
	global_load_b128 v[96:99], v[104:105], off
	s_waitcnt vmcnt(0)
	ds_store_b128 v198, v[96:99]
	v_add_co_u32 v96, vcc_lo, v120, v227
	v_add_co_ci_u32_e32 v97, vcc_lo, 0, v121, vcc_lo
	global_load_b128 v[96:99], v[96:97], off
	s_waitcnt vmcnt(0)
	ds_store_b128 v204, v[96:99]
	v_add_co_u32 v96, vcc_lo, v122, v227
	v_add_co_ci_u32_e32 v97, vcc_lo, 0, v123, vcc_lo
	;; [unrolled: 5-line block ×4, first 2 shown]
	v_cmp_eq_u32_e32 vcc_lo, 1, v217
	global_load_b128 v[96:99], v[96:97], off
	s_waitcnt vmcnt(0)
	ds_store_b128 v222, v[96:99]
	v_dual_mov_b32 v96, v116 :: v_dual_add_f32 v97, 0x40051340, v81
	v_dual_add_f32 v98, 0x40051340, v80 :: v_dual_add_f32 v99, 0x40051340, v83
	s_waitcnt lgkmcnt(0)
	s_barrier
	buffer_gl0_inv
	v_max3_f32 v97, v96, v97, v98
	v_add_f32_e32 v98, 0x40051340, v82
	s_delay_alu instid0(VALU_DEP_1) | instskip(SKIP_1) | instid1(VALU_DEP_1)
	v_max3_f32 v97, v97, v98, v99
	v_dual_add_f32 v98, 0x40051340, v84 :: v_dual_add_f32 v99, 0x40051340, v85
	v_max3_f32 v97, v97, v98, v99
	v_dual_add_f32 v98, 0x40051340, v86 :: v_dual_add_f32 v99, 0x40051340, v87
	s_delay_alu instid0(VALU_DEP_1) | instskip(SKIP_1) | instid1(VALU_DEP_1)
	v_max3_f32 v97, v97, v98, v99
	v_dual_add_f32 v98, 0x40051340, v194 :: v_dual_add_f32 v99, 0x40051340, v193
	v_max3_f32 v97, v97, v98, v99
	v_dual_add_f32 v98, 0x40051340, v192 :: v_dual_add_f32 v99, 0x40051340, v191
	;; [unrolled: 5-line block ×7, first 2 shown]
	s_delay_alu instid0(VALU_DEP_1) | instskip(SKIP_3) | instid1(VALU_DEP_1)
	v_max3_f32 v97, v97, v98, v99
	ds_bpermute_b32 v98, v119, v97
	s_waitcnt lgkmcnt(0)
	v_max_f32_e32 v98, v98, v98
	v_max_f32_e32 v116, v97, v98
	s_delay_alu instid0(VALU_DEP_1) | instskip(NEXT) | instid1(VALU_DEP_1)
	v_sub_f32_e32 v81, v81, v116
	v_dual_mul_f32 v97, 0x3fb8aa3b, v81 :: v_dual_sub_f32 v80, v80, v116
	v_cmp_ngt_f32_e64 s4, 0xc2ce8ed0, v81
	v_cmp_nlt_f32_e64 s5, 0x42b17218, v81
	v_sub_f32_e32 v86, v86, v116
	s_delay_alu instid0(VALU_DEP_4)
	v_fma_f32 v98, 0x3fb8aa3b, v81, -v97
	v_sub_f32_e32 v85, v85, v116
	v_sub_f32_e32 v83, v83, v116
	v_cmp_ngt_f32_e64 s6, 0xc2ce8ed0, v80
	v_cmp_nlt_f32_e64 s7, 0x42b17218, v80
	v_fmac_f32_e32 v98, 0x32a5705f, v81
	v_mul_f32_e32 v81, 0x3fb8aa3b, v80
	v_sub_f32_e32 v82, v82, v116
	v_sub_f32_e32 v84, v84, v116
	;; [unrolled: 1-line block ×4, first 2 shown]
	v_fma_f32 v99, 0x3fb8aa3b, v80, -v81
	s_delay_alu instid0(VALU_DEP_1) | instskip(SKIP_1) | instid1(VALU_DEP_1)
	v_fmac_f32_e32 v99, 0x32a5705f, v80
	v_rndne_f32_e32 v80, v97
	v_sub_f32_e32 v97, v97, v80
	v_cvt_i32_f32_e32 v80, v80
	s_delay_alu instid0(VALU_DEP_2) | instskip(SKIP_1) | instid1(VALU_DEP_2)
	v_add_f32_e32 v97, v97, v98
	v_rndne_f32_e32 v98, v81
	v_exp_f32_e32 v97, v97
	s_delay_alu instid0(VALU_DEP_1) | instskip(NEXT) | instid1(VALU_DEP_1)
	v_sub_f32_e32 v81, v81, v98
	v_add_f32_e32 v81, v81, v99
	s_waitcnt_depctr 0xfff
	v_ldexp_f32 v80, v97, v80
	v_exp_f32_e32 v81, v81
	v_cvt_i32_f32_e32 v97, v98
	s_delay_alu instid0(VALU_DEP_2) | instskip(SKIP_1) | instid1(VALU_DEP_2)
	v_cndmask_b32_e64 v80, 0, v80, s4
	v_cmp_ngt_f32_e64 s4, 0xc2ce8ed0, v82
	v_cndmask_b32_e64 v195, 0x7f800000, v80, s5
	s_waitcnt_depctr 0xfff
	v_ldexp_f32 v81, v81, v97
	v_cmp_nlt_f32_e64 s5, 0x42b17218, v82
	ds_bpermute_b32 v80, v119, v195
	v_cndmask_b32_e64 v81, 0, v81, s6
	v_cmp_le_f32_e64 s6, 0xc1a00000, v96
	s_delay_alu instid0(VALU_DEP_2) | instskip(SKIP_4) | instid1(VALU_DEP_2)
	v_cndmask_b32_e64 v196, 0x7f800000, v81, s7
	ds_bpermute_b32 v97, v119, v196
	s_waitcnt lgkmcnt(1)
	v_cndmask_b32_e32 v81, v195, v80, vcc_lo
	v_cndmask_b32_e64 v80, v195, v80, s1
	v_cndmask_b32_e64 v99, v81, v196, s3
	s_delay_alu instid0(VALU_DEP_2) | instskip(SKIP_3) | instid1(VALU_DEP_3)
	v_cndmask_b32_e64 v98, v80, v196, s2
	v_cvt_f16_f32_e32 v80, v80
	v_cvt_f16_f32_e32 v81, v81
	s_waitcnt lgkmcnt(0)
	v_cndmask_b32_e64 v98, v98, v97, s1
	v_cndmask_b32_e32 v97, v99, v97, vcc_lo
	s_delay_alu instid0(VALU_DEP_3) | instskip(NEXT) | instid1(VALU_DEP_3)
	v_pack_b32_f16 v80, v80, v81
	v_cvt_f16_f32_e32 v99, v98
	s_delay_alu instid0(VALU_DEP_3) | instskip(NEXT) | instid1(VALU_DEP_1)
	v_cvt_f16_f32_e32 v100, v97
	v_pack_b32_f16 v81, v99, v100
	v_mul_f32_e32 v99, 0x3fb8aa3b, v82
	s_delay_alu instid0(VALU_DEP_1) | instskip(NEXT) | instid1(VALU_DEP_1)
	v_fma_f32 v100, 0x3fb8aa3b, v82, -v99
	v_fmac_f32_e32 v100, 0x32a5705f, v82
	v_rndne_f32_e32 v82, v99
	s_delay_alu instid0(VALU_DEP_1) | instskip(SKIP_1) | instid1(VALU_DEP_2)
	v_sub_f32_e32 v99, v99, v82
	v_cvt_i32_f32_e32 v82, v82
	v_add_f32_e32 v99, v99, v100
	s_delay_alu instid0(VALU_DEP_1) | instskip(SKIP_2) | instid1(VALU_DEP_1)
	v_exp_f32_e32 v99, v99
	s_waitcnt_depctr 0xfff
	v_ldexp_f32 v82, v99, v82
	v_cndmask_b32_e64 v82, 0, v82, s4
	v_cmp_ngt_f32_e64 s4, 0xc2ce8ed0, v83
	s_delay_alu instid0(VALU_DEP_2) | instskip(SKIP_1) | instid1(VALU_DEP_2)
	v_cndmask_b32_e64 v199, 0x7f800000, v82, s5
	v_cmp_nlt_f32_e64 s5, 0x42b17218, v83
	v_cndmask_b32_e64 v82, v98, v199, s2
	ds_bpermute_b32 v98, v119, v199
	v_cndmask_b32_e64 v97, v97, v199, s3
	s_waitcnt lgkmcnt(0)
	v_cndmask_b32_e64 v99, v82, v98, s1
	s_delay_alu instid0(VALU_DEP_2) | instskip(NEXT) | instid1(VALU_DEP_2)
	v_cndmask_b32_e32 v97, v97, v98, vcc_lo
	v_cvt_f16_f32_e32 v82, v99
	s_delay_alu instid0(VALU_DEP_2) | instskip(NEXT) | instid1(VALU_DEP_1)
	v_cvt_f16_f32_e32 v98, v97
	v_pack_b32_f16 v82, v82, v98
	v_mul_f32_e32 v98, 0x3fb8aa3b, v83
	s_delay_alu instid0(VALU_DEP_1) | instskip(NEXT) | instid1(VALU_DEP_1)
	v_fma_f32 v100, 0x3fb8aa3b, v83, -v98
	v_fmac_f32_e32 v100, 0x32a5705f, v83
	v_rndne_f32_e32 v83, v98
	s_delay_alu instid0(VALU_DEP_1) | instskip(SKIP_1) | instid1(VALU_DEP_2)
	v_sub_f32_e32 v98, v98, v83
	v_cvt_i32_f32_e32 v83, v83
	v_add_f32_e32 v98, v98, v100
	s_delay_alu instid0(VALU_DEP_1) | instskip(SKIP_2) | instid1(VALU_DEP_1)
	v_exp_f32_e32 v98, v98
	s_waitcnt_depctr 0xfff
	v_ldexp_f32 v83, v98, v83
	v_cndmask_b32_e64 v83, 0, v83, s4
	v_cmp_ngt_f32_e64 s4, 0xc2ce8ed0, v84
	s_delay_alu instid0(VALU_DEP_2)
	v_cndmask_b32_e64 v201, 0x7f800000, v83, s5
	v_cmp_nlt_f32_e64 s5, 0x42b17218, v84
	ds_bpermute_b32 v98, v119, v201
	v_cndmask_b32_e64 v83, v99, v201, s2
	v_cndmask_b32_e64 v97, v97, v201, s3
	s_waitcnt lgkmcnt(0)
	s_delay_alu instid0(VALU_DEP_2) | instskip(NEXT) | instid1(VALU_DEP_2)
	v_cndmask_b32_e64 v99, v83, v98, s1
	v_cndmask_b32_e32 v97, v97, v98, vcc_lo
	s_delay_alu instid0(VALU_DEP_2) | instskip(NEXT) | instid1(VALU_DEP_2)
	v_cvt_f16_f32_e32 v83, v99
	v_cvt_f16_f32_e32 v98, v97
	s_delay_alu instid0(VALU_DEP_1) | instskip(SKIP_1) | instid1(VALU_DEP_1)
	v_pack_b32_f16 v83, v83, v98
	v_mul_f32_e32 v98, 0x3fb8aa3b, v84
	v_fma_f32 v100, 0x3fb8aa3b, v84, -v98
	s_delay_alu instid0(VALU_DEP_1) | instskip(SKIP_1) | instid1(VALU_DEP_1)
	v_fmac_f32_e32 v100, 0x32a5705f, v84
	v_rndne_f32_e32 v84, v98
	v_sub_f32_e32 v98, v98, v84
	v_cvt_i32_f32_e32 v84, v84
	s_delay_alu instid0(VALU_DEP_2) | instskip(NEXT) | instid1(VALU_DEP_1)
	v_add_f32_e32 v98, v98, v100
	v_exp_f32_e32 v98, v98
	s_waitcnt_depctr 0xfff
	v_ldexp_f32 v84, v98, v84
	s_delay_alu instid0(VALU_DEP_1) | instskip(SKIP_1) | instid1(VALU_DEP_2)
	v_cndmask_b32_e64 v84, 0, v84, s4
	v_cmp_ngt_f32_e64 s4, 0xc2ce8ed0, v85
	v_cndmask_b32_e64 v207, 0x7f800000, v84, s5
	v_cmp_nlt_f32_e64 s5, 0x42b17218, v85
	ds_bpermute_b32 v98, v119, v207
	v_cndmask_b32_e64 v84, v99, v207, s2
	v_cndmask_b32_e64 v97, v97, v207, s3
	s_waitcnt lgkmcnt(0)
	s_delay_alu instid0(VALU_DEP_2) | instskip(NEXT) | instid1(VALU_DEP_2)
	v_cndmask_b32_e64 v99, v84, v98, s1
	v_cndmask_b32_e32 v97, v97, v98, vcc_lo
	s_delay_alu instid0(VALU_DEP_2) | instskip(NEXT) | instid1(VALU_DEP_2)
	v_cvt_f16_f32_e32 v84, v99
	v_cvt_f16_f32_e32 v98, v97
	s_delay_alu instid0(VALU_DEP_1) | instskip(SKIP_1) | instid1(VALU_DEP_1)
	v_pack_b32_f16 v84, v84, v98
	v_mul_f32_e32 v98, 0x3fb8aa3b, v85
	v_fma_f32 v100, 0x3fb8aa3b, v85, -v98
	s_delay_alu instid0(VALU_DEP_1) | instskip(SKIP_1) | instid1(VALU_DEP_1)
	v_fmac_f32_e32 v100, 0x32a5705f, v85
	v_rndne_f32_e32 v85, v98
	v_sub_f32_e32 v98, v98, v85
	v_cvt_i32_f32_e32 v85, v85
	s_delay_alu instid0(VALU_DEP_2) | instskip(NEXT) | instid1(VALU_DEP_1)
	v_add_f32_e32 v98, v98, v100
	v_exp_f32_e32 v98, v98
	s_waitcnt_depctr 0xfff
	v_ldexp_f32 v85, v98, v85
	s_delay_alu instid0(VALU_DEP_1) | instskip(SKIP_1) | instid1(VALU_DEP_2)
	v_cndmask_b32_e64 v85, 0, v85, s4
	v_cmp_ngt_f32_e64 s4, 0xc2ce8ed0, v86
	v_cndmask_b32_e64 v208, 0x7f800000, v85, s5
	v_cmp_nlt_f32_e64 s5, 0x42b17218, v86
	ds_bpermute_b32 v98, v119, v208
	v_cndmask_b32_e64 v85, v99, v208, s2
	v_cndmask_b32_e64 v97, v97, v208, s3
	s_waitcnt lgkmcnt(0)
	s_delay_alu instid0(VALU_DEP_2) | instskip(NEXT) | instid1(VALU_DEP_2)
	v_cndmask_b32_e64 v99, v85, v98, s1
	v_cndmask_b32_e32 v97, v97, v98, vcc_lo
	s_delay_alu instid0(VALU_DEP_2) | instskip(NEXT) | instid1(VALU_DEP_2)
	v_cvt_f16_f32_e32 v85, v99
	v_cvt_f16_f32_e32 v98, v97
	s_delay_alu instid0(VALU_DEP_1) | instskip(SKIP_1) | instid1(VALU_DEP_1)
	v_pack_b32_f16 v85, v85, v98
	v_mul_f32_e32 v98, 0x3fb8aa3b, v86
	v_fma_f32 v100, 0x3fb8aa3b, v86, -v98
	s_delay_alu instid0(VALU_DEP_1) | instskip(SKIP_1) | instid1(VALU_DEP_1)
	v_fmac_f32_e32 v100, 0x32a5705f, v86
	v_rndne_f32_e32 v86, v98
	v_sub_f32_e32 v98, v98, v86
	v_cvt_i32_f32_e32 v86, v86
	s_delay_alu instid0(VALU_DEP_2) | instskip(NEXT) | instid1(VALU_DEP_1)
	v_add_f32_e32 v98, v98, v100
	v_exp_f32_e32 v98, v98
	s_waitcnt_depctr 0xfff
	v_ldexp_f32 v86, v98, v86
	s_delay_alu instid0(VALU_DEP_1) | instskip(SKIP_1) | instid1(VALU_DEP_2)
	v_cndmask_b32_e64 v86, 0, v86, s4
	v_cmp_ngt_f32_e64 s4, 0xc2ce8ed0, v87
	v_cndmask_b32_e64 v209, 0x7f800000, v86, s5
	v_cmp_nlt_f32_e64 s5, 0x42b17218, v87
	ds_bpermute_b32 v98, v119, v209
	v_cndmask_b32_e64 v86, v99, v209, s2
	v_cndmask_b32_e64 v97, v97, v209, s3
	s_waitcnt lgkmcnt(0)
	s_delay_alu instid0(VALU_DEP_2) | instskip(NEXT) | instid1(VALU_DEP_2)
	v_cndmask_b32_e64 v99, v86, v98, s1
	v_cndmask_b32_e32 v97, v97, v98, vcc_lo
	s_delay_alu instid0(VALU_DEP_2) | instskip(NEXT) | instid1(VALU_DEP_2)
	v_cvt_f16_f32_e32 v86, v99
	v_cvt_f16_f32_e32 v98, v97
	s_delay_alu instid0(VALU_DEP_1) | instskip(SKIP_1) | instid1(VALU_DEP_1)
	v_pack_b32_f16 v86, v86, v98
	v_mul_f32_e32 v98, 0x3fb8aa3b, v87
	v_fma_f32 v100, 0x3fb8aa3b, v87, -v98
	s_delay_alu instid0(VALU_DEP_1) | instskip(SKIP_1) | instid1(VALU_DEP_1)
	v_fmac_f32_e32 v100, 0x32a5705f, v87
	v_rndne_f32_e32 v87, v98
	v_sub_f32_e32 v98, v98, v87
	v_cvt_i32_f32_e32 v87, v87
	s_delay_alu instid0(VALU_DEP_2) | instskip(NEXT) | instid1(VALU_DEP_1)
	v_add_f32_e32 v98, v98, v100
	v_exp_f32_e32 v98, v98
	s_waitcnt_depctr 0xfff
	v_ldexp_f32 v87, v98, v87
	s_delay_alu instid0(VALU_DEP_1) | instskip(SKIP_1) | instid1(VALU_DEP_2)
	v_cndmask_b32_e64 v87, 0, v87, s4
	v_cmp_ngt_f32_e64 s4, 0xc2ce8ed0, v96
	v_cndmask_b32_e64 v210, 0x7f800000, v87, s5
	v_cmp_nlt_f32_e64 s5, 0x42b17218, v96
	ds_bpermute_b32 v98, v119, v210
	v_cndmask_b32_e64 v87, v99, v210, s2
	v_cndmask_b32_e64 v97, v97, v210, s3
	s_waitcnt lgkmcnt(0)
	s_delay_alu instid0(VALU_DEP_2) | instskip(NEXT) | instid1(VALU_DEP_2)
	v_cndmask_b32_e64 v87, v87, v98, s1
	v_cndmask_b32_e32 v97, v97, v98, vcc_lo
	s_delay_alu instid0(VALU_DEP_2) | instskip(NEXT) | instid1(VALU_DEP_2)
	v_cvt_f16_f32_e32 v87, v87
	v_cvt_f16_f32_e32 v97, v97
	s_delay_alu instid0(VALU_DEP_1) | instskip(SKIP_1) | instid1(VALU_DEP_1)
	v_pack_b32_f16 v87, v87, v97
	v_mul_f32_e32 v97, 0x3fb8aa3b, v96
	v_fma_f32 v98, 0x3fb8aa3b, v96, -v97
	s_delay_alu instid0(VALU_DEP_1) | instskip(SKIP_1) | instid1(VALU_DEP_1)
	v_fmac_f32_e32 v98, 0x32a5705f, v96
	v_rndne_f32_e32 v96, v97
	v_sub_f32_e32 v97, v97, v96
	v_cvt_i32_f32_e32 v96, v96
	s_delay_alu instid0(VALU_DEP_2) | instskip(NEXT) | instid1(VALU_DEP_1)
	v_add_f32_e32 v97, v97, v98
	v_exp_f32_e32 v97, v97
	s_waitcnt_depctr 0xfff
	v_ldexp_f32 v96, v97, v96
	s_delay_alu instid0(VALU_DEP_1) | instskip(NEXT) | instid1(VALU_DEP_1)
	v_cndmask_b32_e64 v96, 0, v96, s4
	v_cndmask_b32_e64 v96, 0x7f800000, v96, s5
	s_delay_alu instid0(VALU_DEP_1)
	v_cndmask_b32_e64 v211, 0, v96, s6
	ds_load_u16 v96, v225
	ds_load_u16 v97, v225 offset:352
	ds_load_u16 v98, v225 offset:704
	;; [unrolled: 1-line block ×7, first 2 shown]
	s_waitcnt lgkmcnt(7)
	ds_load_u16_d16_hi v96, v225 offset:176
	s_waitcnt lgkmcnt(7)
	ds_load_u16_d16_hi v97, v225 offset:528
	;; [unrolled: 2-line block ×8, first 2 shown]
	v_mul_f32_e32 v39, v39, v211
	v_mul_f32_e32 v32, v32, v211
	;; [unrolled: 1-line block ×19, first 2 shown]
	s_waitcnt lgkmcnt(0)
	v_wmma_f32_16x16x16_f16 v[32:39], v[96:103], v[80:87], v[32:39]
	ds_load_u16 v96, v225 offset:32
	ds_load_u16 v97, v229 offset:352
	;; [unrolled: 1-line block ×8, first 2 shown]
	s_waitcnt lgkmcnt(7)
	ds_load_u16_d16_hi v96, v225 offset:208
	s_waitcnt lgkmcnt(7)
	ds_load_u16_d16_hi v97, v225 offset:560
	;; [unrolled: 2-line block ×8, first 2 shown]
	v_mul_f32_e32 v19, v19, v211
	v_mul_f32_e32 v20, v20, v211
	;; [unrolled: 1-line block ×19, first 2 shown]
	s_waitcnt lgkmcnt(0)
	v_wmma_f32_16x16x16_f16 v[24:31], v[96:103], v[80:87], v[24:31]
	ds_load_u16 v96, v225 offset:64
	ds_load_u16 v97, v233 offset:352
	;; [unrolled: 1-line block ×8, first 2 shown]
	s_waitcnt lgkmcnt(7)
	ds_load_u16_d16_hi v96, v225 offset:240
	s_waitcnt lgkmcnt(7)
	ds_load_u16_d16_hi v97, v225 offset:592
	;; [unrolled: 2-line block ×8, first 2 shown]
	v_mul_f32_e32 v6, v6, v211
	v_dual_mul_f32 v7, v7, v211 :: v_dual_sub_f32 v88, v88, v116
	s_waitcnt lgkmcnt(0)
	v_wmma_f32_16x16x16_f16 v[16:23], v[96:103], v[80:87], v[16:23]
	ds_load_u16 v96, v225 offset:96
	ds_load_u16 v97, v237 offset:352
	;; [unrolled: 1-line block ×8, first 2 shown]
	s_waitcnt lgkmcnt(7)
	ds_load_u16_d16_hi v96, v225 offset:272
	s_waitcnt lgkmcnt(7)
	ds_load_u16_d16_hi v97, v225 offset:624
	;; [unrolled: 2-line block ×8, first 2 shown]
	s_waitcnt lgkmcnt(0)
	v_wmma_f32_16x16x16_f16 v[8:15], v[96:103], v[80:87], v[8:15]
	ds_load_u16 v96, v225 offset:128
	ds_load_u16 v97, v241 offset:352
	;; [unrolled: 1-line block ×8, first 2 shown]
	s_waitcnt lgkmcnt(7)
	ds_load_u16_d16_hi v96, v225 offset:304
	s_waitcnt lgkmcnt(7)
	ds_load_u16_d16_hi v97, v225 offset:656
	;; [unrolled: 2-line block ×8, first 2 shown]
	s_waitcnt lgkmcnt(0)
	v_wmma_f32_16x16x16_f16 v[0:7], v[96:103], v[80:87], v[0:7]
	v_sub_f32_e32 v80, v194, v116
	s_delay_alu instid0(VALU_DEP_1) | instskip(SKIP_2) | instid1(VALU_DEP_3)
	v_mul_f32_e32 v81, 0x3fb8aa3b, v80
	v_cmp_ngt_f32_e64 s4, 0xc2ce8ed0, v80
	v_cmp_nlt_f32_e64 s5, 0x42b17218, v80
	v_fma_f32 v82, 0x3fb8aa3b, v80, -v81
	s_delay_alu instid0(VALU_DEP_1) | instskip(SKIP_1) | instid1(VALU_DEP_1)
	v_fmac_f32_e32 v82, 0x32a5705f, v80
	v_sub_f32_e32 v80, v193, v116
	v_mul_f32_e32 v83, 0x3fb8aa3b, v80
	v_cmp_ngt_f32_e64 s6, 0xc2ce8ed0, v80
	v_cmp_nlt_f32_e64 s7, 0x42b17218, v80
	s_delay_alu instid0(VALU_DEP_3) | instskip(NEXT) | instid1(VALU_DEP_1)
	v_fma_f32 v84, 0x3fb8aa3b, v80, -v83
	v_fmac_f32_e32 v84, 0x32a5705f, v80
	v_rndne_f32_e32 v80, v81
	s_delay_alu instid0(VALU_DEP_1) | instskip(SKIP_1) | instid1(VALU_DEP_2)
	v_sub_f32_e32 v81, v81, v80
	v_cvt_i32_f32_e32 v80, v80
	v_add_f32_e32 v81, v81, v82
	v_rndne_f32_e32 v82, v83
	s_delay_alu instid0(VALU_DEP_2) | instskip(NEXT) | instid1(VALU_DEP_1)
	v_exp_f32_e32 v81, v81
	v_sub_f32_e32 v83, v83, v82
	s_delay_alu instid0(VALU_DEP_1) | instskip(SKIP_4) | instid1(VALU_DEP_2)
	v_add_f32_e32 v83, v83, v84
	s_waitcnt_depctr 0xfff
	v_ldexp_f32 v80, v81, v80
	v_cvt_i32_f32_e32 v81, v82
	v_exp_f32_e32 v82, v83
	v_cndmask_b32_e64 v80, 0, v80, s4
	s_delay_alu instid0(VALU_DEP_1) | instskip(SKIP_4) | instid1(VALU_DEP_1)
	v_cndmask_b32_e64 v162, 0x7f800000, v80, s5
	s_waitcnt_depctr 0xfff
	v_ldexp_f32 v81, v82, v81
	ds_bpermute_b32 v80, v119, v162
	v_cndmask_b32_e64 v81, 0, v81, s6
	v_cndmask_b32_e64 v163, 0x7f800000, v81, s7
	ds_bpermute_b32 v82, v119, v163
	s_waitcnt lgkmcnt(1)
	v_cndmask_b32_e32 v81, v162, v80, vcc_lo
	v_cndmask_b32_e64 v80, v162, v80, s1
	s_delay_alu instid0(VALU_DEP_2) | instskip(NEXT) | instid1(VALU_DEP_2)
	v_cndmask_b32_e64 v84, v81, v163, s3
	v_cndmask_b32_e64 v83, v80, v163, s2
	v_cvt_f16_f32_e32 v80, v80
	v_cvt_f16_f32_e32 v81, v81
	s_waitcnt lgkmcnt(0)
	s_delay_alu instid0(VALU_DEP_3) | instskip(SKIP_1) | instid1(VALU_DEP_3)
	v_cndmask_b32_e64 v83, v83, v82, s1
	v_cndmask_b32_e32 v82, v84, v82, vcc_lo
	v_pack_b32_f16 v80, v80, v81
	s_delay_alu instid0(VALU_DEP_3) | instskip(NEXT) | instid1(VALU_DEP_3)
	v_cvt_f16_f32_e32 v84, v83
	v_cvt_f16_f32_e32 v85, v82
	s_delay_alu instid0(VALU_DEP_1) | instskip(SKIP_1) | instid1(VALU_DEP_1)
	v_pack_b32_f16 v81, v84, v85
	v_sub_f32_e32 v84, v192, v116
	v_mul_f32_e32 v85, 0x3fb8aa3b, v84
	v_cmp_ngt_f32_e64 s4, 0xc2ce8ed0, v84
	v_cmp_nlt_f32_e64 s5, 0x42b17218, v84
	s_delay_alu instid0(VALU_DEP_3) | instskip(NEXT) | instid1(VALU_DEP_1)
	v_fma_f32 v86, 0x3fb8aa3b, v84, -v85
	v_fmac_f32_e32 v86, 0x32a5705f, v84
	v_rndne_f32_e32 v84, v85
	s_delay_alu instid0(VALU_DEP_1) | instskip(SKIP_1) | instid1(VALU_DEP_2)
	v_sub_f32_e32 v85, v85, v84
	v_cvt_i32_f32_e32 v84, v84
	v_add_f32_e32 v85, v85, v86
	s_delay_alu instid0(VALU_DEP_1) | instskip(SKIP_2) | instid1(VALU_DEP_1)
	v_exp_f32_e32 v85, v85
	s_waitcnt_depctr 0xfff
	v_ldexp_f32 v84, v85, v84
	v_cndmask_b32_e64 v84, 0, v84, s4
	s_delay_alu instid0(VALU_DEP_1) | instskip(SKIP_4) | instid1(VALU_DEP_2)
	v_cndmask_b32_e64 v192, 0x7f800000, v84, s5
	ds_bpermute_b32 v84, v119, v192
	v_cndmask_b32_e64 v83, v83, v192, s2
	v_cndmask_b32_e64 v82, v82, v192, s3
	s_waitcnt lgkmcnt(0)
	v_cndmask_b32_e64 v83, v83, v84, s1
	s_delay_alu instid0(VALU_DEP_2) | instskip(NEXT) | instid1(VALU_DEP_2)
	v_cndmask_b32_e32 v84, v82, v84, vcc_lo
	v_cvt_f16_f32_e32 v82, v83
	s_delay_alu instid0(VALU_DEP_2) | instskip(NEXT) | instid1(VALU_DEP_1)
	v_cvt_f16_f32_e32 v85, v84
	v_pack_b32_f16 v82, v82, v85
	v_sub_f32_e32 v85, v191, v116
	s_delay_alu instid0(VALU_DEP_1) | instskip(SKIP_2) | instid1(VALU_DEP_3)
	v_mul_f32_e32 v86, 0x3fb8aa3b, v85
	v_cmp_ngt_f32_e64 s4, 0xc2ce8ed0, v85
	v_cmp_nlt_f32_e64 s5, 0x42b17218, v85
	v_fma_f32 v87, 0x3fb8aa3b, v85, -v86
	s_delay_alu instid0(VALU_DEP_1) | instskip(SKIP_1) | instid1(VALU_DEP_1)
	v_fmac_f32_e32 v87, 0x32a5705f, v85
	v_rndne_f32_e32 v85, v86
	v_sub_f32_e32 v86, v86, v85
	v_cvt_i32_f32_e32 v85, v85
	s_delay_alu instid0(VALU_DEP_2) | instskip(NEXT) | instid1(VALU_DEP_1)
	v_add_f32_e32 v86, v86, v87
	v_exp_f32_e32 v86, v86
	s_waitcnt_depctr 0xfff
	v_ldexp_f32 v85, v86, v85
	s_delay_alu instid0(VALU_DEP_1) | instskip(NEXT) | instid1(VALU_DEP_1)
	v_cndmask_b32_e64 v85, 0, v85, s4
	v_cndmask_b32_e64 v191, 0x7f800000, v85, s5
	ds_bpermute_b32 v85, v119, v191
	v_cndmask_b32_e64 v83, v83, v191, s2
	v_cndmask_b32_e64 v84, v84, v191, s3
	s_waitcnt lgkmcnt(0)
	s_delay_alu instid0(VALU_DEP_2) | instskip(NEXT) | instid1(VALU_DEP_2)
	v_cndmask_b32_e64 v86, v83, v85, s1
	v_cndmask_b32_e32 v84, v84, v85, vcc_lo
	s_delay_alu instid0(VALU_DEP_2) | instskip(NEXT) | instid1(VALU_DEP_2)
	v_cvt_f16_f32_e32 v83, v86
	v_cvt_f16_f32_e32 v85, v84
	s_delay_alu instid0(VALU_DEP_1) | instskip(SKIP_1) | instid1(VALU_DEP_1)
	v_pack_b32_f16 v83, v83, v85
	v_sub_f32_e32 v85, v190, v116
	v_mul_f32_e32 v87, 0x3fb8aa3b, v85
	v_cmp_ngt_f32_e64 s4, 0xc2ce8ed0, v85
	v_cmp_nlt_f32_e64 s5, 0x42b17218, v85
	s_delay_alu instid0(VALU_DEP_3) | instskip(NEXT) | instid1(VALU_DEP_1)
	v_fma_f32 v96, 0x3fb8aa3b, v85, -v87
	v_fmac_f32_e32 v96, 0x32a5705f, v85
	v_rndne_f32_e32 v85, v87
	s_delay_alu instid0(VALU_DEP_1) | instskip(SKIP_1) | instid1(VALU_DEP_2)
	v_sub_f32_e32 v87, v87, v85
	v_cvt_i32_f32_e32 v85, v85
	v_add_f32_e32 v87, v87, v96
	s_delay_alu instid0(VALU_DEP_1) | instskip(SKIP_2) | instid1(VALU_DEP_1)
	v_exp_f32_e32 v87, v87
	s_waitcnt_depctr 0xfff
	v_ldexp_f32 v85, v87, v85
	v_cndmask_b32_e64 v85, 0, v85, s4
	s_delay_alu instid0(VALU_DEP_1) | instskip(NEXT) | instid1(VALU_DEP_1)
	v_cndmask_b32_e64 v190, 0x7f800000, v85, s5
	v_cndmask_b32_e64 v85, v86, v190, s2
	ds_bpermute_b32 v86, v119, v190
	v_cndmask_b32_e64 v84, v84, v190, s3
	s_waitcnt lgkmcnt(0)
	v_cndmask_b32_e64 v85, v85, v86, s1
	s_delay_alu instid0(VALU_DEP_2) | instskip(NEXT) | instid1(VALU_DEP_2)
	v_cndmask_b32_e32 v86, v84, v86, vcc_lo
	v_cvt_f16_f32_e32 v84, v85
	s_delay_alu instid0(VALU_DEP_2) | instskip(NEXT) | instid1(VALU_DEP_1)
	v_cvt_f16_f32_e32 v87, v86
	v_pack_b32_f16 v84, v84, v87
	v_sub_f32_e32 v87, v189, v116
	s_delay_alu instid0(VALU_DEP_1) | instskip(SKIP_2) | instid1(VALU_DEP_3)
	v_mul_f32_e32 v96, 0x3fb8aa3b, v87
	v_cmp_ngt_f32_e64 s4, 0xc2ce8ed0, v87
	v_cmp_nlt_f32_e64 s5, 0x42b17218, v87
	v_fma_f32 v97, 0x3fb8aa3b, v87, -v96
	s_delay_alu instid0(VALU_DEP_1) | instskip(SKIP_1) | instid1(VALU_DEP_1)
	v_fmac_f32_e32 v97, 0x32a5705f, v87
	v_rndne_f32_e32 v87, v96
	v_sub_f32_e32 v96, v96, v87
	v_cvt_i32_f32_e32 v87, v87
	s_delay_alu instid0(VALU_DEP_2) | instskip(NEXT) | instid1(VALU_DEP_1)
	v_add_f32_e32 v96, v96, v97
	v_exp_f32_e32 v96, v96
	s_waitcnt_depctr 0xfff
	v_ldexp_f32 v87, v96, v87
	s_delay_alu instid0(VALU_DEP_1) | instskip(NEXT) | instid1(VALU_DEP_1)
	v_cndmask_b32_e64 v87, 0, v87, s4
	v_cndmask_b32_e64 v189, 0x7f800000, v87, s5
	ds_bpermute_b32 v87, v119, v189
	v_cndmask_b32_e64 v85, v85, v189, s2
	v_cndmask_b32_e64 v86, v86, v189, s3
	s_waitcnt lgkmcnt(0)
	s_delay_alu instid0(VALU_DEP_2) | instskip(NEXT) | instid1(VALU_DEP_2)
	v_cndmask_b32_e64 v96, v85, v87, s1
	v_cndmask_b32_e32 v86, v86, v87, vcc_lo
	s_delay_alu instid0(VALU_DEP_2) | instskip(NEXT) | instid1(VALU_DEP_2)
	v_cvt_f16_f32_e32 v85, v96
	v_cvt_f16_f32_e32 v87, v86
	s_delay_alu instid0(VALU_DEP_1) | instskip(SKIP_1) | instid1(VALU_DEP_1)
	v_pack_b32_f16 v85, v85, v87
	v_sub_f32_e32 v87, v188, v116
	v_mul_f32_e32 v97, 0x3fb8aa3b, v87
	v_cmp_ngt_f32_e64 s4, 0xc2ce8ed0, v87
	v_cmp_nlt_f32_e64 s5, 0x42b17218, v87
	s_delay_alu instid0(VALU_DEP_3) | instskip(NEXT) | instid1(VALU_DEP_1)
	v_fma_f32 v98, 0x3fb8aa3b, v87, -v97
	v_fmac_f32_e32 v98, 0x32a5705f, v87
	v_rndne_f32_e32 v87, v97
	s_delay_alu instid0(VALU_DEP_1) | instskip(SKIP_1) | instid1(VALU_DEP_2)
	v_sub_f32_e32 v97, v97, v87
	v_cvt_i32_f32_e32 v87, v87
	v_add_f32_e32 v97, v97, v98
	s_delay_alu instid0(VALU_DEP_1) | instskip(SKIP_2) | instid1(VALU_DEP_1)
	v_exp_f32_e32 v97, v97
	s_waitcnt_depctr 0xfff
	v_ldexp_f32 v87, v97, v87
	v_cndmask_b32_e64 v87, 0, v87, s4
	s_delay_alu instid0(VALU_DEP_1) | instskip(NEXT) | instid1(VALU_DEP_1)
	v_cndmask_b32_e64 v188, 0x7f800000, v87, s5
	v_cndmask_b32_e64 v87, v96, v188, s2
	ds_bpermute_b32 v96, v119, v188
	v_cndmask_b32_e64 v86, v86, v188, s3
	s_waitcnt lgkmcnt(0)
	v_cndmask_b32_e64 v87, v87, v96, s1
	s_delay_alu instid0(VALU_DEP_2) | instskip(NEXT) | instid1(VALU_DEP_2)
	v_cndmask_b32_e32 v96, v86, v96, vcc_lo
	v_cvt_f16_f32_e32 v86, v87
	s_delay_alu instid0(VALU_DEP_2) | instskip(NEXT) | instid1(VALU_DEP_1)
	v_cvt_f16_f32_e32 v97, v96
	v_pack_b32_f16 v86, v86, v97
	v_sub_f32_e32 v97, v186, v116
	s_delay_alu instid0(VALU_DEP_1) | instskip(SKIP_2) | instid1(VALU_DEP_3)
	v_mul_f32_e32 v98, 0x3fb8aa3b, v97
	v_cmp_ngt_f32_e64 s4, 0xc2ce8ed0, v97
	v_cmp_nlt_f32_e64 s5, 0x42b17218, v97
	v_fma_f32 v99, 0x3fb8aa3b, v97, -v98
	s_delay_alu instid0(VALU_DEP_1) | instskip(SKIP_1) | instid1(VALU_DEP_1)
	v_fmac_f32_e32 v99, 0x32a5705f, v97
	v_rndne_f32_e32 v97, v98
	v_sub_f32_e32 v98, v98, v97
	v_cvt_i32_f32_e32 v97, v97
	s_delay_alu instid0(VALU_DEP_2) | instskip(NEXT) | instid1(VALU_DEP_1)
	v_add_f32_e32 v98, v98, v99
	v_exp_f32_e32 v98, v98
	s_waitcnt_depctr 0xfff
	v_ldexp_f32 v97, v98, v97
	s_delay_alu instid0(VALU_DEP_1) | instskip(NEXT) | instid1(VALU_DEP_1)
	v_cndmask_b32_e64 v97, 0, v97, s4
	v_cndmask_b32_e64 v186, 0x7f800000, v97, s5
	ds_bpermute_b32 v97, v119, v186
	v_cndmask_b32_e64 v87, v87, v186, s2
	v_cndmask_b32_e64 v96, v96, v186, s3
	s_waitcnt lgkmcnt(0)
	s_delay_alu instid0(VALU_DEP_2) | instskip(NEXT) | instid1(VALU_DEP_2)
	v_cndmask_b32_e64 v87, v87, v97, s1
	v_cndmask_b32_e32 v96, v96, v97, vcc_lo
	s_delay_alu instid0(VALU_DEP_2) | instskip(NEXT) | instid1(VALU_DEP_2)
	v_cvt_f16_f32_e32 v87, v87
	v_cvt_f16_f32_e32 v96, v96
	s_delay_alu instid0(VALU_DEP_1)
	v_pack_b32_f16 v87, v87, v96
	ds_load_u16 v96, v225 offset:2816
	ds_load_u16 v97, v200 offset:352
	ds_load_u16 v98, v200 offset:704
	ds_load_u16 v99, v200 offset:1056
	ds_load_u16 v100, v200 offset:1408
	ds_load_u16 v101, v200 offset:1760
	ds_load_u16 v102, v200 offset:2112
	ds_load_u16 v103, v200 offset:2464
	s_waitcnt lgkmcnt(7)
	ds_load_u16_d16_hi v96, v225 offset:2992
	s_waitcnt lgkmcnt(7)
	ds_load_u16_d16_hi v97, v225 offset:3344
	s_waitcnt lgkmcnt(7)
	ds_load_u16_d16_hi v98, v225 offset:3696
	s_waitcnt lgkmcnt(7)
	ds_load_u16_d16_hi v99, v225 offset:4048
	s_waitcnt lgkmcnt(7)
	ds_load_u16_d16_hi v100, v225 offset:4400
	s_waitcnt lgkmcnt(7)
	ds_load_u16_d16_hi v101, v225 offset:4752
	s_waitcnt lgkmcnt(7)
	ds_load_u16_d16_hi v102, v225 offset:5104
	s_waitcnt lgkmcnt(7)
	ds_load_u16_d16_hi v103, v225 offset:5456
	s_waitcnt lgkmcnt(0)
	v_wmma_f32_16x16x16_f16 v[32:39], v[96:103], v[80:87], v[32:39]
	ds_load_u16 v96, v225 offset:2848
	ds_load_u16 v97, v230 offset:352
	ds_load_u16 v98, v230 offset:704
	ds_load_u16 v99, v230 offset:1056
	ds_load_u16 v100, v230 offset:1408
	ds_load_u16 v101, v230 offset:1760
	ds_load_u16 v102, v230 offset:2112
	ds_load_u16 v103, v230 offset:2464
	s_waitcnt lgkmcnt(7)
	ds_load_u16_d16_hi v96, v225 offset:3024
	s_waitcnt lgkmcnt(7)
	ds_load_u16_d16_hi v97, v225 offset:3376
	s_waitcnt lgkmcnt(7)
	ds_load_u16_d16_hi v98, v225 offset:3728
	s_waitcnt lgkmcnt(7)
	ds_load_u16_d16_hi v99, v225 offset:4080
	s_waitcnt lgkmcnt(7)
	ds_load_u16_d16_hi v100, v225 offset:4432
	s_waitcnt lgkmcnt(7)
	ds_load_u16_d16_hi v101, v225 offset:4784
	s_waitcnt lgkmcnt(7)
	ds_load_u16_d16_hi v102, v225 offset:5136
	s_waitcnt lgkmcnt(7)
	ds_load_u16_d16_hi v103, v225 offset:5488
	s_waitcnt lgkmcnt(0)
	v_wmma_f32_16x16x16_f16 v[24:31], v[96:103], v[80:87], v[24:31]
	;; [unrolled: 26-line block ×5, first 2 shown]
	v_sub_f32_e32 v80, v185, v116
	s_delay_alu instid0(VALU_DEP_1) | instskip(SKIP_2) | instid1(VALU_DEP_3)
	v_mul_f32_e32 v81, 0x3fb8aa3b, v80
	v_cmp_ngt_f32_e64 s4, 0xc2ce8ed0, v80
	v_cmp_nlt_f32_e64 s5, 0x42b17218, v80
	v_fma_f32 v82, 0x3fb8aa3b, v80, -v81
	s_delay_alu instid0(VALU_DEP_1) | instskip(SKIP_1) | instid1(VALU_DEP_1)
	v_fmac_f32_e32 v82, 0x32a5705f, v80
	v_sub_f32_e32 v80, v164, v116
	v_mul_f32_e32 v83, 0x3fb8aa3b, v80
	v_cmp_ngt_f32_e64 s6, 0xc2ce8ed0, v80
	v_cmp_nlt_f32_e64 s7, 0x42b17218, v80
	s_delay_alu instid0(VALU_DEP_3) | instskip(NEXT) | instid1(VALU_DEP_1)
	v_fma_f32 v84, 0x3fb8aa3b, v80, -v83
	v_fmac_f32_e32 v84, 0x32a5705f, v80
	v_rndne_f32_e32 v80, v81
	s_delay_alu instid0(VALU_DEP_1) | instskip(SKIP_1) | instid1(VALU_DEP_2)
	v_sub_f32_e32 v81, v81, v80
	v_cvt_i32_f32_e32 v80, v80
	v_add_f32_e32 v81, v81, v82
	v_rndne_f32_e32 v82, v83
	s_delay_alu instid0(VALU_DEP_2) | instskip(NEXT) | instid1(VALU_DEP_1)
	v_exp_f32_e32 v81, v81
	v_sub_f32_e32 v83, v83, v82
	s_delay_alu instid0(VALU_DEP_1) | instskip(SKIP_4) | instid1(VALU_DEP_2)
	v_add_f32_e32 v83, v83, v84
	s_waitcnt_depctr 0xfff
	v_ldexp_f32 v80, v81, v80
	v_cvt_i32_f32_e32 v81, v82
	v_exp_f32_e32 v82, v83
	v_cndmask_b32_e64 v80, 0, v80, s4
	s_delay_alu instid0(VALU_DEP_1) | instskip(SKIP_4) | instid1(VALU_DEP_1)
	v_cndmask_b32_e64 v164, 0x7f800000, v80, s5
	s_waitcnt_depctr 0xfff
	v_ldexp_f32 v81, v82, v81
	ds_bpermute_b32 v80, v119, v164
	v_cndmask_b32_e64 v81, 0, v81, s6
	v_cndmask_b32_e64 v185, 0x7f800000, v81, s7
	ds_bpermute_b32 v82, v119, v185
	s_waitcnt lgkmcnt(1)
	v_cndmask_b32_e32 v81, v164, v80, vcc_lo
	v_cndmask_b32_e64 v80, v164, v80, s1
	s_delay_alu instid0(VALU_DEP_2) | instskip(NEXT) | instid1(VALU_DEP_2)
	v_cndmask_b32_e64 v84, v81, v185, s3
	v_cndmask_b32_e64 v83, v80, v185, s2
	v_cvt_f16_f32_e32 v80, v80
	v_cvt_f16_f32_e32 v81, v81
	s_waitcnt lgkmcnt(0)
	s_delay_alu instid0(VALU_DEP_3) | instskip(SKIP_1) | instid1(VALU_DEP_3)
	v_cndmask_b32_e64 v83, v83, v82, s1
	v_cndmask_b32_e32 v82, v84, v82, vcc_lo
	v_pack_b32_f16 v80, v80, v81
	s_delay_alu instid0(VALU_DEP_3) | instskip(NEXT) | instid1(VALU_DEP_3)
	v_cvt_f16_f32_e32 v84, v83
	v_cvt_f16_f32_e32 v85, v82
	s_delay_alu instid0(VALU_DEP_1) | instskip(SKIP_1) | instid1(VALU_DEP_1)
	v_pack_b32_f16 v81, v84, v85
	v_sub_f32_e32 v84, v161, v116
	v_mul_f32_e32 v85, 0x3fb8aa3b, v84
	v_cmp_ngt_f32_e64 s4, 0xc2ce8ed0, v84
	v_cmp_nlt_f32_e64 s5, 0x42b17218, v84
	s_delay_alu instid0(VALU_DEP_3) | instskip(NEXT) | instid1(VALU_DEP_1)
	v_fma_f32 v86, 0x3fb8aa3b, v84, -v85
	v_fmac_f32_e32 v86, 0x32a5705f, v84
	v_rndne_f32_e32 v84, v85
	s_delay_alu instid0(VALU_DEP_1) | instskip(SKIP_1) | instid1(VALU_DEP_2)
	v_sub_f32_e32 v85, v85, v84
	v_cvt_i32_f32_e32 v84, v84
	v_add_f32_e32 v85, v85, v86
	s_delay_alu instid0(VALU_DEP_1) | instskip(SKIP_2) | instid1(VALU_DEP_1)
	v_exp_f32_e32 v85, v85
	s_waitcnt_depctr 0xfff
	v_ldexp_f32 v84, v85, v84
	v_cndmask_b32_e64 v84, 0, v84, s4
	s_delay_alu instid0(VALU_DEP_1) | instskip(SKIP_4) | instid1(VALU_DEP_2)
	v_cndmask_b32_e64 v161, 0x7f800000, v84, s5
	ds_bpermute_b32 v84, v119, v161
	v_cndmask_b32_e64 v83, v83, v161, s2
	v_cndmask_b32_e64 v82, v82, v161, s3
	s_waitcnt lgkmcnt(0)
	v_cndmask_b32_e64 v83, v83, v84, s1
	s_delay_alu instid0(VALU_DEP_2) | instskip(NEXT) | instid1(VALU_DEP_2)
	v_cndmask_b32_e32 v84, v82, v84, vcc_lo
	v_cvt_f16_f32_e32 v82, v83
	s_delay_alu instid0(VALU_DEP_2) | instskip(NEXT) | instid1(VALU_DEP_1)
	v_cvt_f16_f32_e32 v85, v84
	v_pack_b32_f16 v82, v82, v85
	v_sub_f32_e32 v85, v160, v116
	s_delay_alu instid0(VALU_DEP_1) | instskip(SKIP_2) | instid1(VALU_DEP_3)
	v_mul_f32_e32 v86, 0x3fb8aa3b, v85
	v_cmp_ngt_f32_e64 s4, 0xc2ce8ed0, v85
	v_cmp_nlt_f32_e64 s5, 0x42b17218, v85
	v_fma_f32 v87, 0x3fb8aa3b, v85, -v86
	s_delay_alu instid0(VALU_DEP_1) | instskip(SKIP_1) | instid1(VALU_DEP_1)
	v_fmac_f32_e32 v87, 0x32a5705f, v85
	v_rndne_f32_e32 v85, v86
	v_sub_f32_e32 v86, v86, v85
	v_cvt_i32_f32_e32 v85, v85
	s_delay_alu instid0(VALU_DEP_2) | instskip(NEXT) | instid1(VALU_DEP_1)
	v_add_f32_e32 v86, v86, v87
	v_exp_f32_e32 v86, v86
	s_waitcnt_depctr 0xfff
	v_ldexp_f32 v85, v86, v85
	s_delay_alu instid0(VALU_DEP_1) | instskip(NEXT) | instid1(VALU_DEP_1)
	v_cndmask_b32_e64 v85, 0, v85, s4
	v_cndmask_b32_e64 v160, 0x7f800000, v85, s5
	ds_bpermute_b32 v85, v119, v160
	v_cndmask_b32_e64 v83, v83, v160, s2
	v_cndmask_b32_e64 v84, v84, v160, s3
	s_waitcnt lgkmcnt(0)
	s_delay_alu instid0(VALU_DEP_2) | instskip(NEXT) | instid1(VALU_DEP_2)
	v_cndmask_b32_e64 v86, v83, v85, s1
	v_cndmask_b32_e32 v84, v84, v85, vcc_lo
	s_delay_alu instid0(VALU_DEP_2) | instskip(NEXT) | instid1(VALU_DEP_2)
	v_cvt_f16_f32_e32 v83, v86
	v_cvt_f16_f32_e32 v85, v84
	s_delay_alu instid0(VALU_DEP_1) | instskip(SKIP_1) | instid1(VALU_DEP_1)
	v_pack_b32_f16 v83, v83, v85
	v_sub_f32_e32 v85, v159, v116
	v_mul_f32_e32 v87, 0x3fb8aa3b, v85
	v_cmp_ngt_f32_e64 s4, 0xc2ce8ed0, v85
	v_cmp_nlt_f32_e64 s5, 0x42b17218, v85
	s_delay_alu instid0(VALU_DEP_3) | instskip(NEXT) | instid1(VALU_DEP_1)
	v_fma_f32 v96, 0x3fb8aa3b, v85, -v87
	v_fmac_f32_e32 v96, 0x32a5705f, v85
	v_rndne_f32_e32 v85, v87
	s_delay_alu instid0(VALU_DEP_1) | instskip(SKIP_1) | instid1(VALU_DEP_2)
	v_sub_f32_e32 v87, v87, v85
	v_cvt_i32_f32_e32 v85, v85
	v_add_f32_e32 v87, v87, v96
	s_delay_alu instid0(VALU_DEP_1) | instskip(SKIP_2) | instid1(VALU_DEP_1)
	v_exp_f32_e32 v87, v87
	s_waitcnt_depctr 0xfff
	v_ldexp_f32 v85, v87, v85
	v_cndmask_b32_e64 v85, 0, v85, s4
	s_delay_alu instid0(VALU_DEP_1) | instskip(NEXT) | instid1(VALU_DEP_1)
	v_cndmask_b32_e64 v159, 0x7f800000, v85, s5
	v_cndmask_b32_e64 v85, v86, v159, s2
	ds_bpermute_b32 v86, v119, v159
	v_cndmask_b32_e64 v84, v84, v159, s3
	s_waitcnt lgkmcnt(0)
	v_cndmask_b32_e64 v85, v85, v86, s1
	s_delay_alu instid0(VALU_DEP_2) | instskip(NEXT) | instid1(VALU_DEP_2)
	v_cndmask_b32_e32 v86, v84, v86, vcc_lo
	v_cvt_f16_f32_e32 v84, v85
	s_delay_alu instid0(VALU_DEP_2) | instskip(NEXT) | instid1(VALU_DEP_1)
	v_cvt_f16_f32_e32 v87, v86
	v_pack_b32_f16 v84, v84, v87
	v_sub_f32_e32 v87, v158, v116
	s_delay_alu instid0(VALU_DEP_1) | instskip(SKIP_2) | instid1(VALU_DEP_3)
	v_mul_f32_e32 v96, 0x3fb8aa3b, v87
	v_cmp_ngt_f32_e64 s4, 0xc2ce8ed0, v87
	v_cmp_nlt_f32_e64 s5, 0x42b17218, v87
	v_fma_f32 v97, 0x3fb8aa3b, v87, -v96
	s_delay_alu instid0(VALU_DEP_1) | instskip(SKIP_1) | instid1(VALU_DEP_1)
	v_fmac_f32_e32 v97, 0x32a5705f, v87
	v_rndne_f32_e32 v87, v96
	v_sub_f32_e32 v96, v96, v87
	v_cvt_i32_f32_e32 v87, v87
	s_delay_alu instid0(VALU_DEP_2) | instskip(NEXT) | instid1(VALU_DEP_1)
	v_add_f32_e32 v96, v96, v97
	v_exp_f32_e32 v96, v96
	s_waitcnt_depctr 0xfff
	v_ldexp_f32 v87, v96, v87
	s_delay_alu instid0(VALU_DEP_1) | instskip(NEXT) | instid1(VALU_DEP_1)
	v_cndmask_b32_e64 v87, 0, v87, s4
	v_cndmask_b32_e64 v158, 0x7f800000, v87, s5
	ds_bpermute_b32 v87, v119, v158
	v_cndmask_b32_e64 v85, v85, v158, s2
	v_cndmask_b32_e64 v86, v86, v158, s3
	s_waitcnt lgkmcnt(0)
	s_delay_alu instid0(VALU_DEP_2) | instskip(NEXT) | instid1(VALU_DEP_2)
	v_cndmask_b32_e64 v96, v85, v87, s1
	v_cndmask_b32_e32 v86, v86, v87, vcc_lo
	s_delay_alu instid0(VALU_DEP_2) | instskip(NEXT) | instid1(VALU_DEP_2)
	v_cvt_f16_f32_e32 v85, v96
	v_cvt_f16_f32_e32 v87, v86
	s_delay_alu instid0(VALU_DEP_1) | instskip(SKIP_1) | instid1(VALU_DEP_1)
	v_pack_b32_f16 v85, v85, v87
	v_sub_f32_e32 v87, v157, v116
	v_mul_f32_e32 v97, 0x3fb8aa3b, v87
	v_cmp_ngt_f32_e64 s4, 0xc2ce8ed0, v87
	v_cmp_nlt_f32_e64 s5, 0x42b17218, v87
	s_delay_alu instid0(VALU_DEP_3) | instskip(NEXT) | instid1(VALU_DEP_1)
	v_fma_f32 v98, 0x3fb8aa3b, v87, -v97
	v_fmac_f32_e32 v98, 0x32a5705f, v87
	v_rndne_f32_e32 v87, v97
	s_delay_alu instid0(VALU_DEP_1) | instskip(SKIP_1) | instid1(VALU_DEP_2)
	v_sub_f32_e32 v97, v97, v87
	v_cvt_i32_f32_e32 v87, v87
	v_add_f32_e32 v97, v97, v98
	s_delay_alu instid0(VALU_DEP_1) | instskip(SKIP_2) | instid1(VALU_DEP_1)
	v_exp_f32_e32 v97, v97
	s_waitcnt_depctr 0xfff
	v_ldexp_f32 v87, v97, v87
	v_cndmask_b32_e64 v87, 0, v87, s4
	s_delay_alu instid0(VALU_DEP_1) | instskip(NEXT) | instid1(VALU_DEP_1)
	v_cndmask_b32_e64 v157, 0x7f800000, v87, s5
	v_cndmask_b32_e64 v87, v96, v157, s2
	ds_bpermute_b32 v96, v119, v157
	v_cndmask_b32_e64 v86, v86, v157, s3
	s_waitcnt lgkmcnt(0)
	v_cndmask_b32_e64 v87, v87, v96, s1
	s_delay_alu instid0(VALU_DEP_2) | instskip(NEXT) | instid1(VALU_DEP_2)
	v_cndmask_b32_e32 v96, v86, v96, vcc_lo
	v_cvt_f16_f32_e32 v86, v87
	s_delay_alu instid0(VALU_DEP_2) | instskip(NEXT) | instid1(VALU_DEP_1)
	v_cvt_f16_f32_e32 v97, v96
	v_pack_b32_f16 v86, v86, v97
	v_sub_f32_e32 v97, v156, v116
	s_delay_alu instid0(VALU_DEP_1) | instskip(SKIP_2) | instid1(VALU_DEP_3)
	v_mul_f32_e32 v98, 0x3fb8aa3b, v97
	v_cmp_ngt_f32_e64 s4, 0xc2ce8ed0, v97
	v_cmp_nlt_f32_e64 s5, 0x42b17218, v97
	v_fma_f32 v99, 0x3fb8aa3b, v97, -v98
	s_delay_alu instid0(VALU_DEP_1) | instskip(SKIP_1) | instid1(VALU_DEP_1)
	v_fmac_f32_e32 v99, 0x32a5705f, v97
	v_rndne_f32_e32 v97, v98
	v_sub_f32_e32 v98, v98, v97
	v_cvt_i32_f32_e32 v97, v97
	s_delay_alu instid0(VALU_DEP_2) | instskip(NEXT) | instid1(VALU_DEP_1)
	v_add_f32_e32 v98, v98, v99
	v_exp_f32_e32 v98, v98
	s_waitcnt_depctr 0xfff
	v_ldexp_f32 v97, v98, v97
	s_delay_alu instid0(VALU_DEP_1) | instskip(NEXT) | instid1(VALU_DEP_1)
	v_cndmask_b32_e64 v97, 0, v97, s4
	v_cndmask_b32_e64 v156, 0x7f800000, v97, s5
	ds_bpermute_b32 v97, v119, v156
	v_cndmask_b32_e64 v87, v87, v156, s2
	v_cndmask_b32_e64 v96, v96, v156, s3
	s_waitcnt lgkmcnt(0)
	s_delay_alu instid0(VALU_DEP_2) | instskip(NEXT) | instid1(VALU_DEP_2)
	v_cndmask_b32_e64 v87, v87, v97, s1
	v_cndmask_b32_e32 v96, v96, v97, vcc_lo
	s_delay_alu instid0(VALU_DEP_2) | instskip(NEXT) | instid1(VALU_DEP_2)
	v_cvt_f16_f32_e32 v87, v87
	v_cvt_f16_f32_e32 v96, v96
	s_delay_alu instid0(VALU_DEP_1)
	v_pack_b32_f16 v87, v87, v96
	ds_load_u16 v96, v225 offset:5632
	ds_load_u16 v97, v214 offset:352
	ds_load_u16 v98, v214 offset:704
	ds_load_u16 v99, v214 offset:1056
	ds_load_u16 v100, v214 offset:1408
	ds_load_u16 v101, v214 offset:1760
	ds_load_u16 v102, v214 offset:2112
	ds_load_u16 v103, v214 offset:2464
	s_waitcnt lgkmcnt(7)
	ds_load_u16_d16_hi v96, v225 offset:5808
	s_waitcnt lgkmcnt(7)
	ds_load_u16_d16_hi v97, v225 offset:6160
	s_waitcnt lgkmcnt(7)
	ds_load_u16_d16_hi v98, v225 offset:6512
	s_waitcnt lgkmcnt(7)
	ds_load_u16_d16_hi v99, v225 offset:6864
	s_waitcnt lgkmcnt(7)
	ds_load_u16_d16_hi v100, v225 offset:7216
	s_waitcnt lgkmcnt(7)
	ds_load_u16_d16_hi v101, v225 offset:7568
	s_waitcnt lgkmcnt(7)
	ds_load_u16_d16_hi v102, v225 offset:7920
	s_waitcnt lgkmcnt(7)
	ds_load_u16_d16_hi v103, v225 offset:8272
	s_waitcnt lgkmcnt(0)
	v_wmma_f32_16x16x16_f16 v[32:39], v[96:103], v[80:87], v[32:39]
	ds_load_u16 v96, v225 offset:5664
	ds_load_u16 v97, v231 offset:352
	ds_load_u16 v98, v231 offset:704
	ds_load_u16 v99, v231 offset:1056
	ds_load_u16 v100, v231 offset:1408
	ds_load_u16 v101, v231 offset:1760
	ds_load_u16 v102, v231 offset:2112
	ds_load_u16 v103, v231 offset:2464
	s_waitcnt lgkmcnt(7)
	ds_load_u16_d16_hi v96, v225 offset:5840
	s_waitcnt lgkmcnt(7)
	ds_load_u16_d16_hi v97, v225 offset:6192
	s_waitcnt lgkmcnt(7)
	ds_load_u16_d16_hi v98, v225 offset:6544
	s_waitcnt lgkmcnt(7)
	ds_load_u16_d16_hi v99, v225 offset:6896
	s_waitcnt lgkmcnt(7)
	ds_load_u16_d16_hi v100, v225 offset:7248
	s_waitcnt lgkmcnt(7)
	ds_load_u16_d16_hi v101, v225 offset:7600
	s_waitcnt lgkmcnt(7)
	ds_load_u16_d16_hi v102, v225 offset:7952
	s_waitcnt lgkmcnt(7)
	ds_load_u16_d16_hi v103, v225 offset:8304
	s_waitcnt lgkmcnt(0)
	v_wmma_f32_16x16x16_f16 v[24:31], v[96:103], v[80:87], v[24:31]
	;; [unrolled: 26-line block ×5, first 2 shown]
	v_sub_f32_e32 v80, v95, v116
	s_delay_alu instid0(VALU_DEP_1) | instskip(SKIP_2) | instid1(VALU_DEP_3)
	v_mul_f32_e32 v81, 0x3fb8aa3b, v80
	v_cmp_ngt_f32_e64 s4, 0xc2ce8ed0, v80
	v_cmp_nlt_f32_e64 s5, 0x42b17218, v80
	v_fma_f32 v82, 0x3fb8aa3b, v80, -v81
	s_delay_alu instid0(VALU_DEP_1) | instskip(SKIP_1) | instid1(VALU_DEP_1)
	v_fmac_f32_e32 v82, 0x32a5705f, v80
	v_sub_f32_e32 v80, v94, v116
	v_mul_f32_e32 v83, 0x3fb8aa3b, v80
	v_cmp_ngt_f32_e64 s6, 0xc2ce8ed0, v80
	v_cmp_nlt_f32_e64 s7, 0x42b17218, v80
	s_delay_alu instid0(VALU_DEP_3) | instskip(NEXT) | instid1(VALU_DEP_1)
	v_fma_f32 v84, 0x3fb8aa3b, v80, -v83
	v_fmac_f32_e32 v84, 0x32a5705f, v80
	v_rndne_f32_e32 v80, v81
	s_delay_alu instid0(VALU_DEP_1) | instskip(SKIP_1) | instid1(VALU_DEP_2)
	v_sub_f32_e32 v81, v81, v80
	v_cvt_i32_f32_e32 v80, v80
	v_add_f32_e32 v81, v81, v82
	v_rndne_f32_e32 v82, v83
	s_delay_alu instid0(VALU_DEP_2) | instskip(NEXT) | instid1(VALU_DEP_1)
	v_exp_f32_e32 v81, v81
	v_sub_f32_e32 v83, v83, v82
	s_delay_alu instid0(VALU_DEP_1) | instskip(SKIP_4) | instid1(VALU_DEP_2)
	v_add_f32_e32 v83, v83, v84
	s_waitcnt_depctr 0xfff
	v_ldexp_f32 v80, v81, v80
	v_cvt_i32_f32_e32 v81, v82
	v_exp_f32_e32 v82, v83
	v_cndmask_b32_e64 v80, 0, v80, s4
	s_delay_alu instid0(VALU_DEP_1)
	v_cndmask_b32_e64 v193, 0x7f800000, v80, s5
	s_waitcnt_depctr 0xfff
	v_ldexp_f32 v81, v82, v81
	ds_bpermute_b32 v80, v119, v193
	v_cndmask_b32_e64 v81, 0, v81, s6
	v_add_co_u32 v124, s6, v124, s74
	s_delay_alu instid0(VALU_DEP_2)
	v_cndmask_b32_e64 v194, 0x7f800000, v81, s7
	v_add_co_u32 v126, s7, v126, s74
	ds_bpermute_b32 v82, v119, v194
	s_waitcnt lgkmcnt(1)
	v_cndmask_b32_e32 v81, v193, v80, vcc_lo
	v_cndmask_b32_e64 v80, v193, v80, s1
	s_delay_alu instid0(VALU_DEP_2) | instskip(NEXT) | instid1(VALU_DEP_2)
	v_cndmask_b32_e64 v84, v81, v194, s3
	v_cndmask_b32_e64 v83, v80, v194, s2
	v_cvt_f16_f32_e32 v80, v80
	v_cvt_f16_f32_e32 v81, v81
	s_waitcnt lgkmcnt(0)
	s_delay_alu instid0(VALU_DEP_3) | instskip(SKIP_1) | instid1(VALU_DEP_3)
	v_cndmask_b32_e64 v83, v83, v82, s1
	v_cndmask_b32_e32 v82, v84, v82, vcc_lo
	v_pack_b32_f16 v80, v80, v81
	s_delay_alu instid0(VALU_DEP_3) | instskip(NEXT) | instid1(VALU_DEP_3)
	v_cvt_f16_f32_e32 v84, v83
	v_cvt_f16_f32_e32 v85, v82
	s_delay_alu instid0(VALU_DEP_1) | instskip(SKIP_1) | instid1(VALU_DEP_1)
	v_pack_b32_f16 v81, v84, v85
	v_sub_f32_e32 v84, v93, v116
	v_mul_f32_e32 v85, 0x3fb8aa3b, v84
	v_cmp_ngt_f32_e64 s4, 0xc2ce8ed0, v84
	v_cmp_nlt_f32_e64 s5, 0x42b17218, v84
	s_delay_alu instid0(VALU_DEP_3) | instskip(NEXT) | instid1(VALU_DEP_1)
	v_fma_f32 v86, 0x3fb8aa3b, v84, -v85
	v_fmac_f32_e32 v86, 0x32a5705f, v84
	v_rndne_f32_e32 v84, v85
	s_delay_alu instid0(VALU_DEP_1) | instskip(SKIP_1) | instid1(VALU_DEP_2)
	v_sub_f32_e32 v85, v85, v84
	v_cvt_i32_f32_e32 v84, v84
	v_add_f32_e32 v85, v85, v86
	s_delay_alu instid0(VALU_DEP_1) | instskip(SKIP_2) | instid1(VALU_DEP_1)
	v_exp_f32_e32 v85, v85
	s_waitcnt_depctr 0xfff
	v_ldexp_f32 v84, v85, v84
	v_cndmask_b32_e64 v84, 0, v84, s4
	s_delay_alu instid0(VALU_DEP_1) | instskip(SKIP_4) | instid1(VALU_DEP_2)
	v_cndmask_b32_e64 v202, 0x7f800000, v84, s5
	ds_bpermute_b32 v84, v119, v202
	v_cndmask_b32_e64 v83, v83, v202, s2
	v_cndmask_b32_e64 v82, v82, v202, s3
	s_waitcnt lgkmcnt(0)
	v_cndmask_b32_e64 v83, v83, v84, s1
	s_delay_alu instid0(VALU_DEP_2) | instskip(NEXT) | instid1(VALU_DEP_2)
	v_cndmask_b32_e32 v84, v82, v84, vcc_lo
	v_cvt_f16_f32_e32 v82, v83
	s_delay_alu instid0(VALU_DEP_2) | instskip(NEXT) | instid1(VALU_DEP_1)
	v_cvt_f16_f32_e32 v85, v84
	v_pack_b32_f16 v82, v82, v85
	v_sub_f32_e32 v85, v92, v116
	s_delay_alu instid0(VALU_DEP_1) | instskip(SKIP_2) | instid1(VALU_DEP_3)
	v_mul_f32_e32 v86, 0x3fb8aa3b, v85
	v_cmp_ngt_f32_e64 s4, 0xc2ce8ed0, v85
	v_cmp_nlt_f32_e64 s5, 0x42b17218, v85
	v_fma_f32 v87, 0x3fb8aa3b, v85, -v86
	s_delay_alu instid0(VALU_DEP_1) | instskip(SKIP_1) | instid1(VALU_DEP_1)
	v_fmac_f32_e32 v87, 0x32a5705f, v85
	v_rndne_f32_e32 v85, v86
	v_sub_f32_e32 v86, v86, v85
	v_cvt_i32_f32_e32 v85, v85
	s_delay_alu instid0(VALU_DEP_2) | instskip(NEXT) | instid1(VALU_DEP_1)
	v_add_f32_e32 v86, v86, v87
	v_exp_f32_e32 v86, v86
	s_waitcnt_depctr 0xfff
	v_ldexp_f32 v85, v86, v85
	s_delay_alu instid0(VALU_DEP_1) | instskip(NEXT) | instid1(VALU_DEP_1)
	v_cndmask_b32_e64 v85, 0, v85, s4
	v_cndmask_b32_e64 v212, 0x7f800000, v85, s5
	ds_bpermute_b32 v85, v119, v212
	v_cndmask_b32_e64 v83, v83, v212, s2
	v_cndmask_b32_e64 v84, v84, v212, s3
	s_waitcnt lgkmcnt(0)
	s_delay_alu instid0(VALU_DEP_2) | instskip(NEXT) | instid1(VALU_DEP_2)
	v_cndmask_b32_e64 v86, v83, v85, s1
	v_cndmask_b32_e32 v84, v84, v85, vcc_lo
	s_delay_alu instid0(VALU_DEP_2) | instskip(NEXT) | instid1(VALU_DEP_2)
	v_cvt_f16_f32_e32 v83, v86
	v_cvt_f16_f32_e32 v85, v84
	s_delay_alu instid0(VALU_DEP_1) | instskip(SKIP_1) | instid1(VALU_DEP_1)
	v_pack_b32_f16 v83, v83, v85
	v_sub_f32_e32 v85, v91, v116
	v_mul_f32_e32 v87, 0x3fb8aa3b, v85
	v_cmp_ngt_f32_e64 s4, 0xc2ce8ed0, v85
	v_cmp_nlt_f32_e64 s5, 0x42b17218, v85
	s_delay_alu instid0(VALU_DEP_3) | instskip(NEXT) | instid1(VALU_DEP_1)
	v_fma_f32 v91, 0x3fb8aa3b, v85, -v87
	v_fmac_f32_e32 v91, 0x32a5705f, v85
	v_rndne_f32_e32 v85, v87
	s_delay_alu instid0(VALU_DEP_1) | instskip(SKIP_1) | instid1(VALU_DEP_2)
	v_sub_f32_e32 v87, v87, v85
	v_cvt_i32_f32_e32 v85, v85
	v_add_f32_e32 v87, v87, v91
	s_delay_alu instid0(VALU_DEP_1) | instskip(SKIP_2) | instid1(VALU_DEP_1)
	v_exp_f32_e32 v87, v87
	s_waitcnt_depctr 0xfff
	v_ldexp_f32 v85, v87, v85
	v_cndmask_b32_e64 v85, 0, v85, s4
	s_delay_alu instid0(VALU_DEP_1) | instskip(NEXT) | instid1(VALU_DEP_1)
	v_cndmask_b32_e64 v213, 0x7f800000, v85, s5
	v_cndmask_b32_e64 v85, v86, v213, s2
	ds_bpermute_b32 v86, v119, v213
	v_cndmask_b32_e64 v84, v84, v213, s3
	s_waitcnt lgkmcnt(0)
	v_cndmask_b32_e64 v85, v85, v86, s1
	s_delay_alu instid0(VALU_DEP_2) | instskip(NEXT) | instid1(VALU_DEP_2)
	v_cndmask_b32_e32 v86, v84, v86, vcc_lo
	v_cvt_f16_f32_e32 v84, v85
	s_delay_alu instid0(VALU_DEP_2) | instskip(NEXT) | instid1(VALU_DEP_1)
	v_cvt_f16_f32_e32 v87, v86
	v_pack_b32_f16 v84, v84, v87
	v_sub_f32_e32 v87, v90, v116
	s_delay_alu instid0(VALU_DEP_1) | instskip(SKIP_2) | instid1(VALU_DEP_3)
	v_mul_f32_e32 v90, 0x3fb8aa3b, v87
	v_cmp_ngt_f32_e64 s4, 0xc2ce8ed0, v87
	v_cmp_nlt_f32_e64 s5, 0x42b17218, v87
	v_fma_f32 v91, 0x3fb8aa3b, v87, -v90
	s_delay_alu instid0(VALU_DEP_1) | instskip(SKIP_1) | instid1(VALU_DEP_1)
	v_fmac_f32_e32 v91, 0x32a5705f, v87
	v_rndne_f32_e32 v87, v90
	v_sub_f32_e32 v90, v90, v87
	v_cvt_i32_f32_e32 v87, v87
	s_delay_alu instid0(VALU_DEP_2) | instskip(NEXT) | instid1(VALU_DEP_1)
	v_add_f32_e32 v90, v90, v91
	v_exp_f32_e32 v90, v90
	s_waitcnt_depctr 0xfff
	v_ldexp_f32 v87, v90, v87
	s_delay_alu instid0(VALU_DEP_1) | instskip(NEXT) | instid1(VALU_DEP_1)
	v_cndmask_b32_e64 v87, 0, v87, s4
	v_cndmask_b32_e64 v215, 0x7f800000, v87, s5
	ds_bpermute_b32 v87, v119, v215
	v_cndmask_b32_e64 v85, v85, v215, s2
	v_cndmask_b32_e64 v86, v86, v215, s3
	s_waitcnt lgkmcnt(0)
	s_delay_alu instid0(VALU_DEP_2) | instskip(NEXT) | instid1(VALU_DEP_2)
	v_cndmask_b32_e64 v90, v85, v87, s1
	v_cndmask_b32_e32 v86, v86, v87, vcc_lo
	s_delay_alu instid0(VALU_DEP_2) | instskip(NEXT) | instid1(VALU_DEP_2)
	v_cvt_f16_f32_e32 v85, v90
	v_cvt_f16_f32_e32 v87, v86
	s_delay_alu instid0(VALU_DEP_1) | instskip(SKIP_1) | instid1(VALU_DEP_1)
	v_pack_b32_f16 v85, v85, v87
	v_sub_f32_e32 v87, v89, v116
	v_mul_f32_e32 v89, 0x3fb8aa3b, v87
	v_cmp_ngt_f32_e64 s4, 0xc2ce8ed0, v87
	v_cmp_nlt_f32_e64 s5, 0x42b17218, v87
	s_delay_alu instid0(VALU_DEP_3) | instskip(NEXT) | instid1(VALU_DEP_1)
	v_fma_f32 v91, 0x3fb8aa3b, v87, -v89
	v_fmac_f32_e32 v91, 0x32a5705f, v87
	v_rndne_f32_e32 v87, v89
	s_delay_alu instid0(VALU_DEP_1) | instskip(SKIP_1) | instid1(VALU_DEP_2)
	v_sub_f32_e32 v89, v89, v87
	v_cvt_i32_f32_e32 v87, v87
	v_add_f32_e32 v89, v89, v91
	s_delay_alu instid0(VALU_DEP_1) | instskip(SKIP_2) | instid1(VALU_DEP_1)
	v_exp_f32_e32 v89, v89
	s_waitcnt_depctr 0xfff
	v_ldexp_f32 v87, v89, v87
	v_cndmask_b32_e64 v87, 0, v87, s4
	v_cmp_ngt_f32_e64 s4, 0xc2ce8ed0, v88
	s_delay_alu instid0(VALU_DEP_2)
	v_cndmask_b32_e64 v216, 0x7f800000, v87, s5
	v_cmp_nlt_f32_e64 s5, 0x42b17218, v88
	ds_bpermute_b32 v89, v119, v216
	v_cndmask_b32_e64 v87, v90, v216, s2
	v_cndmask_b32_e64 v86, v86, v216, s3
	s_waitcnt lgkmcnt(0)
	s_delay_alu instid0(VALU_DEP_2) | instskip(NEXT) | instid1(VALU_DEP_2)
	v_cndmask_b32_e64 v87, v87, v89, s1
	v_cndmask_b32_e32 v89, v86, v89, vcc_lo
	s_delay_alu instid0(VALU_DEP_2) | instskip(NEXT) | instid1(VALU_DEP_2)
	v_cvt_f16_f32_e32 v86, v87
	v_cvt_f16_f32_e32 v90, v89
	s_delay_alu instid0(VALU_DEP_1) | instskip(SKIP_1) | instid1(VALU_DEP_1)
	v_pack_b32_f16 v86, v86, v90
	v_mul_f32_e32 v90, 0x3fb8aa3b, v88
	v_fma_f32 v91, 0x3fb8aa3b, v88, -v90
	s_delay_alu instid0(VALU_DEP_1) | instskip(SKIP_1) | instid1(VALU_DEP_1)
	v_fmac_f32_e32 v91, 0x32a5705f, v88
	v_rndne_f32_e32 v88, v90
	v_sub_f32_e32 v90, v90, v88
	v_cvt_i32_f32_e32 v88, v88
	s_delay_alu instid0(VALU_DEP_2) | instskip(NEXT) | instid1(VALU_DEP_1)
	v_add_f32_e32 v90, v90, v91
	v_exp_f32_e32 v90, v90
	s_waitcnt_depctr 0xfff
	v_ldexp_f32 v88, v90, v88
	s_delay_alu instid0(VALU_DEP_1) | instskip(SKIP_1) | instid1(VALU_DEP_2)
	v_cndmask_b32_e64 v88, 0, v88, s4
	v_add_co_u32 v120, s4, v120, s74
	v_cndmask_b32_e64 v217, 0x7f800000, v88, s5
	v_add_co_u32 v122, s5, v122, s74
	s_delay_alu instid0(VALU_DEP_2)
	v_cndmask_b32_e64 v88, v89, v217, s3
	ds_bpermute_b32 v89, v119, v217
	v_cndmask_b32_e64 v87, v87, v217, s2
	v_add_co_u32 v112, s2, 0x80, v112
	v_add_co_u32 v114, s3, 0x80, v114
	s_waitcnt lgkmcnt(0)
	s_delay_alu instid0(VALU_DEP_3) | instskip(SKIP_3) | instid1(VALU_DEP_4)
	v_cndmask_b32_e64 v87, v87, v89, s1
	v_cndmask_b32_e32 v88, v88, v89, vcc_lo
	v_add_co_u32 v108, vcc_lo, 0x80, v108
	v_add_co_u32 v110, s1, 0x80, v110
	v_cvt_f16_f32_e32 v87, v87
	s_delay_alu instid0(VALU_DEP_4) | instskip(SKIP_2) | instid1(VALU_DEP_3)
	v_cvt_f16_f32_e32 v88, v88
	v_add_co_ci_u32_e32 v109, vcc_lo, 0, v109, vcc_lo
	v_add_co_ci_u32_e64 v111, vcc_lo, 0, v111, s1
	v_pack_b32_f16 v87, v87, v88
	ds_load_u16 v88, v225 offset:8448
	ds_load_u16 v89, v228 offset:352
	;; [unrolled: 1-line block ×8, first 2 shown]
	s_waitcnt lgkmcnt(7)
	ds_load_u16_d16_hi v88, v225 offset:8624
	s_waitcnt lgkmcnt(7)
	ds_load_u16_d16_hi v89, v225 offset:8976
	;; [unrolled: 2-line block ×8, first 2 shown]
	v_add_co_ci_u32_e64 v113, vcc_lo, 0, v113, s2
	v_add_co_ci_u32_e64 v115, vcc_lo, 0, v115, s3
	;; [unrolled: 1-line block ×10, first 2 shown]
	s_waitcnt lgkmcnt(0)
	v_wmma_f32_16x16x16_f16 v[32:39], v[88:95], v[80:87], v[32:39]
	ds_load_u16 v88, v225 offset:8480
	ds_load_u16 v89, v232 offset:352
	;; [unrolled: 1-line block ×8, first 2 shown]
	s_waitcnt lgkmcnt(7)
	ds_load_u16_d16_hi v88, v225 offset:8656
	s_waitcnt lgkmcnt(7)
	ds_load_u16_d16_hi v89, v225 offset:9008
	;; [unrolled: 2-line block ×8, first 2 shown]
	v_add_co_ci_u32_e64 v155, vcc_lo, s77, v155, s12
	v_add_co_u32 v104, vcc_lo, v104, s74
	v_add_co_ci_u32_e32 v105, vcc_lo, s75, v105, vcc_lo
	s_waitcnt lgkmcnt(0)
	v_wmma_f32_16x16x16_f16 v[24:31], v[88:95], v[80:87], v[24:31]
	ds_load_u16 v88, v225 offset:8512
	ds_load_u16 v89, v236 offset:352
	ds_load_u16 v90, v236 offset:704
	ds_load_u16 v91, v236 offset:1056
	ds_load_u16 v92, v236 offset:1408
	ds_load_u16 v93, v236 offset:1760
	ds_load_u16 v94, v236 offset:2112
	ds_load_u16 v95, v236 offset:2464
	s_waitcnt lgkmcnt(7)
	ds_load_u16_d16_hi v88, v225 offset:8688
	s_waitcnt lgkmcnt(7)
	ds_load_u16_d16_hi v89, v225 offset:9040
	s_waitcnt lgkmcnt(7)
	ds_load_u16_d16_hi v90, v225 offset:9392
	s_waitcnt lgkmcnt(7)
	ds_load_u16_d16_hi v91, v225 offset:9744
	s_waitcnt lgkmcnt(7)
	ds_load_u16_d16_hi v92, v225 offset:10096
	s_waitcnt lgkmcnt(7)
	ds_load_u16_d16_hi v93, v225 offset:10448
	s_waitcnt lgkmcnt(7)
	ds_load_u16_d16_hi v94, v225 offset:10800
	s_waitcnt lgkmcnt(7)
	ds_load_u16_d16_hi v95, v225 offset:11152
	s_waitcnt lgkmcnt(0)
	v_wmma_f32_16x16x16_f16 v[16:23], v[88:95], v[80:87], v[16:23]
	ds_load_u16 v88, v225 offset:8544
	ds_load_u16 v89, v240 offset:352
	ds_load_u16 v90, v240 offset:704
	ds_load_u16 v91, v240 offset:1056
	ds_load_u16 v92, v240 offset:1408
	ds_load_u16 v93, v240 offset:1760
	ds_load_u16 v94, v240 offset:2112
	ds_load_u16 v95, v240 offset:2464
	s_waitcnt lgkmcnt(7)
	ds_load_u16_d16_hi v88, v225 offset:8720
	s_waitcnt lgkmcnt(7)
	ds_load_u16_d16_hi v89, v225 offset:9072
	s_waitcnt lgkmcnt(7)
	ds_load_u16_d16_hi v90, v225 offset:9424
	s_waitcnt lgkmcnt(7)
	ds_load_u16_d16_hi v91, v225 offset:9776
	s_waitcnt lgkmcnt(7)
	ds_load_u16_d16_hi v92, v225 offset:10128
	s_waitcnt lgkmcnt(7)
	ds_load_u16_d16_hi v93, v225 offset:10480
	s_waitcnt lgkmcnt(7)
	ds_load_u16_d16_hi v94, v225 offset:10832
	s_waitcnt lgkmcnt(7)
	ds_load_u16_d16_hi v95, v225 offset:11184
	;; [unrolled: 26-line block ×3, first 2 shown]
	s_waitcnt lgkmcnt(0)
	v_wmma_f32_16x16x16_f16 v[0:7], v[88:95], v[80:87], v[0:7]
	v_add_f32_e32 v80, v195, v196
	v_mov_b32_e32 v81, v147
	s_delay_alu instid0(VALU_DEP_2) | instskip(NEXT) | instid1(VALU_DEP_1)
	v_add_f32_e32 v80, v199, v80
	v_add_f32_e32 v80, v201, v80
	s_delay_alu instid0(VALU_DEP_1) | instskip(NEXT) | instid1(VALU_DEP_1)
	v_add_f32_e32 v80, v207, v80
	v_add_f32_e32 v80, v208, v80
	s_delay_alu instid0(VALU_DEP_1) | instskip(NEXT) | instid1(VALU_DEP_1)
	;; [unrolled: 3-line block ×14, first 2 shown]
	v_add_f32_e32 v80, v216, v80
	v_add_f32_e32 v147, v217, v80
	scratch_load_b32 v217, off, off offset:60 ; 4-byte Folded Reload
	s_waitcnt vmcnt(0)
	s_barrier
	buffer_gl0_inv
	v_fmac_f32_e32 v147, v81, v211
	s_cbranch_scc1 .LBB9_293
; %bb.294:                              ;   in Loop: Header=BB9_15 Depth=1
	s_clause 0xa
	scratch_load_b32 v201, off, off offset:272
	scratch_load_b32 v202, off, off offset:276
	;; [unrolled: 1-line block ×3, first 2 shown]
	scratch_load_b64 v[80:81], off, off offset:344
	scratch_load_b32 v215, off, off offset:352
	scratch_load_b32 v216, off, off offset:356
	scratch_load_b64 v[188:189], off, off offset:4
	scratch_load_b64 v[208:209], off, off offset:12
	;; [unrolled: 1-line block ×4, first 2 shown]
	scratch_load_b32 v195, off, off offset:360
	v_readlane_b32 s6, v255, 30
	s_waitcnt vmcnt(7)
	v_dual_mov_b32 v191, v80 :: v_dual_add_nc_u32 v192, 48, v201
	v_and_b32_e32 v193, 15, v201
	v_add_nc_u32_e32 v194, 32, v201
	v_add_nc_u32_e32 v196, 12, v201
	;; [unrolled: 1-line block ×3, first 2 shown]
.LBB9_295:                              ;   in Loop: Header=BB9_15 Depth=1
	s_lshl_b32 s70, s58, 6
	s_waitcnt vmcnt(0)
	v_lshlrev_b32_e32 v82, 1, v195
	s_lshl_b64 s[2:3], s[70:71], 1
	v_lshlrev_b64 v[80:81], 1, v[128:129]
	s_add_u32 s1, vcc_hi, s2
	v_dual_mov_b32 v126, s43 :: v_dual_mov_b32 v119, s36
	s_addc_u32 s2, s66, s3
	v_mov_b32_e32 v125, s42
	v_add_co_u32 v88, s1, s1, v82
	s_delay_alu instid0(VALU_DEP_1) | instskip(SKIP_1) | instid1(VALU_DEP_3)
	v_add_co_ci_u32_e64 v89, null, s2, 0, s1
	v_lshlrev_b64 v[82:83], 1, v[249:250]
	v_add_co_u32 v80, vcc_lo, v88, v80
	v_lshlrev_b64 v[84:85], 1, v[245:246]
	s_delay_alu instid0(VALU_DEP_4) | instskip(NEXT) | instid1(VALU_DEP_4)
	v_add_co_ci_u32_e32 v81, vcc_lo, v89, v81, vcc_lo
	v_add_co_u32 v82, vcc_lo, v88, v82
	v_lshlrev_b64 v[86:87], 1, v[177:178]
	v_add_co_ci_u32_e32 v83, vcc_lo, v89, v83, vcc_lo
	v_add_co_u32 v84, vcc_lo, v88, v84
	v_add_co_ci_u32_e32 v85, vcc_lo, v89, v85, vcc_lo
	s_delay_alu instid0(VALU_DEP_4)
	v_add_co_u32 v86, vcc_lo, v88, v86
	v_add_co_ci_u32_e32 v87, vcc_lo, v89, v87, vcc_lo
	s_clause 0x3
	global_load_b32 v80, v[80:81], off
	global_load_b32 v81, v[82:83], off
	;; [unrolled: 1-line block ×4, first 2 shown]
	scratch_load_b64 v[245:246], off, off offset:52 ; 8-byte Folded Reload
	v_dual_mov_b32 v123, s40 :: v_dual_add_nc_u32 v84, v221, v248
	s_mul_i32 s1, s53, s70
	s_mul_hi_u32 s3, s52, s70
	s_mul_i32 s2, s52, s70
	s_delay_alu instid0(VALU_DEP_1)
	v_dual_mov_b32 v124, s41 :: v_dual_add_nc_u32 v85, 0x2c00, v84
	s_add_i32 s3, s3, s1
	v_mov_b32_e32 v122, s39
	s_lshl_b64 s[2:3], s[2:3], 2
	v_mov_b32_e32 v120, s37
	s_add_u32 s1, s103, s2
	s_addc_u32 s2, s104, s3
	s_mul_hi_u32 s3, s46, s70
	v_mov_b32_e32 v121, s38
	s_waitcnt vmcnt(3)
	ds_store_2addr_b32 v85, v80, v81 offset1:144
	v_add_nc_u32_e32 v80, 0x3000, v84
	s_waitcnt vmcnt(1)
	ds_store_2addr_b32 v80, v82, v83 offset0:32 offset1:176
	s_waitcnt vmcnt(0)
	v_add_co_u32 v80, vcc_lo, s1, v245
	v_add_co_ci_u32_e32 v81, vcc_lo, s2, v246, vcc_lo
	s_delay_alu instid0(VALU_DEP_2) | instskip(NEXT) | instid1(VALU_DEP_2)
	v_add_co_u32 v80, vcc_lo, v80, v251
	v_add_co_ci_u32_e32 v81, vcc_lo, 0, v81, vcc_lo
	v_add_co_u32 v82, vcc_lo, s1, v188
	v_add_co_ci_u32_e32 v83, vcc_lo, s2, v189, vcc_lo
	s_delay_alu instid0(VALU_DEP_2) | instskip(NEXT) | instid1(VALU_DEP_2)
	v_add_co_u32 v84, vcc_lo, v82, v226
	v_add_co_ci_u32_e32 v85, vcc_lo, 0, v83, vcc_lo
	s_clause 0x1
	global_load_b128 v[80:83], v[80:81], off offset:128
	global_load_b128 v[84:87], v[84:85], off
	s_waitcnt vmcnt(1)
	ds_store_b128 v198, v[80:83]
	v_add_co_u32 v80, vcc_lo, s1, v208
	v_add_co_ci_u32_e32 v81, vcc_lo, s2, v209, vcc_lo
	s_delay_alu instid0(VALU_DEP_2) | instskip(NEXT) | instid1(VALU_DEP_2)
	v_add_co_u32 v80, vcc_lo, v80, v226
	v_add_co_ci_u32_e32 v81, vcc_lo, 0, v81, vcc_lo
	v_add_co_u32 v82, vcc_lo, s1, v210
	v_add_co_ci_u32_e32 v83, vcc_lo, s2, v211, vcc_lo
	s_delay_alu instid0(VALU_DEP_2) | instskip(NEXT) | instid1(VALU_DEP_2)
	v_add_co_u32 v88, vcc_lo, v82, v226
	v_add_co_ci_u32_e32 v89, vcc_lo, 0, v83, vcc_lo
	s_clause 0x1
	global_load_b128 v[80:83], v[80:81], off
	global_load_b128 v[88:91], v[88:89], off
	s_waitcnt vmcnt(2)
	ds_store_b128 v204, v[84:87]
	s_waitcnt vmcnt(1)
	ds_store_b128 v205, v[80:83]
	v_add_co_u32 v80, vcc_lo, s1, v212
	v_add_co_ci_u32_e32 v81, vcc_lo, s2, v213, vcc_lo
	s_mul_i32 s1, s47, s70
	s_delay_alu instid0(VALU_DEP_2) | instskip(NEXT) | instid1(VALU_DEP_2)
	v_add_co_u32 v80, vcc_lo, v80, v226
	v_add_co_ci_u32_e32 v81, vcc_lo, 0, v81, vcc_lo
	v_cmp_lt_i32_e32 vcc_lo, v117, v118
	s_mul_i32 s2, s46, s70
	s_add_i32 s3, s3, s1
	global_load_b128 v[80:83], v[80:81], off
	s_lshl_b64 s[2:3], s[2:3], 2
	s_waitcnt vmcnt(1)
	ds_store_b128 v247, v[88:91]
	s_waitcnt vmcnt(0)
	ds_store_b128 v222, v[80:83]
	s_waitcnt lgkmcnt(0)
	s_waitcnt_vscnt null, 0x0
	s_barrier
	buffer_gl0_inv
	ds_load_b128 v[80:83], v223
	ds_load_b128 v[84:87], v223 offset:16
	ds_load_b128 v[88:91], v223 offset:2816
	;; [unrolled: 1-line block ×7, first 2 shown]
	s_add_u32 s1, s80, s2
	s_addc_u32 s2, s102, s3
	v_cmp_eq_u32_e64 s3, 1, v203
	s_cmp_eq_u64 s[78:79], 0
	s_waitcnt lgkmcnt(6)
	v_wmma_f32_16x16x16_f16 v[131:138], v[80:87], v[72:79], v[119:126]
	s_waitcnt lgkmcnt(4)
	v_wmma_f32_16x16x16_f16 v[80:87], v[88:95], v[72:79], v[119:126]
	s_waitcnt lgkmcnt(2)
	v_wmma_f32_16x16x16_f16 v[88:95], v[96:103], v[72:79], v[119:126]
	s_waitcnt lgkmcnt(0)
	v_wmma_f32_16x16x16_f16 v[139:146], v[104:111], v[72:79], v[119:126]
	ds_load_b128 v[72:75], v223 offset:32
	ds_load_b128 v[76:79], v223 offset:48
	s_waitcnt lgkmcnt(0)
	v_wmma_f32_16x16x16_f16 v[131:138], v[72:79], v[64:71], v[131:138]
	ds_load_b128 v[72:75], v223 offset:2848
	ds_load_b128 v[76:79], v223 offset:2864
	s_waitcnt lgkmcnt(0)
	v_wmma_f32_16x16x16_f16 v[80:87], v[72:79], v[64:71], v[80:87]
	;; [unrolled: 4-line block ×15, first 2 shown]
	ds_load_b128 v[40:43], v223 offset:8576
	ds_load_b128 v[44:47], v223 offset:8592
	s_waitcnt lgkmcnt(0)
	s_barrier
	buffer_gl0_inv
	v_wmma_f32_16x16x16_f16 v[139:146], v[40:47], v[56:63], v[139:146]
	ds_load_u16 v40, v224
	ds_load_u16 v41, v224 offset:4
	ds_load_u16 v42, v224 offset:8
	;; [unrolled: 1-line block ×15, first 2 shown]
	s_waitcnt lgkmcnt(15)
	v_cvt_f32_f16_e32 v40, v40
	s_waitcnt lgkmcnt(7)
	v_cvt_f32_f16_e32 v48, v48
	;; [unrolled: 2-line block ×4, first 2 shown]
	v_cvt_f32_f16_e32 v44, v44
	s_waitcnt lgkmcnt(4)
	v_cvt_f32_f16_e32 v51, v51
	v_cvt_f32_f16_e32 v46, v46
	s_waitcnt lgkmcnt(3)
	v_cvt_f32_f16_e32 v52, v52
	s_waitcnt lgkmcnt(2)
	;; [unrolled: 2-line block ×4, first 2 shown]
	v_cvt_f32_f16_e32 v55, v55
	v_dual_add_f32 v44, v135, v44 :: v_dual_add_f32 v71, v82, v50
	v_dual_add_f32 v46, v137, v46 :: v_dual_add_f32 v69, v84, v52
	v_dual_add_f32 v76, v80, v48 :: v_dual_add_f32 v67, v86, v54
	v_add_f32_e32 v78, v81, v49
	v_add_f32_e32 v70, v83, v51
	;; [unrolled: 1-line block ×4, first 2 shown]
	ds_load_u16 v48, v224 offset:64
	ds_load_u16 v49, v224 offset:68
	;; [unrolled: 1-line block ×8, first 2 shown]
	v_cvt_f32_f16_e32 v41, v41
	v_cvt_f32_f16_e32 v42, v42
	;; [unrolled: 1-line block ×4, first 2 shown]
	s_delay_alu instid0(VALU_DEP_4) | instskip(SKIP_1) | instid1(VALU_DEP_4)
	v_dual_add_f32 v40, v131, v40 :: v_dual_add_f32 v41, v132, v41
	v_cvt_f32_f16_e32 v47, v47
	v_dual_add_f32 v42, v133, v42 :: v_dual_add_f32 v43, v134, v43
	s_delay_alu instid0(VALU_DEP_4) | instskip(NEXT) | instid1(VALU_DEP_3)
	v_add_f32_e32 v45, v136, v45
	v_add_f32_e32 v47, v138, v47
	s_waitcnt lgkmcnt(7)
	v_cvt_f32_f16_e32 v48, v48
	s_waitcnt lgkmcnt(6)
	v_cvt_f32_f16_e32 v49, v49
	;; [unrolled: 2-line block ×8, first 2 shown]
	v_dual_add_f32 v158, v88, v48 :: v_dual_add_f32 v159, v89, v49
	v_dual_add_f32 v157, v90, v50 :: v_dual_add_f32 v156, v91, v51
	v_add_f32_e32 v155, v92, v52
	v_dual_add_f32 v99, v93, v53 :: v_dual_add_f32 v98, v94, v54
	v_add_f32_e32 v97, v95, v55
	ds_load_u16 v48, v224 offset:96
	ds_load_u16 v49, v224 offset:100
	;; [unrolled: 1-line block ×8, first 2 shown]
	s_waitcnt lgkmcnt(7)
	v_cvt_f32_f16_e32 v48, v48
	s_waitcnt lgkmcnt(6)
	v_cvt_f32_f16_e32 v49, v49
	;; [unrolled: 2-line block ×5, first 2 shown]
	v_dual_add_f32 v153, v139, v48 :: v_dual_add_f32 v154, v140, v49
	v_dual_add_f32 v152, v141, v50 :: v_dual_add_f32 v49, 0x40051340, v41
	v_add_f32_e32 v48, 0x40051340, v40
	s_waitcnt lgkmcnt(2)
	v_cvt_f32_f16_e32 v53, v53
	v_add_f32_e32 v150, v143, v52
	v_add_f32_e32 v50, 0x40051340, v43
	s_waitcnt lgkmcnt(0)
	v_cvt_f32_f16_e32 v55, v55
	v_max3_f32 v48, v116, v48, v49
	v_dual_add_f32 v49, 0x40051340, v42 :: v_dual_add_f32 v102, v144, v53
	v_cvt_f32_f16_e32 v54, v54
	s_delay_alu instid0(VALU_DEP_4) | instskip(SKIP_1) | instid1(VALU_DEP_4)
	v_add_f32_e32 v100, v146, v55
	v_add_f32_e32 v151, v142, v51
	v_max3_f32 v48, v48, v49, v50
	v_dual_add_f32 v49, 0x40051340, v44 :: v_dual_add_f32 v50, 0x40051340, v45
	v_add_f32_e32 v101, v145, v54
	s_delay_alu instid0(VALU_DEP_2) | instskip(SKIP_1) | instid1(VALU_DEP_1)
	v_max3_f32 v48, v48, v49, v50
	v_dual_add_f32 v49, 0x40051340, v46 :: v_dual_add_f32 v50, 0x40051340, v47
	v_max3_f32 v48, v48, v49, v50
	v_dual_add_f32 v49, 0x40051340, v76 :: v_dual_add_f32 v50, 0x40051340, v78
	s_delay_alu instid0(VALU_DEP_1) | instskip(SKIP_1) | instid1(VALU_DEP_1)
	v_max3_f32 v48, v48, v49, v50
	v_dual_add_f32 v49, 0x40051340, v71 :: v_dual_add_f32 v50, 0x40051340, v70
	v_max3_f32 v48, v48, v49, v50
	v_dual_add_f32 v49, 0x40051340, v69 :: v_dual_add_f32 v50, 0x40051340, v68
	s_delay_alu instid0(VALU_DEP_1) | instskip(SKIP_1) | instid1(VALU_DEP_1)
	;; [unrolled: 5-line block ×3, first 2 shown]
	v_max3_f32 v48, v48, v49, v50
	v_dual_add_f32 v49, 0x40051340, v157 :: v_dual_add_f32 v50, 0x40051340, v156
	v_max3_f32 v48, v48, v49, v50
	v_add_f32_e32 v49, 0x40051340, v155
	v_add_f32_e32 v50, 0x40051340, v99
	s_delay_alu instid0(VALU_DEP_1) | instskip(SKIP_1) | instid1(VALU_DEP_1)
	v_max3_f32 v48, v48, v49, v50
	v_dual_add_f32 v49, 0x40051340, v98 :: v_dual_add_f32 v50, 0x40051340, v97
	v_max3_f32 v48, v48, v49, v50
	v_dual_add_f32 v49, 0x40051340, v153 :: v_dual_add_f32 v50, 0x40051340, v154
	s_delay_alu instid0(VALU_DEP_1) | instskip(SKIP_1) | instid1(VALU_DEP_1)
	v_max3_f32 v48, v48, v49, v50
	v_dual_add_f32 v49, 0x40051340, v152 :: v_dual_add_f32 v50, 0x40051340, v151
	v_max3_f32 v48, v48, v49, v50
	v_add_f32_e32 v49, 0x40051340, v150
	v_add_f32_e32 v50, 0x40051340, v102
	s_delay_alu instid0(VALU_DEP_1) | instskip(SKIP_1) | instid1(VALU_DEP_1)
	v_max3_f32 v48, v48, v49, v50
	v_dual_add_f32 v49, 0x40051340, v101 :: v_dual_add_f32 v50, 0x40051340, v100
	v_max3_f32 v48, v48, v49, v50
	scratch_load_b32 v49, off, off offset:64 ; 4-byte Folded Reload
	s_waitcnt vmcnt(0)
	v_cndmask_b32_e32 v49, v49, v117, vcc_lo
	s_delay_alu instid0(VALU_DEP_1) | instskip(SKIP_3) | instid1(VALU_DEP_1)
	v_lshlrev_b32_e32 v149, 2, v49
	ds_bpermute_b32 v49, v149, v48
	s_waitcnt lgkmcnt(0)
	v_max_f32_e32 v49, v49, v49
	v_max_f32_e32 v148, v48, v49
	s_delay_alu instid0(VALU_DEP_1) | instskip(NEXT) | instid1(VALU_DEP_1)
	v_sub_f32_e32 v48, v116, v148
	v_mul_f32_e32 v49, 0x3fb8aa3b, v48
	v_sub_f32_e32 v41, v41, v148
	v_sub_f32_e32 v40, v40, v148
	v_sub_f32_e32 v42, v42, v148
	v_sub_f32_e32 v43, v43, v148
	v_fma_f32 v50, 0x3fb8aa3b, v48, -v49
	v_rndne_f32_e32 v51, v49
	v_sub_f32_e32 v45, v45, v148
	v_cmp_ngt_f32_e64 s4, 0xc2ce8ed0, v42
	v_sub_f32_e32 v46, v46, v148
	s_delay_alu instid0(VALU_DEP_4) | instskip(SKIP_1) | instid1(VALU_DEP_2)
	v_dual_fmac_f32 v50, 0x32a5705f, v48 :: v_dual_sub_f32 v49, v49, v51
	v_sub_f32_e32 v47, v47, v148
	v_add_f32_e32 v49, v49, v50
	v_cvt_i32_f32_e32 v50, v51
	v_cmp_ngt_f32_e32 vcc_lo, 0xc2ce8ed0, v48
	s_delay_alu instid0(VALU_DEP_3) | instskip(SKIP_2) | instid1(VALU_DEP_1)
	v_exp_f32_e32 v49, v49
	s_waitcnt_depctr 0xfff
	v_ldexp_f32 v49, v49, v50
	v_cndmask_b32_e32 v49, 0, v49, vcc_lo
	v_cmp_nlt_f32_e32 vcc_lo, 0x42b17218, v48
	s_delay_alu instid0(VALU_DEP_2) | instskip(SKIP_1) | instid1(VALU_DEP_2)
	v_cndmask_b32_e32 v49, 0x7f800000, v49, vcc_lo
	v_cmp_le_f32_e32 vcc_lo, 0xc1a00000, v48
	v_cndmask_b32_e32 v160, 0, v49, vcc_lo
	v_add_co_u32 v48, vcc_lo, s1, v168
	v_add_co_ci_u32_e32 v49, vcc_lo, s2, v169, vcc_lo
	s_delay_alu instid0(VALU_DEP_3) | instskip(NEXT) | instid1(VALU_DEP_3)
	v_mul_f32_e32 v33, v33, v160
	v_add_co_u32 v48, vcc_lo, v48, v251
	s_delay_alu instid0(VALU_DEP_3) | instskip(SKIP_3) | instid1(VALU_DEP_3)
	v_add_co_ci_u32_e32 v49, vcc_lo, 0, v49, vcc_lo
	v_add_co_u32 v50, vcc_lo, s1, v170
	v_add_co_ci_u32_e32 v51, vcc_lo, s2, v171, vcc_lo
	v_mul_f32_e32 v39, v39, v160
	v_add_co_u32 v52, vcc_lo, v50, v226
	s_delay_alu instid0(VALU_DEP_3)
	v_add_co_ci_u32_e32 v53, vcc_lo, 0, v51, vcc_lo
	s_clause 0x1
	global_load_b128 v[48:51], v[48:49], off offset:128
	global_load_b128 v[52:55], v[52:53], off
	v_mul_f32_e32 v24, v24, v160
	v_mul_f32_e32 v16, v16, v160
	;; [unrolled: 1-line block ×16, first 2 shown]
	s_waitcnt vmcnt(1)
	ds_store_b128 v198, v[48:51]
	v_add_co_u32 v48, vcc_lo, s1, v181
	v_add_co_ci_u32_e32 v49, vcc_lo, s2, v182, vcc_lo
	s_delay_alu instid0(VALU_DEP_2) | instskip(NEXT) | instid1(VALU_DEP_2)
	v_add_co_u32 v48, vcc_lo, v48, v226
	v_add_co_ci_u32_e32 v49, vcc_lo, 0, v49, vcc_lo
	v_add_co_u32 v50, vcc_lo, s1, v183
	v_add_co_ci_u32_e32 v51, vcc_lo, s2, v184, vcc_lo
	s_delay_alu instid0(VALU_DEP_2) | instskip(NEXT) | instid1(VALU_DEP_2)
	v_add_co_u32 v56, vcc_lo, v50, v226
	v_add_co_ci_u32_e32 v57, vcc_lo, 0, v51, vcc_lo
	s_clause 0x1
	global_load_b128 v[48:51], v[48:49], off
	global_load_b128 v[56:59], v[56:57], off
	s_waitcnt vmcnt(2)
	ds_store_b128 v204, v[52:55]
	s_waitcnt vmcnt(1)
	ds_store_b128 v205, v[48:51]
	v_add_co_u32 v48, vcc_lo, s1, v252
	v_add_co_ci_u32_e32 v49, vcc_lo, s2, v253, vcc_lo
	v_cmp_ngt_f32_e64 s1, 0xc2ce8ed0, v40
	s_delay_alu instid0(VALU_DEP_3) | instskip(NEXT) | instid1(VALU_DEP_3)
	v_add_co_u32 v48, vcc_lo, v48, v226
	v_add_co_ci_u32_e32 v49, vcc_lo, 0, v49, vcc_lo
	v_cmp_ngt_f32_e32 vcc_lo, 0xc2ce8ed0, v41
	v_cmp_eq_u32_e64 s2, 0, v203
	global_load_b128 v[48:51], v[48:49], off
	s_waitcnt vmcnt(1)
	ds_store_b128 v247, v[56:59]
	s_waitcnt vmcnt(0)
	ds_store_b128 v222, v[48:51]
	v_mul_f32_e32 v48, 0x3fb8aa3b, v41
	s_waitcnt lgkmcnt(0)
	s_barrier
	buffer_gl0_inv
	v_fma_f32 v49, 0x3fb8aa3b, v41, -v48
	v_rndne_f32_e32 v50, v48
	v_mul_f32_e32 v34, v34, v160
	v_mul_f32_e32 v35, v35, v160
	s_delay_alu instid0(VALU_DEP_3) | instskip(SKIP_2) | instid1(VALU_DEP_3)
	v_dual_fmac_f32 v49, 0x32a5705f, v41 :: v_dual_sub_f32 v48, v48, v50
	v_mul_f32_e32 v37, v37, v160
	v_cvt_i32_f32_e32 v50, v50
	v_dual_add_f32 v48, v48, v49 :: v_dual_mul_f32 v49, 0x3fb8aa3b, v40
	s_delay_alu instid0(VALU_DEP_1) | instskip(NEXT) | instid1(VALU_DEP_1)
	v_exp_f32_e32 v48, v48
	v_fma_f32 v51, 0x3fb8aa3b, v40, -v49
	v_rndne_f32_e32 v52, v49
	s_delay_alu instid0(VALU_DEP_2) | instskip(SKIP_3) | instid1(VALU_DEP_2)
	v_fmac_f32_e32 v51, 0x32a5705f, v40
	s_waitcnt_depctr 0xfff
	v_ldexp_f32 v48, v48, v50
	v_cvt_i32_f32_e32 v50, v52
	v_cndmask_b32_e32 v48, 0, v48, vcc_lo
	v_cmp_nlt_f32_e32 vcc_lo, 0x42b17218, v41
	s_delay_alu instid0(VALU_DEP_2)
	v_cndmask_b32_e32 v162, 0x7f800000, v48, vcc_lo
	v_cmp_eq_u32_e32 vcc_lo, 1, v217
	v_sub_f32_e32 v49, v49, v52
	v_mul_f32_e32 v36, v36, v160
	v_sub_f32_e32 v44, v44, v148
	ds_bpermute_b32 v48, v149, v162
	v_mul_f32_e32 v13, v13, v160
	v_add_f32_e32 v49, v49, v51
	s_delay_alu instid0(VALU_DEP_1) | instskip(SKIP_2) | instid1(VALU_DEP_1)
	v_exp_f32_e32 v49, v49
	s_waitcnt_depctr 0xfff
	v_ldexp_f32 v49, v49, v50
	v_cndmask_b32_e64 v41, 0, v49, s1
	v_cmp_nlt_f32_e64 s1, 0x42b17218, v40
	s_delay_alu instid0(VALU_DEP_1)
	v_cndmask_b32_e64 v161, 0x7f800000, v41, s1
	v_cmp_eq_u32_e64 s1, 0, v217
	ds_bpermute_b32 v40, v149, v161
	s_waitcnt lgkmcnt(0)
	v_cndmask_b32_e64 v41, v161, v40, s1
	v_cndmask_b32_e32 v40, v161, v40, vcc_lo
	s_delay_alu instid0(VALU_DEP_2) | instskip(NEXT) | instid1(VALU_DEP_2)
	v_cndmask_b32_e64 v49, v41, v162, s2
	v_cndmask_b32_e64 v50, v40, v162, s3
	v_cvt_f16_f32_e32 v41, v41
	v_cvt_f16_f32_e32 v40, v40
	s_delay_alu instid0(VALU_DEP_4) | instskip(NEXT) | instid1(VALU_DEP_4)
	v_cndmask_b32_e64 v49, v49, v48, s1
	v_cndmask_b32_e32 v48, v50, v48, vcc_lo
	s_delay_alu instid0(VALU_DEP_3) | instskip(NEXT) | instid1(VALU_DEP_3)
	v_pack_b32_f16 v40, v41, v40
	v_cvt_f16_f32_e32 v50, v49
	s_delay_alu instid0(VALU_DEP_3) | instskip(NEXT) | instid1(VALU_DEP_1)
	v_cvt_f16_f32_e32 v51, v48
	v_pack_b32_f16 v41, v50, v51
	v_mul_f32_e32 v50, 0x3fb8aa3b, v42
	s_delay_alu instid0(VALU_DEP_1) | instskip(SKIP_1) | instid1(VALU_DEP_2)
	v_fma_f32 v51, 0x3fb8aa3b, v42, -v50
	v_rndne_f32_e32 v52, v50
	v_dual_mul_f32 v38, v38, v160 :: v_dual_fmac_f32 v51, 0x32a5705f, v42
	s_delay_alu instid0(VALU_DEP_2) | instskip(NEXT) | instid1(VALU_DEP_1)
	v_sub_f32_e32 v50, v50, v52
	v_dual_mul_f32 v25, v25, v160 :: v_dual_add_f32 v50, v50, v51
	v_cvt_i32_f32_e32 v51, v52
	s_delay_alu instid0(VALU_DEP_2) | instskip(SKIP_2) | instid1(VALU_DEP_1)
	v_exp_f32_e32 v50, v50
	s_waitcnt_depctr 0xfff
	v_ldexp_f32 v50, v50, v51
	v_cndmask_b32_e64 v50, 0, v50, s4
	v_cmp_nlt_f32_e64 s4, 0x42b17218, v42
	s_delay_alu instid0(VALU_DEP_1) | instskip(SKIP_1) | instid1(VALU_DEP_2)
	v_cndmask_b32_e64 v163, 0x7f800000, v50, s4
	v_cmp_ngt_f32_e64 s4, 0xc2ce8ed0, v43
	v_cndmask_b32_e64 v42, v49, v163, s2
	ds_bpermute_b32 v49, v149, v163
	v_cndmask_b32_e64 v48, v48, v163, s3
	s_waitcnt lgkmcnt(0)
	s_delay_alu instid0(VALU_DEP_1) | instskip(SKIP_1) | instid1(VALU_DEP_2)
	v_dual_mul_f32 v27, v27, v160 :: v_dual_cndmask_b32 v48, v48, v49
	v_cndmask_b32_e64 v50, v42, v49, s1
	v_cvt_f16_f32_e32 v49, v48
	s_delay_alu instid0(VALU_DEP_2) | instskip(NEXT) | instid1(VALU_DEP_1)
	v_cvt_f16_f32_e32 v42, v50
	v_pack_b32_f16 v42, v42, v49
	v_mul_f32_e32 v49, 0x3fb8aa3b, v43
	s_delay_alu instid0(VALU_DEP_1) | instskip(SKIP_1) | instid1(VALU_DEP_2)
	v_fma_f32 v51, 0x3fb8aa3b, v43, -v49
	v_rndne_f32_e32 v52, v49
	v_dual_mul_f32 v26, v26, v160 :: v_dual_fmac_f32 v51, 0x32a5705f, v43
	s_delay_alu instid0(VALU_DEP_2) | instskip(NEXT) | instid1(VALU_DEP_1)
	v_sub_f32_e32 v49, v49, v52
	v_dual_mul_f32 v28, v28, v160 :: v_dual_add_f32 v49, v49, v51
	v_cvt_i32_f32_e32 v51, v52
	s_delay_alu instid0(VALU_DEP_2) | instskip(SKIP_2) | instid1(VALU_DEP_1)
	v_exp_f32_e32 v49, v49
	s_waitcnt_depctr 0xfff
	v_ldexp_f32 v49, v49, v51
	v_cndmask_b32_e64 v49, 0, v49, s4
	v_cmp_nlt_f32_e64 s4, 0x42b17218, v43
	s_delay_alu instid0(VALU_DEP_1)
	v_cndmask_b32_e64 v164, 0x7f800000, v49, s4
	v_cmp_ngt_f32_e64 s4, 0xc2ce8ed0, v44
	ds_bpermute_b32 v49, v149, v164
	v_cndmask_b32_e64 v43, v50, v164, s2
	v_cndmask_b32_e64 v48, v48, v164, s3
	s_waitcnt lgkmcnt(0)
	s_delay_alu instid0(VALU_DEP_1) | instskip(NEXT) | instid1(VALU_DEP_3)
	v_dual_mul_f32 v29, v29, v160 :: v_dual_cndmask_b32 v48, v48, v49
	v_cndmask_b32_e64 v50, v43, v49, s1
	s_delay_alu instid0(VALU_DEP_2) | instskip(NEXT) | instid1(VALU_DEP_2)
	v_cvt_f16_f32_e32 v49, v48
	v_cvt_f16_f32_e32 v43, v50
	s_delay_alu instid0(VALU_DEP_1) | instskip(SKIP_1) | instid1(VALU_DEP_1)
	v_pack_b32_f16 v43, v43, v49
	v_mul_f32_e32 v49, 0x3fb8aa3b, v44
	v_fma_f32 v51, 0x3fb8aa3b, v44, -v49
	v_rndne_f32_e32 v52, v49
	s_delay_alu instid0(VALU_DEP_2) | instskip(NEXT) | instid1(VALU_DEP_2)
	v_fmac_f32_e32 v51, 0x32a5705f, v44
	v_sub_f32_e32 v49, v49, v52
	s_delay_alu instid0(VALU_DEP_1) | instskip(SKIP_1) | instid1(VALU_DEP_2)
	v_dual_mul_f32 v30, v30, v160 :: v_dual_add_f32 v49, v49, v51
	v_cvt_i32_f32_e32 v51, v52
	v_exp_f32_e32 v49, v49
	s_waitcnt_depctr 0xfff
	v_ldexp_f32 v49, v49, v51
	s_delay_alu instid0(VALU_DEP_1) | instskip(SKIP_1) | instid1(VALU_DEP_1)
	v_cndmask_b32_e64 v49, 0, v49, s4
	v_cmp_nlt_f32_e64 s4, 0x42b17218, v44
	v_cndmask_b32_e64 v185, 0x7f800000, v49, s4
	v_cmp_ngt_f32_e64 s4, 0xc2ce8ed0, v45
	ds_bpermute_b32 v49, v149, v185
	v_cndmask_b32_e64 v44, v50, v185, s2
	v_cndmask_b32_e64 v48, v48, v185, s3
	s_waitcnt lgkmcnt(0)
	s_delay_alu instid0(VALU_DEP_1) | instskip(NEXT) | instid1(VALU_DEP_3)
	v_dual_mul_f32 v31, v31, v160 :: v_dual_cndmask_b32 v48, v48, v49
	v_cndmask_b32_e64 v50, v44, v49, s1
	s_delay_alu instid0(VALU_DEP_2) | instskip(NEXT) | instid1(VALU_DEP_2)
	v_cvt_f16_f32_e32 v49, v48
	v_cvt_f16_f32_e32 v44, v50
	s_delay_alu instid0(VALU_DEP_1) | instskip(SKIP_1) | instid1(VALU_DEP_1)
	v_pack_b32_f16 v44, v44, v49
	v_mul_f32_e32 v49, 0x3fb8aa3b, v45
	v_fma_f32 v51, 0x3fb8aa3b, v45, -v49
	v_rndne_f32_e32 v52, v49
	s_delay_alu instid0(VALU_DEP_2) | instskip(NEXT) | instid1(VALU_DEP_2)
	v_dual_mul_f32 v18, v18, v160 :: v_dual_fmac_f32 v51, 0x32a5705f, v45
	v_sub_f32_e32 v49, v49, v52
	s_delay_alu instid0(VALU_DEP_1) | instskip(SKIP_1) | instid1(VALU_DEP_2)
	v_dual_mul_f32 v20, v20, v160 :: v_dual_add_f32 v49, v49, v51
	v_cvt_i32_f32_e32 v51, v52
	v_exp_f32_e32 v49, v49
	s_waitcnt_depctr 0xfff
	v_ldexp_f32 v49, v49, v51
	s_delay_alu instid0(VALU_DEP_1) | instskip(SKIP_1) | instid1(VALU_DEP_1)
	v_cndmask_b32_e64 v49, 0, v49, s4
	v_cmp_nlt_f32_e64 s4, 0x42b17218, v45
	v_cndmask_b32_e64 v186, 0x7f800000, v49, s4
	v_cmp_ngt_f32_e64 s4, 0xc2ce8ed0, v46
	ds_bpermute_b32 v49, v149, v186
	v_cndmask_b32_e64 v45, v50, v186, s2
	v_cndmask_b32_e64 v48, v48, v186, s3
	s_waitcnt lgkmcnt(0)
	s_delay_alu instid0(VALU_DEP_1) | instskip(NEXT) | instid1(VALU_DEP_3)
	v_dual_mul_f32 v17, v17, v160 :: v_dual_cndmask_b32 v48, v48, v49
	v_cndmask_b32_e64 v50, v45, v49, s1
	s_delay_alu instid0(VALU_DEP_2) | instskip(NEXT) | instid1(VALU_DEP_2)
	v_cvt_f16_f32_e32 v49, v48
	v_cvt_f16_f32_e32 v45, v50
	s_delay_alu instid0(VALU_DEP_1) | instskip(SKIP_1) | instid1(VALU_DEP_1)
	v_pack_b32_f16 v45, v45, v49
	v_mul_f32_e32 v49, 0x3fb8aa3b, v46
	v_fma_f32 v51, 0x3fb8aa3b, v46, -v49
	v_rndne_f32_e32 v52, v49
	s_delay_alu instid0(VALU_DEP_2) | instskip(NEXT) | instid1(VALU_DEP_2)
	v_dual_mul_f32 v8, v8, v160 :: v_dual_fmac_f32 v51, 0x32a5705f, v46
	;; [unrolled: 29-line block ×3, first 2 shown]
	v_sub_f32_e32 v49, v49, v52
	s_delay_alu instid0(VALU_DEP_1) | instskip(SKIP_1) | instid1(VALU_DEP_2)
	v_dual_mul_f32 v0, v0, v160 :: v_dual_add_f32 v49, v49, v51
	v_cvt_i32_f32_e32 v51, v52
	v_exp_f32_e32 v49, v49
	s_waitcnt_depctr 0xfff
	v_ldexp_f32 v49, v49, v51
	s_delay_alu instid0(VALU_DEP_1) | instskip(SKIP_1) | instid1(VALU_DEP_1)
	v_cndmask_b32_e64 v49, 0, v49, s4
	v_cmp_nlt_f32_e64 s4, 0x42b17218, v47
	v_cndmask_b32_e64 v189, 0x7f800000, v49, s4
	ds_bpermute_b32 v49, v149, v189
	v_cndmask_b32_e64 v47, v50, v189, s2
	v_cndmask_b32_e64 v48, v48, v189, s3
	s_waitcnt lgkmcnt(0)
	s_delay_alu instid0(VALU_DEP_1) | instskip(NEXT) | instid1(VALU_DEP_3)
	v_dual_mul_f32 v21, v21, v160 :: v_dual_cndmask_b32 v48, v48, v49
	v_cndmask_b32_e64 v47, v47, v49, s1
	s_delay_alu instid0(VALU_DEP_2) | instskip(NEXT) | instid1(VALU_DEP_2)
	v_cvt_f16_f32_e32 v48, v48
	v_cvt_f16_f32_e32 v47, v47
	s_delay_alu instid0(VALU_DEP_1)
	v_pack_b32_f16 v47, v47, v48
	ds_load_u16 v49, v225 offset:352
	ds_load_u16 v52, v225 offset:1408
	ds_load_u16 v53, v225 offset:1760
	ds_load_u16 v54, v225 offset:2112
	ds_load_u16 v50, v225 offset:704
	ds_load_u16 v51, v225 offset:1056
	ds_load_u16 v57, v229 offset:352
	ds_load_u16 v59, v229 offset:1056
	ds_load_u16 v60, v229 offset:1408
	ds_load_u16 v61, v229 offset:1760
	ds_load_u16 v62, v229 offset:2112
	ds_load_u16 v63, v229 offset:2464
	ds_load_u16 v65, v230 offset:352
	ds_load_u16 v58, v229 offset:704
	ds_load_u16 v107, v233 offset:1056
	ds_load_u16 v108, v233 offset:1408
	ds_load_u16 v111, v233 offset:2464
	ds_load_u16 v73, v234 offset:352
	ds_load_u16 v74, v234 offset:704
	ds_load_u16 v77, v234 offset:1760
	ds_load_u16 v75, v234 offset:1056
	ds_load_u16 v110, v233 offset:2112
	ds_load_u16 v109, v233 offset:1760
	ds_load_u16 v106, v233 offset:704
	ds_load_u16 v105, v233 offset:352
	ds_load_u16 v113, v237 offset:352
	ds_load_u16 v116, v237 offset:1408
	ds_load_u16 v118, v237 offset:2112
	ds_load_u16 v119, v237 offset:2464
	ds_load_u16 v81, v238 offset:352
	ds_load_u16 v117, v237 offset:1760
	ds_load_u16 v115, v237 offset:1056
	ds_load_u16 v114, v237 offset:704
	ds_load_u16 v48, v225
	ds_load_u16 v56, v225 offset:32
	ds_load_u16 v104, v225 offset:64
	;; [unrolled: 1-line block ×14, first 2 shown]
	s_waitcnt lgkmcnt(41)
	ds_load_u16_d16_hi v57, v225 offset:560
	s_waitcnt lgkmcnt(23)
	ds_load_u16_d16_hi v113, v225 offset:624
	ds_load_u16 v120, v225 offset:128
	ds_load_u16_d16_hi v49, v225 offset:528
	ds_load_u16_d16_hi v59, v225 offset:1264
	;; [unrolled: 1-line block ×4, first 2 shown]
	ds_load_u16 v55, v225 offset:2464
	ds_load_u16_d16_hi v63, v225 offset:2672
	ds_load_u16_d16_hi v58, v225 offset:912
	;; [unrolled: 1-line block ×3, first 2 shown]
	s_waitcnt lgkmcnt(31)
	ds_load_u16_d16_hi v118, v225 offset:2384
	s_waitcnt lgkmcnt(29)
	ds_load_u16_d16_hi v117, v225 offset:2032
	ds_load_u16_d16_hi v54, v225 offset:2288
	;; [unrolled: 1-line block ×3, first 2 shown]
	s_waitcnt lgkmcnt(31)
	ds_load_u16_d16_hi v115, v225 offset:1328
	s_waitcnt lgkmcnt(31)
	ds_load_u16_d16_hi v114, v225 offset:976
	ds_load_u16_d16_hi v50, v225 offset:880
	;; [unrolled: 1-line block ×7, first 2 shown]
	s_waitcnt lgkmcnt(32)
	ds_load_u16_d16_hi v124, v225 offset:1712
	ds_load_u16_d16_hi v53, v225 offset:1936
	;; [unrolled: 1-line block ×3, first 2 shown]
	s_waitcnt lgkmcnt(27)
	ds_load_u16_d16_hi v126, v225 offset:2416
	s_waitcnt lgkmcnt(19)
	ds_load_u16_d16_hi v55, v225 offset:2640
	ds_load_u16_d16_hi v111, v225 offset:2704
	ds_load_u16 v96, v232 offset:2464
	ds_load_u16_d16_hi v105, v225 offset:592
	ds_load_u16_d16_hi v48, v225 offset:176
	;; [unrolled: 1-line block ×5, first 2 shown]
	ds_load_u16 v103, v240 offset:2464
	ds_load_u16_d16_hi v121, v225 offset:656
	ds_load_u16_d16_hi v123, v225 offset:1360
	;; [unrolled: 1-line block ×4, first 2 shown]
	ds_load_u16 v64, v225 offset:2848
	ds_load_u16 v72, v225 offset:2880
	;; [unrolled: 1-line block ×3, first 2 shown]
	ds_load_u16_d16_hi v120, v225 offset:304
	ds_load_u16_d16_hi v119, v225 offset:2736
	;; [unrolled: 1-line block ×3, first 2 shown]
	ds_load_u16 v131, v225 offset:2816
	ds_load_u16_d16_hi v116, v225 offset:1680
	s_waitcnt lgkmcnt(15)
	v_wmma_f32_16x16x16_f16 v[24:31], v[56:63], v[40:47], v[24:31]
	v_wmma_f32_16x16x16_f16 v[32:39], v[48:55], v[40:47], v[32:39]
	s_waitcnt lgkmcnt(14)
	v_wmma_f32_16x16x16_f16 v[16:23], v[104:111], v[40:47], v[16:23]
	s_waitcnt lgkmcnt(2)
	;; [unrolled: 2-line block ×3, first 2 shown]
	v_wmma_f32_16x16x16_f16 v[8:15], v[112:119], v[40:47], v[8:15]
	v_sub_f32_e32 v40, v78, v148
	s_delay_alu instid0(VALU_DEP_1) | instskip(SKIP_1) | instid1(VALU_DEP_2)
	v_mul_f32_e32 v41, 0x3fb8aa3b, v40
	v_cmp_ngt_f32_e64 s4, 0xc2ce8ed0, v40
	v_fma_f32 v42, 0x3fb8aa3b, v40, -v41
	v_rndne_f32_e32 v43, v41
	s_delay_alu instid0(VALU_DEP_1) | instskip(SKIP_1) | instid1(VALU_DEP_2)
	v_dual_fmac_f32 v42, 0x32a5705f, v40 :: v_dual_sub_f32 v41, v41, v43
	v_cvt_i32_f32_e32 v43, v43
	v_dual_add_f32 v41, v41, v42 :: v_dual_sub_f32 v42, v76, v148
	s_delay_alu instid0(VALU_DEP_1) | instskip(NEXT) | instid1(VALU_DEP_1)
	v_exp_f32_e32 v41, v41
	v_mul_f32_e32 v44, 0x3fb8aa3b, v42
	v_cmp_ngt_f32_e64 s5, 0xc2ce8ed0, v42
	s_delay_alu instid0(VALU_DEP_2)
	v_fma_f32 v45, 0x3fb8aa3b, v42, -v44
	v_rndne_f32_e32 v46, v44
	s_waitcnt_depctr 0xfff
	v_ldexp_f32 v41, v41, v43
	v_fmac_f32_e32 v45, 0x32a5705f, v42
	v_sub_f32_e32 v44, v44, v46
	s_delay_alu instid0(VALU_DEP_3) | instskip(SKIP_1) | instid1(VALU_DEP_3)
	v_cndmask_b32_e64 v41, 0, v41, s4
	v_cmp_nlt_f32_e64 s4, 0x42b17218, v40
	v_add_f32_e32 v44, v44, v45
	s_delay_alu instid0(VALU_DEP_2) | instskip(NEXT) | instid1(VALU_DEP_2)
	v_cndmask_b32_e64 v49, 0x7f800000, v41, s4
	v_exp_f32_e32 v43, v44
	v_cvt_i32_f32_e32 v44, v46
	s_waitcnt_depctr 0xfff
	v_ldexp_f32 v43, v43, v44
	s_delay_alu instid0(VALU_DEP_1)
	v_cndmask_b32_e64 v40, 0, v43, s5
	v_cmp_nlt_f32_e64 s5, 0x42b17218, v42
	ds_bpermute_b32 v42, v149, v49
	v_cndmask_b32_e64 v48, 0x7f800000, v40, s5
	ds_bpermute_b32 v40, v149, v48
	s_waitcnt lgkmcnt(0)
	v_cndmask_b32_e64 v41, v48, v40, s1
	v_cndmask_b32_e32 v40, v48, v40, vcc_lo
	s_delay_alu instid0(VALU_DEP_2) | instskip(NEXT) | instid1(VALU_DEP_2)
	v_cndmask_b32_e64 v43, v41, v49, s2
	v_cndmask_b32_e64 v44, v40, v49, s3
	v_cvt_f16_f32_e32 v41, v41
	v_cvt_f16_f32_e32 v40, v40
	s_delay_alu instid0(VALU_DEP_4) | instskip(NEXT) | instid1(VALU_DEP_4)
	v_cndmask_b32_e64 v43, v43, v42, s1
	v_cndmask_b32_e32 v42, v44, v42, vcc_lo
	s_delay_alu instid0(VALU_DEP_3) | instskip(SKIP_1) | instid1(VALU_DEP_4)
	v_pack_b32_f16 v56, v41, v40
	v_sub_f32_e32 v40, v71, v148
	v_cvt_f16_f32_e32 v44, v43
	s_delay_alu instid0(VALU_DEP_4) | instskip(NEXT) | instid1(VALU_DEP_3)
	v_cvt_f16_f32_e32 v45, v42
	v_mul_f32_e32 v41, 0x3fb8aa3b, v40
	v_cmp_ngt_f32_e64 s4, 0xc2ce8ed0, v40
	s_delay_alu instid0(VALU_DEP_3) | instskip(NEXT) | instid1(VALU_DEP_3)
	v_pack_b32_f16 v57, v44, v45
	v_fma_f32 v44, 0x3fb8aa3b, v40, -v41
	v_rndne_f32_e32 v45, v41
	s_delay_alu instid0(VALU_DEP_1) | instskip(NEXT) | instid1(VALU_DEP_1)
	v_dual_fmac_f32 v44, 0x32a5705f, v40 :: v_dual_sub_f32 v41, v41, v45
	v_add_f32_e32 v41, v41, v44
	v_cvt_i32_f32_e32 v44, v45
	s_delay_alu instid0(VALU_DEP_2) | instskip(SKIP_2) | instid1(VALU_DEP_1)
	v_exp_f32_e32 v41, v41
	s_waitcnt_depctr 0xfff
	v_ldexp_f32 v41, v41, v44
	v_cndmask_b32_e64 v41, 0, v41, s4
	v_cmp_nlt_f32_e64 s4, 0x42b17218, v40
	s_delay_alu instid0(VALU_DEP_1) | instskip(NEXT) | instid1(VALU_DEP_1)
	v_cndmask_b32_e64 v50, 0x7f800000, v41, s4
	v_cndmask_b32_e64 v41, v42, v50, s3
	ds_bpermute_b32 v42, v149, v50
	v_cndmask_b32_e64 v40, v43, v50, s2
	s_waitcnt lgkmcnt(0)
	s_delay_alu instid0(VALU_DEP_1) | instskip(SKIP_1) | instid1(VALU_DEP_2)
	v_cndmask_b32_e64 v40, v40, v42, s1
	v_cndmask_b32_e32 v41, v41, v42, vcc_lo
	v_cvt_f16_f32_e32 v42, v40
	s_delay_alu instid0(VALU_DEP_2) | instskip(NEXT) | instid1(VALU_DEP_1)
	v_cvt_f16_f32_e32 v43, v41
	v_pack_b32_f16 v58, v42, v43
	v_sub_f32_e32 v42, v70, v148
	s_delay_alu instid0(VALU_DEP_1) | instskip(SKIP_1) | instid1(VALU_DEP_2)
	v_mul_f32_e32 v43, 0x3fb8aa3b, v42
	v_cmp_ngt_f32_e64 s4, 0xc2ce8ed0, v42
	v_fma_f32 v44, 0x3fb8aa3b, v42, -v43
	v_rndne_f32_e32 v45, v43
	s_delay_alu instid0(VALU_DEP_1) | instskip(NEXT) | instid1(VALU_DEP_1)
	v_dual_fmac_f32 v44, 0x32a5705f, v42 :: v_dual_sub_f32 v43, v43, v45
	v_add_f32_e32 v43, v43, v44
	v_cvt_i32_f32_e32 v44, v45
	s_delay_alu instid0(VALU_DEP_2) | instskip(SKIP_2) | instid1(VALU_DEP_1)
	v_exp_f32_e32 v43, v43
	s_waitcnt_depctr 0xfff
	v_ldexp_f32 v43, v43, v44
	v_cndmask_b32_e64 v43, 0, v43, s4
	v_cmp_nlt_f32_e64 s4, 0x42b17218, v42
	s_delay_alu instid0(VALU_DEP_1) | instskip(SKIP_4) | instid1(VALU_DEP_2)
	v_cndmask_b32_e64 v51, 0x7f800000, v43, s4
	ds_bpermute_b32 v42, v149, v51
	v_cndmask_b32_e64 v40, v40, v51, s2
	v_cndmask_b32_e64 v41, v41, v51, s3
	s_waitcnt lgkmcnt(0)
	v_cndmask_b32_e64 v40, v40, v42, s1
	s_delay_alu instid0(VALU_DEP_2) | instskip(NEXT) | instid1(VALU_DEP_2)
	v_cndmask_b32_e32 v41, v41, v42, vcc_lo
	v_cvt_f16_f32_e32 v42, v40
	s_delay_alu instid0(VALU_DEP_2) | instskip(NEXT) | instid1(VALU_DEP_1)
	v_cvt_f16_f32_e32 v43, v41
	v_pack_b32_f16 v59, v42, v43
	v_sub_f32_e32 v42, v69, v148
	s_delay_alu instid0(VALU_DEP_1) | instskip(SKIP_1) | instid1(VALU_DEP_2)
	v_mul_f32_e32 v43, 0x3fb8aa3b, v42
	v_cmp_ngt_f32_e64 s4, 0xc2ce8ed0, v42
	v_fma_f32 v44, 0x3fb8aa3b, v42, -v43
	v_rndne_f32_e32 v45, v43
	s_delay_alu instid0(VALU_DEP_1) | instskip(NEXT) | instid1(VALU_DEP_1)
	v_dual_fmac_f32 v44, 0x32a5705f, v42 :: v_dual_sub_f32 v43, v43, v45
	v_add_f32_e32 v43, v43, v44
	v_cvt_i32_f32_e32 v44, v45
	s_delay_alu instid0(VALU_DEP_2) | instskip(SKIP_2) | instid1(VALU_DEP_1)
	v_exp_f32_e32 v43, v43
	s_waitcnt_depctr 0xfff
	v_ldexp_f32 v43, v43, v44
	v_cndmask_b32_e64 v43, 0, v43, s4
	v_cmp_nlt_f32_e64 s4, 0x42b17218, v42
	s_delay_alu instid0(VALU_DEP_1) | instskip(SKIP_4) | instid1(VALU_DEP_2)
	v_cndmask_b32_e64 v52, 0x7f800000, v43, s4
	ds_bpermute_b32 v42, v149, v52
	v_cndmask_b32_e64 v40, v40, v52, s2
	v_cndmask_b32_e64 v41, v41, v52, s3
	s_waitcnt lgkmcnt(0)
	v_cndmask_b32_e64 v40, v40, v42, s1
	s_delay_alu instid0(VALU_DEP_2) | instskip(NEXT) | instid1(VALU_DEP_2)
	;; [unrolled: 29-line block ×4, first 2 shown]
	v_cndmask_b32_e32 v41, v41, v42, vcc_lo
	v_cvt_f16_f32_e32 v42, v40
	s_delay_alu instid0(VALU_DEP_2) | instskip(NEXT) | instid1(VALU_DEP_1)
	v_cvt_f16_f32_e32 v43, v41
	v_pack_b32_f16 v62, v42, v43
	v_sub_f32_e32 v42, v66, v148
	ds_load_u16 v137, v200 offset:2112
	ds_load_u16 v136, v200 offset:1760
	;; [unrolled: 1-line block ×16, first 2 shown]
	s_waitcnt lgkmcnt(15)
	ds_load_u16_d16_hi v137, v225 offset:5104
	s_waitcnt lgkmcnt(15)
	ds_load_u16_d16_hi v136, v225 offset:4752
	;; [unrolled: 2-line block ×3, first 2 shown]
	ds_load_u16 v69, v230 offset:1760
	ds_load_u16 v70, v230 offset:2112
	;; [unrolled: 1-line block ×6, first 2 shown]
	ds_load_u16_d16_hi v131, v225 offset:2992
	ds_load_u16_d16_hi v64, v225 offset:3024
	;; [unrolled: 1-line block ×3, first 2 shown]
	s_waitcnt lgkmcnt(20)
	ds_load_u16_d16_hi v135, v225 offset:4400
	s_waitcnt lgkmcnt(19)
	ds_load_u16_d16_hi v68, v225 offset:4432
	ds_load_u16_d16_hi v76, v225 offset:4464
	s_waitcnt lgkmcnt(20)
	ds_load_u16_d16_hi v66, v225 offset:3728
	ds_load_u16_d16_hi v74, v225 offset:3760
	ds_load_u16 v82, v238 offset:704
	ds_load_u16 v83, v238 offset:1056
	;; [unrolled: 1-line block ×6, first 2 shown]
	ds_load_u16_d16_hi v73, v225 offset:3408
	ds_load_u16_d16_hi v89, v225 offset:3472
	ds_load_u16 v47, v244 offset:2464
	ds_load_u16 v46, v244 offset:2112
	v_mul_f32_e32 v43, 0x3fb8aa3b, v42
	v_cmp_ngt_f32_e64 s4, 0xc2ce8ed0, v42
	s_waitcnt lgkmcnt(1)
	ds_load_u16_d16_hi v47, v225 offset:11216
	ds_load_u16_d16_hi v132, v225 offset:3344
	;; [unrolled: 1-line block ×3, first 2 shown]
	ds_load_u16 v121, v239 offset:352
	ds_load_u16_d16_hi v82, v225 offset:3792
	ds_load_u16_d16_hi v90, v225 offset:3824
	;; [unrolled: 1-line block ×4, first 2 shown]
	ds_load_u16 v139, v243 offset:352
	ds_load_u16 v140, v243 offset:704
	;; [unrolled: 1-line block ×6, first 2 shown]
	ds_load_u16_d16_hi v134, v225 offset:4048
	ds_load_u16_d16_hi v67, v225 offset:4080
	;; [unrolled: 1-line block ×7, first 2 shown]
	ds_load_u16 v207, v235 offset:352
	ds_load_u16 v210, v235 offset:1408
	ds_load_u16 v211, v235 offset:1760
	ds_load_u16 v212, v235 offset:2112
	ds_load_u16 v208, v235 offset:704
	ds_load_u16_d16_hi v71, v225 offset:5488
	ds_load_u16_d16_hi v79, v225 offset:5520
	;; [unrolled: 1-line block ×3, first 2 shown]
	ds_load_u16 v88, v225 offset:2944
	ds_load_u16_d16_hi v91, v225 offset:4176
	ds_load_u16_d16_hi v93, v225 offset:4880
	;; [unrolled: 1-line block ×3, first 2 shown]
	v_fma_f32 v44, 0x3fb8aa3b, v42, -v43
	v_rndne_f32_e32 v45, v43
	s_waitcnt lgkmcnt(19)
	ds_load_u16_d16_hi v94, v225 offset:5232
	ds_load_u16 v78, v234 offset:2112
	ds_load_u16_d16_hi v65, v225 offset:3376
	ds_load_u16_d16_hi v70, v225 offset:5136
	s_waitcnt lgkmcnt(2)
	ds_load_u16_d16_hi v78, v225 offset:5168
	ds_load_u16_d16_hi v86, v225 offset:5200
	;; [unrolled: 1-line block ×3, first 2 shown]
	v_dual_fmac_f32 v44, 0x32a5705f, v42 :: v_dual_sub_f32 v43, v43, v45
	ds_load_u16_d16_hi v84, v225 offset:4496
	ds_load_u16 v95, v242 offset:2464
	v_add_f32_e32 v43, v43, v44
	v_cvt_i32_f32_e32 v44, v45
	s_delay_alu instid0(VALU_DEP_2) | instskip(SKIP_2) | instid1(VALU_DEP_1)
	v_exp_f32_e32 v43, v43
	s_waitcnt_depctr 0xfff
	v_ldexp_f32 v43, v43, v44
	v_cndmask_b32_e64 v43, 0, v43, s4
	v_cmp_nlt_f32_e64 s4, 0x42b17218, v42
	s_delay_alu instid0(VALU_DEP_1) | instskip(SKIP_4) | instid1(VALU_DEP_2)
	v_cndmask_b32_e64 v55, 0x7f800000, v43, s4
	ds_bpermute_b32 v42, v149, v55
	v_cndmask_b32_e64 v40, v40, v55, s2
	v_cndmask_b32_e64 v41, v41, v55, s3
	s_waitcnt lgkmcnt(0)
	v_cndmask_b32_e64 v40, v40, v42, s1
	s_delay_alu instid0(VALU_DEP_2) | instskip(NEXT) | instid1(VALU_DEP_2)
	v_cndmask_b32_e32 v41, v41, v42, vcc_lo
	v_cvt_f16_f32_e32 v40, v40
	s_delay_alu instid0(VALU_DEP_2) | instskip(NEXT) | instid1(VALU_DEP_1)
	v_cvt_f16_f32_e32 v41, v41
	v_pack_b32_f16 v63, v40, v41
	v_sub_f32_e32 v40, v159, v148
	s_delay_alu instid0(VALU_DEP_2) | instskip(NEXT) | instid1(VALU_DEP_2)
	v_wmma_f32_16x16x16_f16 v[32:39], v[131:138], v[56:63], v[32:39]
	v_mul_f32_e32 v41, 0x3fb8aa3b, v40
	ds_load_u16_d16_hi v95, v225 offset:5584
	ds_load_u16_d16_hi v207, v225 offset:6224
	ds_load_u16 v104, v225 offset:5632
	ds_load_u16 v112, v225 offset:5664
	;; [unrolled: 1-line block ×5, first 2 shown]
	v_wmma_f32_16x16x16_f16 v[24:31], v[64:71], v[56:63], v[24:31]
	v_wmma_f32_16x16x16_f16 v[16:23], v[72:79], v[56:63], v[16:23]
	;; [unrolled: 1-line block ×3, first 2 shown]
	v_fma_f32 v42, 0x3fb8aa3b, v40, -v41
	v_rndne_f32_e32 v43, v41
	v_cmp_ngt_f32_e64 s4, 0xc2ce8ed0, v40
	ds_load_u16 v111, v214 offset:2464
	ds_load_u16 v109, v214 offset:1760
	;; [unrolled: 1-line block ×4, first 2 shown]
	ds_load_u16_d16_hi v105, v225 offset:6160
	ds_load_u16 v142, v243 offset:1408
	ds_load_u16 v114, v231 offset:704
	;; [unrolled: 1-line block ×6, first 2 shown]
	v_dual_fmac_f32 v42, 0x32a5705f, v40 :: v_dual_sub_f32 v41, v41, v43
	v_cvt_i32_f32_e32 v43, v43
	s_waitcnt lgkmcnt(17)
	v_wmma_f32_16x16x16_f16 v[0:7], v[88:95], v[56:63], v[0:7]
	s_delay_alu instid0(VALU_DEP_3) | instskip(NEXT) | instid1(VALU_DEP_1)
	v_dual_add_f32 v41, v41, v42 :: v_dual_sub_f32 v42, v158, v148
	v_exp_f32_e32 v41, v41
	s_delay_alu instid0(VALU_DEP_1) | instskip(SKIP_1) | instid1(VALU_DEP_2)
	v_mul_f32_e32 v44, 0x3fb8aa3b, v42
	v_cmp_ngt_f32_e64 s5, 0xc2ce8ed0, v42
	v_fma_f32 v45, 0x3fb8aa3b, v42, -v44
	v_rndne_f32_e32 v56, v44
	s_waitcnt_depctr 0xfff
	v_ldexp_f32 v41, v41, v43
	v_dual_fmac_f32 v45, 0x32a5705f, v42 :: v_dual_sub_f32 v44, v44, v56
	s_delay_alu instid0(VALU_DEP_2) | instskip(SKIP_1) | instid1(VALU_DEP_3)
	v_cndmask_b32_e64 v41, 0, v41, s4
	v_cmp_nlt_f32_e64 s4, 0x42b17218, v40
	v_add_f32_e32 v44, v44, v45
	s_delay_alu instid0(VALU_DEP_2) | instskip(NEXT) | instid1(VALU_DEP_2)
	v_cndmask_b32_e64 v80, 0x7f800000, v41, s4
	v_exp_f32_e32 v43, v44
	v_cvt_i32_f32_e32 v44, v56
	s_waitcnt_depctr 0xfff
	v_ldexp_f32 v43, v43, v44
	s_delay_alu instid0(VALU_DEP_1)
	v_cndmask_b32_e64 v40, 0, v43, s5
	v_cmp_nlt_f32_e64 s5, 0x42b17218, v42
	ds_bpermute_b32 v42, v149, v80
	v_cndmask_b32_e64 v79, 0x7f800000, v40, s5
	ds_bpermute_b32 v40, v149, v79
	s_waitcnt lgkmcnt(0)
	v_cndmask_b32_e64 v41, v79, v40, s1
	v_cndmask_b32_e32 v40, v79, v40, vcc_lo
	s_delay_alu instid0(VALU_DEP_2) | instskip(NEXT) | instid1(VALU_DEP_2)
	v_cndmask_b32_e64 v43, v41, v80, s2
	v_cndmask_b32_e64 v44, v40, v80, s3
	v_cvt_f16_f32_e32 v41, v41
	v_cvt_f16_f32_e32 v40, v40
	s_delay_alu instid0(VALU_DEP_4) | instskip(NEXT) | instid1(VALU_DEP_4)
	v_cndmask_b32_e64 v43, v43, v42, s1
	v_cndmask_b32_e32 v42, v44, v42, vcc_lo
	s_delay_alu instid0(VALU_DEP_3) | instskip(SKIP_1) | instid1(VALU_DEP_4)
	v_pack_b32_f16 v56, v41, v40
	v_sub_f32_e32 v40, v157, v148
	v_cvt_f16_f32_e32 v44, v43
	s_delay_alu instid0(VALU_DEP_4) | instskip(NEXT) | instid1(VALU_DEP_3)
	v_cvt_f16_f32_e32 v45, v42
	v_mul_f32_e32 v41, 0x3fb8aa3b, v40
	v_cmp_ngt_f32_e64 s4, 0xc2ce8ed0, v40
	s_delay_alu instid0(VALU_DEP_3) | instskip(NEXT) | instid1(VALU_DEP_3)
	v_pack_b32_f16 v57, v44, v45
	v_fma_f32 v44, 0x3fb8aa3b, v40, -v41
	v_rndne_f32_e32 v45, v41
	s_delay_alu instid0(VALU_DEP_1) | instskip(NEXT) | instid1(VALU_DEP_1)
	v_dual_fmac_f32 v44, 0x32a5705f, v40 :: v_dual_sub_f32 v41, v41, v45
	v_add_f32_e32 v41, v41, v44
	v_cvt_i32_f32_e32 v44, v45
	s_delay_alu instid0(VALU_DEP_2) | instskip(SKIP_2) | instid1(VALU_DEP_1)
	v_exp_f32_e32 v41, v41
	s_waitcnt_depctr 0xfff
	v_ldexp_f32 v41, v41, v44
	v_cndmask_b32_e64 v41, 0, v41, s4
	v_cmp_nlt_f32_e64 s4, 0x42b17218, v40
	s_delay_alu instid0(VALU_DEP_1) | instskip(NEXT) | instid1(VALU_DEP_1)
	v_cndmask_b32_e64 v81, 0x7f800000, v41, s4
	v_cndmask_b32_e64 v41, v42, v81, s3
	ds_bpermute_b32 v42, v149, v81
	v_cndmask_b32_e64 v40, v43, v81, s2
	s_waitcnt lgkmcnt(0)
	s_delay_alu instid0(VALU_DEP_1) | instskip(SKIP_1) | instid1(VALU_DEP_2)
	v_cndmask_b32_e64 v40, v40, v42, s1
	v_cndmask_b32_e32 v41, v41, v42, vcc_lo
	v_cvt_f16_f32_e32 v42, v40
	s_delay_alu instid0(VALU_DEP_2) | instskip(NEXT) | instid1(VALU_DEP_1)
	v_cvt_f16_f32_e32 v43, v41
	v_pack_b32_f16 v58, v42, v43
	v_sub_f32_e32 v42, v156, v148
	s_delay_alu instid0(VALU_DEP_1) | instskip(SKIP_1) | instid1(VALU_DEP_2)
	v_mul_f32_e32 v43, 0x3fb8aa3b, v42
	v_cmp_ngt_f32_e64 s4, 0xc2ce8ed0, v42
	v_fma_f32 v44, 0x3fb8aa3b, v42, -v43
	v_rndne_f32_e32 v45, v43
	s_delay_alu instid0(VALU_DEP_1) | instskip(NEXT) | instid1(VALU_DEP_1)
	v_dual_fmac_f32 v44, 0x32a5705f, v42 :: v_dual_sub_f32 v43, v43, v45
	v_add_f32_e32 v43, v43, v44
	v_cvt_i32_f32_e32 v44, v45
	s_delay_alu instid0(VALU_DEP_2) | instskip(SKIP_2) | instid1(VALU_DEP_1)
	v_exp_f32_e32 v43, v43
	s_waitcnt_depctr 0xfff
	v_ldexp_f32 v43, v43, v44
	v_cndmask_b32_e64 v43, 0, v43, s4
	v_cmp_nlt_f32_e64 s4, 0x42b17218, v42
	s_delay_alu instid0(VALU_DEP_1) | instskip(SKIP_4) | instid1(VALU_DEP_2)
	v_cndmask_b32_e64 v82, 0x7f800000, v43, s4
	ds_bpermute_b32 v42, v149, v82
	v_cndmask_b32_e64 v40, v40, v82, s2
	v_cndmask_b32_e64 v41, v41, v82, s3
	s_waitcnt lgkmcnt(0)
	v_cndmask_b32_e64 v40, v40, v42, s1
	s_delay_alu instid0(VALU_DEP_2) | instskip(NEXT) | instid1(VALU_DEP_2)
	v_cndmask_b32_e32 v41, v41, v42, vcc_lo
	v_cvt_f16_f32_e32 v42, v40
	s_delay_alu instid0(VALU_DEP_2) | instskip(NEXT) | instid1(VALU_DEP_1)
	v_cvt_f16_f32_e32 v43, v41
	v_pack_b32_f16 v59, v42, v43
	v_sub_f32_e32 v42, v155, v148
	s_delay_alu instid0(VALU_DEP_1) | instskip(SKIP_1) | instid1(VALU_DEP_2)
	v_mul_f32_e32 v43, 0x3fb8aa3b, v42
	v_cmp_ngt_f32_e64 s4, 0xc2ce8ed0, v42
	v_fma_f32 v44, 0x3fb8aa3b, v42, -v43
	v_rndne_f32_e32 v45, v43
	s_delay_alu instid0(VALU_DEP_1) | instskip(NEXT) | instid1(VALU_DEP_1)
	v_dual_fmac_f32 v44, 0x32a5705f, v42 :: v_dual_sub_f32 v43, v43, v45
	v_add_f32_e32 v43, v43, v44
	v_cvt_i32_f32_e32 v44, v45
	s_delay_alu instid0(VALU_DEP_2) | instskip(SKIP_2) | instid1(VALU_DEP_1)
	v_exp_f32_e32 v43, v43
	s_waitcnt_depctr 0xfff
	v_ldexp_f32 v43, v43, v44
	v_cndmask_b32_e64 v43, 0, v43, s4
	v_cmp_nlt_f32_e64 s4, 0x42b17218, v42
	s_delay_alu instid0(VALU_DEP_1) | instskip(SKIP_4) | instid1(VALU_DEP_2)
	v_cndmask_b32_e64 v83, 0x7f800000, v43, s4
	ds_bpermute_b32 v42, v149, v83
	v_cndmask_b32_e64 v40, v40, v83, s2
	v_cndmask_b32_e64 v41, v41, v83, s3
	s_waitcnt lgkmcnt(0)
	v_cndmask_b32_e64 v40, v40, v42, s1
	s_delay_alu instid0(VALU_DEP_2) | instskip(NEXT) | instid1(VALU_DEP_2)
	;; [unrolled: 29-line block ×4, first 2 shown]
	v_cndmask_b32_e32 v41, v41, v42, vcc_lo
	v_cvt_f16_f32_e32 v42, v40
	s_delay_alu instid0(VALU_DEP_2) | instskip(NEXT) | instid1(VALU_DEP_1)
	v_cvt_f16_f32_e32 v43, v41
	v_pack_b32_f16 v62, v42, v43
	v_sub_f32_e32 v42, v97, v148
	ds_load_u16_d16_hi v111, v225 offset:8272
	ds_load_u16 v116, v231 offset:1408
	ds_load_u16 v117, v231 offset:1760
	;; [unrolled: 1-line block ×10, first 2 shown]
	ds_load_u16_d16_hi v115, v225 offset:6896
	ds_load_u16_d16_hi v209, v225 offset:6928
	;; [unrolled: 1-line block ×10, first 2 shown]
	ds_load_u16 v127, v239 offset:2464
	ds_load_u16 v97, v240 offset:352
	;; [unrolled: 1-line block ×4, first 2 shown]
	v_mul_f32_e32 v43, 0x3fb8aa3b, v42
	v_cmp_ngt_f32_e64 s4, 0xc2ce8ed0, v42
	s_delay_alu instid0(VALU_DEP_2) | instskip(SKIP_1) | instid1(VALU_DEP_1)
	v_fma_f32 v44, 0x3fb8aa3b, v42, -v43
	v_rndne_f32_e32 v45, v43
	v_dual_fmac_f32 v44, 0x32a5705f, v42 :: v_dual_sub_f32 v43, v43, v45
	s_delay_alu instid0(VALU_DEP_1) | instskip(SKIP_1) | instid1(VALU_DEP_2)
	v_add_f32_e32 v43, v43, v44
	v_cvt_i32_f32_e32 v44, v45
	v_exp_f32_e32 v43, v43
	s_waitcnt_depctr 0xfff
	v_ldexp_f32 v43, v43, v44
	s_delay_alu instid0(VALU_DEP_1) | instskip(SKIP_1) | instid1(VALU_DEP_1)
	v_cndmask_b32_e64 v43, 0, v43, s4
	v_cmp_nlt_f32_e64 s4, 0x42b17218, v42
	v_cndmask_b32_e64 v86, 0x7f800000, v43, s4
	ds_bpermute_b32 v42, v149, v86
	v_cndmask_b32_e64 v40, v40, v86, s2
	v_cndmask_b32_e64 v41, v41, v86, s3
	s_waitcnt lgkmcnt(0)
	s_delay_alu instid0(VALU_DEP_2) | instskip(NEXT) | instid1(VALU_DEP_2)
	v_cndmask_b32_e64 v40, v40, v42, s1
	v_cndmask_b32_e32 v41, v41, v42, vcc_lo
	s_delay_alu instid0(VALU_DEP_2) | instskip(NEXT) | instid1(VALU_DEP_2)
	v_cvt_f16_f32_e32 v40, v40
	v_cvt_f16_f32_e32 v41, v41
	s_delay_alu instid0(VALU_DEP_1)
	v_pack_b32_f16 v63, v40, v41
	ds_load_u16_d16_hi v116, v225 offset:7248
	ds_load_u16_d16_hi v210, v225 offset:7280
	;; [unrolled: 1-line block ×7, first 2 shown]
	ds_load_u16 v145, v243 offset:2464
	ds_load_u16_d16_hi v121, v225 offset:6256
	ds_load_u16_d16_hi v139, v225 offset:6288
	;; [unrolled: 1-line block ×10, first 2 shown]
	ds_load_u16 v72, v236 offset:352
	ds_load_u16 v73, v236 offset:704
	;; [unrolled: 1-line block ×10, first 2 shown]
	ds_load_u16_d16_hi v119, v225 offset:8304
	ds_load_u16_d16_hi v213, v225 offset:8336
	;; [unrolled: 1-line block ×3, first 2 shown]
	s_waitcnt lgkmcnt(23)
	ds_load_u16_d16_hi v145, v225 offset:8400
	ds_load_u16 v64, v225 offset:8448
	ds_load_u16 v89, v225 offset:8480
	ds_load_u16_d16_hi v144, v225 offset:8048
	ds_load_u16_d16_hi v113, v225 offset:6192
	;; [unrolled: 1-line block ×5, first 2 shown]
	ds_load_u16 v123, v239 offset:1056
	v_sub_f32_e32 v40, v154, v148
	s_waitcnt lgkmcnt(24)
	v_wmma_f32_16x16x16_f16 v[32:39], v[104:111], v[56:63], v[32:39]
	s_delay_alu instid0(VALU_DEP_2)
	v_mul_f32_e32 v43, 0x3fb8aa3b, v40
	v_cmp_ngt_f32_e64 s4, 0xc2ce8ed0, v40
	s_waitcnt lgkmcnt(3)
	v_wmma_f32_16x16x16_f16 v[24:31], v[112:119], v[56:63], v[24:31]
	s_waitcnt lgkmcnt(2)
	v_wmma_f32_16x16x16_f16 v[16:23], v[206:213], v[56:63], v[16:23]
	v_wmma_f32_16x16x16_f16 v[0:7], v[138:145], v[56:63], v[0:7]
	s_waitcnt lgkmcnt(0)
	ds_load_u16_d16_hi v123, v225 offset:6960
	s_waitcnt lgkmcnt(0)
	v_wmma_f32_16x16x16_f16 v[8:15], v[120:127], v[56:63], v[8:15]
	v_fma_f32 v56, 0x3fb8aa3b, v40, -v43
	v_rndne_f32_e32 v57, v43
	s_delay_alu instid0(VALU_DEP_1) | instskip(SKIP_1) | instid1(VALU_DEP_2)
	v_dual_fmac_f32 v56, 0x32a5705f, v40 :: v_dual_sub_f32 v43, v43, v57
	v_cvt_i32_f32_e32 v57, v57
	v_add_f32_e32 v43, v43, v56
	v_sub_f32_e32 v56, v153, v148
	s_delay_alu instid0(VALU_DEP_2) | instskip(NEXT) | instid1(VALU_DEP_1)
	v_exp_f32_e32 v43, v43
	v_mul_f32_e32 v58, 0x3fb8aa3b, v56
	v_cmp_ngt_f32_e64 s5, 0xc2ce8ed0, v56
	s_delay_alu instid0(VALU_DEP_2)
	v_fma_f32 v59, 0x3fb8aa3b, v56, -v58
	v_rndne_f32_e32 v60, v58
	s_waitcnt_depctr 0xfff
	v_ldexp_f32 v43, v43, v57
	v_fmac_f32_e32 v59, 0x32a5705f, v56
	v_sub_f32_e32 v58, v58, v60
	s_delay_alu instid0(VALU_DEP_3) | instskip(SKIP_1) | instid1(VALU_DEP_3)
	v_cndmask_b32_e64 v43, 0, v43, s4
	v_cmp_nlt_f32_e64 s4, 0x42b17218, v40
	v_add_f32_e32 v58, v58, v59
	s_delay_alu instid0(VALU_DEP_2) | instskip(NEXT) | instid1(VALU_DEP_2)
	v_cndmask_b32_e64 v88, 0x7f800000, v43, s4
	v_exp_f32_e32 v57, v58
	v_cvt_i32_f32_e32 v58, v60
	s_waitcnt_depctr 0xfff
	v_ldexp_f32 v57, v57, v58
	s_delay_alu instid0(VALU_DEP_1)
	v_cndmask_b32_e64 v40, 0, v57, s5
	v_cmp_nlt_f32_e64 s5, 0x42b17218, v56
	ds_bpermute_b32 v56, v149, v88
	v_cndmask_b32_e64 v87, 0x7f800000, v40, s5
	ds_bpermute_b32 v40, v149, v87
	s_waitcnt lgkmcnt(0)
	v_cndmask_b32_e64 v43, v87, v40, s1
	v_cndmask_b32_e32 v40, v87, v40, vcc_lo
	s_delay_alu instid0(VALU_DEP_2) | instskip(SKIP_1) | instid1(VALU_DEP_2)
	v_cndmask_b32_e64 v57, v43, v88, s2
	v_cvt_f16_f32_e32 v43, v43
	v_cndmask_b32_e64 v58, v57, v56, s1
	s_delay_alu instid0(VALU_DEP_4) | instskip(SKIP_1) | instid1(VALU_DEP_2)
	v_cndmask_b32_e64 v57, v40, v88, s3
	v_cvt_f16_f32_e32 v40, v40
	v_cndmask_b32_e32 v59, v57, v56, vcc_lo
	s_delay_alu instid0(VALU_DEP_2) | instskip(SKIP_2) | instid1(VALU_DEP_4)
	v_pack_b32_f16 v56, v43, v40
	v_sub_f32_e32 v40, v152, v148
	v_cvt_f16_f32_e32 v57, v58
	v_cvt_f16_f32_e32 v60, v59
	s_delay_alu instid0(VALU_DEP_3) | instskip(SKIP_1) | instid1(VALU_DEP_3)
	v_mul_f32_e32 v43, 0x3fb8aa3b, v40
	v_cmp_ngt_f32_e64 s4, 0xc2ce8ed0, v40
	v_pack_b32_f16 v57, v57, v60
	s_delay_alu instid0(VALU_DEP_3) | instskip(SKIP_1) | instid1(VALU_DEP_1)
	v_fma_f32 v60, 0x3fb8aa3b, v40, -v43
	v_rndne_f32_e32 v61, v43
	v_dual_fmac_f32 v60, 0x32a5705f, v40 :: v_dual_sub_f32 v43, v43, v61
	s_delay_alu instid0(VALU_DEP_1) | instskip(SKIP_1) | instid1(VALU_DEP_2)
	v_add_f32_e32 v43, v43, v60
	v_cvt_i32_f32_e32 v60, v61
	v_exp_f32_e32 v43, v43
	s_waitcnt_depctr 0xfff
	v_ldexp_f32 v43, v43, v60
	s_delay_alu instid0(VALU_DEP_1) | instskip(SKIP_1) | instid1(VALU_DEP_1)
	v_cndmask_b32_e64 v43, 0, v43, s4
	v_cmp_nlt_f32_e64 s4, 0x42b17218, v40
	v_cndmask_b32_e64 v104, 0x7f800000, v43, s4
	s_delay_alu instid0(VALU_DEP_1) | instskip(SKIP_4) | instid1(VALU_DEP_2)
	v_cndmask_b32_e64 v40, v58, v104, s2
	ds_bpermute_b32 v58, v149, v104
	v_cndmask_b32_e64 v43, v59, v104, s3
	s_waitcnt lgkmcnt(0)
	v_cndmask_b32_e64 v40, v40, v58, s1
	v_cndmask_b32_e32 v43, v43, v58, vcc_lo
	s_delay_alu instid0(VALU_DEP_2) | instskip(NEXT) | instid1(VALU_DEP_2)
	v_cvt_f16_f32_e32 v58, v40
	v_cvt_f16_f32_e32 v59, v43
	s_delay_alu instid0(VALU_DEP_1) | instskip(SKIP_1) | instid1(VALU_DEP_1)
	v_pack_b32_f16 v58, v58, v59
	v_sub_f32_e32 v59, v151, v148
	v_mul_f32_e32 v60, 0x3fb8aa3b, v59
	v_cmp_ngt_f32_e64 s4, 0xc2ce8ed0, v59
	s_delay_alu instid0(VALU_DEP_2) | instskip(SKIP_1) | instid1(VALU_DEP_1)
	v_fma_f32 v61, 0x3fb8aa3b, v59, -v60
	v_rndne_f32_e32 v62, v60
	v_dual_fmac_f32 v61, 0x32a5705f, v59 :: v_dual_sub_f32 v60, v60, v62
	s_delay_alu instid0(VALU_DEP_1) | instskip(SKIP_1) | instid1(VALU_DEP_2)
	v_add_f32_e32 v60, v60, v61
	v_cvt_i32_f32_e32 v61, v62
	v_exp_f32_e32 v60, v60
	s_waitcnt_depctr 0xfff
	v_ldexp_f32 v60, v60, v61
	s_delay_alu instid0(VALU_DEP_1) | instskip(SKIP_1) | instid1(VALU_DEP_1)
	v_cndmask_b32_e64 v60, 0, v60, s4
	v_cmp_nlt_f32_e64 s4, 0x42b17218, v59
	v_cndmask_b32_e64 v105, 0x7f800000, v60, s4
	ds_bpermute_b32 v59, v149, v105
	v_cndmask_b32_e64 v40, v40, v105, s2
	v_cndmask_b32_e64 v43, v43, v105, s3
	s_waitcnt lgkmcnt(0)
	s_delay_alu instid0(VALU_DEP_2) | instskip(NEXT) | instid1(VALU_DEP_2)
	v_cndmask_b32_e64 v40, v40, v59, s1
	v_cndmask_b32_e32 v43, v43, v59, vcc_lo
	s_delay_alu instid0(VALU_DEP_2) | instskip(NEXT) | instid1(VALU_DEP_2)
	v_cvt_f16_f32_e32 v59, v40
	v_cvt_f16_f32_e32 v60, v43
	s_delay_alu instid0(VALU_DEP_1) | instskip(SKIP_1) | instid1(VALU_DEP_1)
	v_pack_b32_f16 v59, v59, v60
	v_sub_f32_e32 v60, v150, v148
	v_mul_f32_e32 v61, 0x3fb8aa3b, v60
	v_cmp_ngt_f32_e64 s4, 0xc2ce8ed0, v60
	s_delay_alu instid0(VALU_DEP_2) | instskip(SKIP_1) | instid1(VALU_DEP_1)
	v_fma_f32 v62, 0x3fb8aa3b, v60, -v61
	v_rndne_f32_e32 v63, v61
	v_dual_fmac_f32 v62, 0x32a5705f, v60 :: v_dual_sub_f32 v61, v61, v63
	s_delay_alu instid0(VALU_DEP_1) | instskip(SKIP_1) | instid1(VALU_DEP_2)
	v_add_f32_e32 v61, v61, v62
	v_cvt_i32_f32_e32 v62, v63
	v_exp_f32_e32 v61, v61
	s_waitcnt_depctr 0xfff
	v_ldexp_f32 v61, v61, v62
	s_delay_alu instid0(VALU_DEP_1) | instskip(SKIP_1) | instid1(VALU_DEP_1)
	v_cndmask_b32_e64 v61, 0, v61, s4
	v_cmp_nlt_f32_e64 s4, 0x42b17218, v60
	v_cndmask_b32_e64 v106, 0x7f800000, v61, s4
	ds_bpermute_b32 v60, v149, v106
	v_cndmask_b32_e64 v40, v40, v106, s2
	v_cndmask_b32_e64 v43, v43, v106, s3
	s_waitcnt lgkmcnt(0)
	s_delay_alu instid0(VALU_DEP_2) | instskip(NEXT) | instid1(VALU_DEP_2)
	;; [unrolled: 29-line block ×5, first 2 shown]
	v_cndmask_b32_e64 v40, v40, v63, s1
	v_cndmask_b32_e32 v43, v43, v63, vcc_lo
	s_delay_alu instid0(VALU_DEP_2) | instskip(NEXT) | instid1(VALU_DEP_2)
	v_cvt_f16_f32_e32 v40, v40
	v_cvt_f16_f32_e32 v43, v43
	s_delay_alu instid0(VALU_DEP_1)
	v_pack_b32_f16 v63, v40, v43
	ds_load_u16 v69, v228 offset:1760
	ds_load_u16 v70, v228 offset:2112
	;; [unrolled: 1-line block ×6, first 2 shown]
	ds_load_u16_d16_hi v64, v225 offset:8624
	ds_load_u16_d16_hi v66, v225 offset:9328
	ds_load_u16 v94, v232 offset:1760
	s_waitcnt lgkmcnt(8)
	ds_load_u16_d16_hi v69, v225 offset:10384
	ds_load_u16 v101, v240 offset:1760
	ds_load_u16 v95, v232 offset:2112
	s_waitcnt lgkmcnt(10)
	ds_load_u16_d16_hi v70, v225 offset:10736
	ds_load_u16 v102, v240 offset:2112
	s_waitcnt lgkmcnt(11)
	ds_load_u16_d16_hi v68, v225 offset:10032
	ds_load_u16_d16_hi v67, v225 offset:9680
	ds_load_u16_d16_hi v72, v225 offset:9040
	ds_load_u16_d16_hi v41, v225 offset:9104
	ds_load_u16_d16_hi v65, v225 offset:8976
	ds_load_u16_d16_hi v89, v225 offset:8656
	s_waitcnt lgkmcnt(16)
	ds_load_u16_d16_hi v71, v225 offset:11088
	ds_load_u16_d16_hi v96, v225 offset:11120
	s_waitcnt lgkmcnt(17)
	ds_load_u16_d16_hi v91, v225 offset:9360
	ds_load_u16_d16_hi v73, v225 offset:9392
	;; [unrolled: 1-line block ×6, first 2 shown]
	s_waitcnt lgkmcnt(19)
	ds_load_u16_d16_hi v94, v225 offset:10416
	ds_load_u16_d16_hi v76, v225 offset:10448
	s_waitcnt lgkmcnt(19)
	ds_load_u16_d16_hi v101, v225 offset:10480
	s_waitcnt lgkmcnt(19)
	ds_load_u16_d16_hi v95, v225 offset:10768
	ds_load_u16_d16_hi v77, v225 offset:10800
	s_waitcnt lgkmcnt(19)
	ds_load_u16_d16_hi v102, v225 offset:10832
	ds_load_u16 v40, v225 offset:8576
	ds_load_u16_d16_hi v43, v225 offset:9808
	ds_load_u16_d16_hi v42, v225 offset:9456
	;; [unrolled: 1-line block ×5, first 2 shown]
	ds_load_u16 v93, v232 offset:1408
	ds_load_u16 v100, v240 offset:1408
	ds_load_u16_d16_hi v90, v225 offset:9008
	s_waitcnt lgkmcnt(2)
	ds_load_u16_d16_hi v93, v225 offset:10064
	ds_load_u16_d16_hi v75, v225 offset:10096
	s_waitcnt lgkmcnt(3)
	ds_load_u16_d16_hi v100, v225 offset:10128
	ds_load_u16_d16_hi v40, v225 offset:8752
	v_wmma_f32_16x16x16_f16 v[32:39], v[64:71], v[56:63], v[32:39]
	s_waitcnt lgkmcnt(3)
	v_wmma_f32_16x16x16_f16 v[24:31], v[89:96], v[56:63], v[24:31]
	ds_load_u16 v71, v225 offset:8512
	ds_load_u16 v78, v236 offset:2464
	;; [unrolled: 1-line block ×3, first 2 shown]
	s_waitcnt lgkmcnt(2)
	ds_load_u16_d16_hi v71, v225 offset:8688
	s_waitcnt lgkmcnt(2)
	ds_load_u16_d16_hi v78, v225 offset:11152
	ds_load_u16_d16_hi v103, v225 offset:11184
	s_waitcnt lgkmcnt(3)
	ds_load_u16_d16_hi v96, v225 offset:8720
	v_wmma_f32_16x16x16_f16 v[0:7], v[40:47], v[56:63], v[0:7]
	v_add_f32_e32 v40, v161, v162
	ds_load_u16_d16_hi v98, v225 offset:9424
	s_waitcnt lgkmcnt(0)
	s_barrier
	buffer_gl0_inv
	v_add_f32_e32 v40, v163, v40
	s_delay_alu instid0(VALU_DEP_1) | instskip(NEXT) | instid1(VALU_DEP_1)
	v_add_f32_e32 v40, v164, v40
	v_add_f32_e32 v40, v185, v40
	v_wmma_f32_16x16x16_f16 v[16:23], v[71:78], v[56:63], v[16:23]
	s_delay_alu instid0(VALU_DEP_2) | instskip(SKIP_1) | instid1(VALU_DEP_2)
	v_add_f32_e32 v40, v186, v40
	v_wmma_f32_16x16x16_f16 v[8:15], v[96:103], v[56:63], v[8:15]
	v_add_f32_e32 v40, v188, v40
	s_delay_alu instid0(VALU_DEP_1) | instskip(NEXT) | instid1(VALU_DEP_1)
	v_add_f32_e32 v40, v189, v40
	v_add_f32_e32 v40, v48, v40
	s_delay_alu instid0(VALU_DEP_1) | instskip(NEXT) | instid1(VALU_DEP_1)
	v_add_f32_e32 v40, v49, v40
	;; [unrolled: 3-line block ×13, first 2 shown]
	v_fmac_f32_e32 v40, v147, v160
	ds_bpermute_b32 v41, v149, v40
	s_waitcnt lgkmcnt(0)
	v_add_f32_e32 v40, v40, v41
	s_cbranch_scc1 .LBB9_297
; %bb.296:                              ;   in Loop: Header=BB9_15 Depth=1
	scratch_load_b32 v41, off, off offset:236 ; 4-byte Folded Reload
	s_waitcnt vmcnt(0)
	v_dual_max_f32 v42, v148, v148 :: v_dual_lshlrev_b32 v41, 2, v41
	global_load_b32 v41, v41, s[78:79]
	s_waitcnt vmcnt(0)
	v_max_f32_e32 v43, v41, v41
	s_delay_alu instid0(VALU_DEP_1) | instskip(NEXT) | instid1(VALU_DEP_1)
	v_max_f32_e32 v42, v42, v43
	v_sub_f32_e32 v43, v148, v42
	s_delay_alu instid0(VALU_DEP_1) | instskip(SKIP_1) | instid1(VALU_DEP_2)
	v_dual_sub_f32 v41, v41, v42 :: v_dual_mul_f32 v44, 0x3fb8aa3b, v43
	v_cmp_ngt_f32_e32 vcc_lo, 0xc2ce8ed0, v43
	v_cmp_ngt_f32_e64 s1, 0xc2ce8ed0, v41
	s_delay_alu instid0(VALU_DEP_3) | instskip(SKIP_1) | instid1(VALU_DEP_1)
	v_fma_f32 v45, 0x3fb8aa3b, v43, -v44
	v_rndne_f32_e32 v46, v44
	v_dual_fmac_f32 v45, 0x32a5705f, v43 :: v_dual_sub_f32 v44, v44, v46
	v_cvt_i32_f32_e32 v46, v46
	s_delay_alu instid0(VALU_DEP_2) | instskip(SKIP_1) | instid1(VALU_DEP_1)
	v_add_f32_e32 v44, v44, v45
	v_dual_mul_f32 v45, 0x3fb8aa3b, v41 :: v_dual_mov_b32 v148, v42
	v_rndne_f32_e32 v48, v45
	v_fma_f32 v47, 0x3fb8aa3b, v41, -v45
	s_delay_alu instid0(VALU_DEP_2) | instskip(SKIP_1) | instid1(VALU_DEP_2)
	v_sub_f32_e32 v45, v45, v48
	v_exp_f32_e32 v44, v44
	v_fmac_f32_e32 v47, 0x32a5705f, v41
	s_waitcnt_depctr 0xfff
	v_ldexp_f32 v44, v44, v46
	v_cvt_i32_f32_e32 v46, v48
	s_delay_alu instid0(VALU_DEP_2) | instskip(SKIP_1) | instid1(VALU_DEP_2)
	v_cndmask_b32_e32 v44, 0, v44, vcc_lo
	v_cmp_nlt_f32_e32 vcc_lo, 0x42b17218, v43
	v_dual_add_f32 v45, v45, v47 :: v_dual_cndmask_b32 v44, 0x7f800000, v44
	s_delay_alu instid0(VALU_DEP_1) | instskip(SKIP_3) | instid1(VALU_DEP_1)
	v_exp_f32_e32 v45, v45
	v_cmp_le_f32_e32 vcc_lo, 0xc1a00000, v43
	s_waitcnt_depctr 0xfff
	v_ldexp_f32 v45, v45, v46
	v_cndmask_b32_e64 v43, 0, v45, s1
	v_cmp_nlt_f32_e64 s1, 0x42b17218, v41
	s_delay_alu instid0(VALU_DEP_1) | instskip(SKIP_1) | instid1(VALU_DEP_1)
	v_cndmask_b32_e64 v41, 0x7f800000, v43, s1
	v_cndmask_b32_e32 v43, 0, v44, vcc_lo
	v_fmac_f32_e32 v41, v40, v43
	s_delay_alu instid0(VALU_DEP_1)
	v_mov_b32_e32 v40, v41
	v_mul_f32_e32 v32, v32, v43
	v_mul_f32_e32 v33, v33, v43
	;; [unrolled: 1-line block ×40, first 2 shown]
.LBB9_297:                              ;   in Loop: Header=BB9_15 Depth=1
	s_clause 0x3
	scratch_load_b32 v186, off, off offset:200
	scratch_load_b64 v[206:207], off, off offset:208
	scratch_load_b64 v[207:208], off, off offset:216
	;; [unrolled: 1-line block ×3, first 2 shown]
	s_mov_b32 s1, exec_lo
	s_clause 0x3
	scratch_load_b64 v[188:189], off, off offset:4
	scratch_load_b64 v[208:209], off, off offset:12
	;; [unrolled: 1-line block ×4, first 2 shown]
	v_readlane_b32 s2, v255, 18
	s_delay_alu instid0(VALU_DEP_1) | instskip(NEXT) | instid1(SALU_CYCLE_1)
	s_and_b32 s2, s1, s2
	s_mov_b32 exec_lo, s2
	s_cbranch_execz .LBB9_299
; %bb.298:                              ;   in Loop: Header=BB9_15 Depth=1
	scratch_load_b32 v41, off, off offset:424 ; 4-byte Folded Reload
	s_waitcnt vmcnt(0)
	ds_store_2addr_b32 v41, v148, v40 offset0:40 offset1:41
.LBB9_299:                              ;   in Loop: Header=BB9_15 Depth=1
	s_or_b32 exec_lo, exec_lo, s1
	v_cvt_f16_f32_e32 v32, v32
	v_cvt_f16_f32_e32 v24, v24
	;; [unrolled: 1-line block ×20, first 2 shown]
	s_waitcnt vmcnt(0) lgkmcnt(0)
	s_barrier
	buffer_gl0_inv
	v_cvt_f16_f32_e32 v37, v37
	v_cvt_f16_f32_e32 v38, v38
	;; [unrolled: 1-line block ×3, first 2 shown]
	ds_store_b16 v219, v32
	ds_store_b16 v219, v33 offset:4
	ds_store_b16 v219, v34 offset:8
	ds_store_b16 v219, v35 offset:12
	ds_store_b16 v219, v36 offset:16
	ds_store_b16 v219, v37 offset:20
	ds_store_b16 v219, v38 offset:24
	ds_store_b16 v219, v39 offset:28
	v_cvt_f16_f32_e32 v29, v29
	v_cvt_f16_f32_e32 v30, v30
	v_cvt_f16_f32_e32 v31, v31
	ds_store_b16 v219, v24 offset:32
	ds_store_b16 v219, v25 offset:36
	ds_store_b16 v219, v26 offset:40
	ds_store_b16 v219, v27 offset:44
	ds_store_b16 v219, v28 offset:48
	ds_store_b16 v219, v29 offset:52
	ds_store_b16 v219, v30 offset:56
	ds_store_b16 v219, v31 offset:60
	v_cvt_f16_f32_e32 v21, v21
	v_cvt_f16_f32_e32 v22, v22
	v_cvt_f16_f32_e32 v23, v23
	ds_store_b16 v219, v16 offset:64
	;; [unrolled: 11-line block ×3, first 2 shown]
	ds_store_b16 v219, v9 offset:100
	ds_store_b16 v219, v10 offset:104
	;; [unrolled: 1-line block ×7, first 2 shown]
	v_cvt_f16_f32_e32 v8, v0
	v_mov_b32_e32 v0, 50
	v_cvt_f16_f32_e32 v1, v1
	v_cvt_f16_f32_e32 v2, v2
	;; [unrolled: 1-line block ×7, first 2 shown]
	ds_store_b16 v219, v8 offset:128
	ds_store_b16 v219, v1 offset:132
	;; [unrolled: 1-line block ×8, first 2 shown]
	s_waitcnt lgkmcnt(0)
	s_barrier
	buffer_gl0_inv
	s_and_saveexec_b32 s2, s59
	s_cbranch_execz .LBB9_301
; %bb.300:                              ;   in Loop: Header=BB9_15 Depth=1
	scratch_load_b32 v1, off, off offset:364 ; 4-byte Folded Reload
	ds_load_b32 v0, v167
	s_waitcnt vmcnt(0)
	ds_load_b32 v3, v1 offset:164
	s_waitcnt lgkmcnt(1)
	v_lshrrev_b32_e32 v1, 16, v0
	v_cvt_f32_f16_e32 v0, v0
	s_delay_alu instid0(VALU_DEP_2) | instskip(NEXT) | instid1(VALU_DEP_1)
	v_cvt_f32_f16_e32 v1, v1
	v_dual_add_f32 v4, 0, v0 :: v_dual_add_f32 v5, 0, v1
	s_waitcnt lgkmcnt(0)
	s_delay_alu instid0(VALU_DEP_1) | instskip(NEXT) | instid1(VALU_DEP_2)
	v_div_scale_f32 v6, null, v3, v3, v4
	v_div_scale_f32 v7, null, v3, v3, v5
	v_div_scale_f32 v10, vcc_lo, v4, v3, v4
	s_delay_alu instid0(VALU_DEP_3) | instskip(NEXT) | instid1(VALU_DEP_2)
	v_rcp_f32_e32 v8, v6
	v_rcp_f32_e32 v9, v7
	v_div_scale_f32 v11, s1, v5, v3, v5
	s_waitcnt_depctr 0xfff
	v_fma_f32 v0, -v6, v8, 1.0
	v_fma_f32 v1, -v7, v9, 1.0
	s_delay_alu instid0(VALU_DEP_1) | instskip(SKIP_1) | instid1(VALU_DEP_2)
	v_dual_fmac_f32 v8, v0, v8 :: v_dual_fmac_f32 v9, v1, v9
	v_mad_u64_u32 v[0:1], null, v130, s45, v[191:192]
	v_dual_mul_f32 v12, v10, v8 :: v_dual_mul_f32 v13, v11, v9
	s_delay_alu instid0(VALU_DEP_2) | instskip(NEXT) | instid1(VALU_DEP_2)
	v_mad_u64_u32 v[1:2], null, v0, 40, v[179:180]
	v_fma_f32 v14, -v6, v12, v10
	s_delay_alu instid0(VALU_DEP_3) | instskip(NEXT) | instid1(VALU_DEP_1)
	v_fma_f32 v15, -v7, v13, v11
	v_dual_fmac_f32 v12, v14, v8 :: v_dual_fmac_f32 v13, v15, v9
	s_delay_alu instid0(VALU_DEP_4) | instskip(NEXT) | instid1(VALU_DEP_2)
	v_ashrrev_i32_e32 v2, 31, v1
	v_fma_f32 v0, -v6, v12, v10
	s_delay_alu instid0(VALU_DEP_3) | instskip(NEXT) | instid1(VALU_DEP_2)
	v_fma_f32 v6, -v7, v13, v11
	v_div_fmas_f32 v7, v0, v8, v12
	s_delay_alu instid0(VALU_DEP_4) | instskip(SKIP_1) | instid1(VALU_DEP_3)
	v_lshlrev_b64 v[0:1], 3, v[1:2]
	s_mov_b32 vcc_lo, s1
	v_div_fmas_f32 v6, v6, v9, v13
	s_delay_alu instid0(VALU_DEP_3) | instskip(NEXT) | instid1(VALU_DEP_3)
	v_div_fixup_f32 v2, v7, v3, v4
	v_add_co_u32 v4, vcc_lo, s57, v0
	s_delay_alu instid0(VALU_DEP_3)
	v_div_fixup_f32 v3, v6, v3, v5
	v_add_co_ci_u32_e32 v5, vcc_lo, s73, v1, vcc_lo
	v_mov_b32_e32 v0, 0
	global_store_b64 v[4:5], v[2:3], off
.LBB9_301:                              ;   in Loop: Header=BB9_15 Depth=1
	s_or_b32 exec_lo, exec_lo, s2
	s_mov_b32 s1, -1
	s_mov_b32 s2, exec_lo
	v_cmpx_gt_i32_e32 50, v0
; %bb.302:                              ;   in Loop: Header=BB9_15 Depth=1
	v_cmp_eq_u32_e32 vcc_lo, 0, v0
	s_or_not1_b32 s1, vcc_lo, exec_lo
; %bb.303:                              ;   in Loop: Header=BB9_15 Depth=1
	s_or_b32 exec_lo, exec_lo, s2
	s_and_saveexec_b32 s2, s1
	s_cbranch_execz .LBB9_376
; %bb.304:                              ;   in Loop: Header=BB9_15 Depth=1
	v_mov_b32_e32 v0, 50
	s_and_saveexec_b32 s3, s0
	s_cbranch_execz .LBB9_306
; %bb.305:                              ;   in Loop: Header=BB9_15 Depth=1
	s_clause 0x2
	scratch_load_b32 v0, off, off offset:68
	scratch_load_b32 v2, off, off offset:76
	;; [unrolled: 1-line block ×3, first 2 shown]
	s_waitcnt vmcnt(2)
	ds_load_b32 v0, v0
	s_waitcnt vmcnt(0)
	ds_load_b32 v3, v1 offset:868
	s_waitcnt lgkmcnt(1)
	v_lshrrev_b32_e32 v1, 16, v0
	v_cvt_f32_f16_e32 v0, v0
	s_delay_alu instid0(VALU_DEP_2) | instskip(NEXT) | instid1(VALU_DEP_1)
	v_cvt_f32_f16_e32 v1, v1
	v_dual_add_f32 v4, 0, v0 :: v_dual_add_f32 v5, 0, v1
	s_waitcnt lgkmcnt(0)
	s_delay_alu instid0(VALU_DEP_1) | instskip(SKIP_1) | instid1(VALU_DEP_3)
	v_div_scale_f32 v6, null, v3, v3, v4
	v_div_scale_f32 v10, vcc_lo, v4, v3, v4
	v_div_scale_f32 v7, null, v3, v3, v5
	s_delay_alu instid0(VALU_DEP_3) | instskip(SKIP_1) | instid1(VALU_DEP_2)
	v_rcp_f32_e32 v8, v6
	v_div_scale_f32 v11, s1, v5, v3, v5
	v_rcp_f32_e32 v9, v7
	s_waitcnt_depctr 0xfff
	v_fma_f32 v0, -v6, v8, 1.0
	v_fma_f32 v1, -v7, v9, 1.0
	s_delay_alu instid0(VALU_DEP_1) | instskip(SKIP_1) | instid1(VALU_DEP_2)
	v_dual_fmac_f32 v8, v0, v8 :: v_dual_fmac_f32 v9, v1, v9
	v_mad_u64_u32 v[0:1], null, v2, s45, v[191:192]
	v_dual_mul_f32 v12, v10, v8 :: v_dual_mul_f32 v13, v11, v9
	s_delay_alu instid0(VALU_DEP_1) | instskip(NEXT) | instid1(VALU_DEP_3)
	v_fma_f32 v14, -v6, v12, v10
	v_mad_u64_u32 v[1:2], null, v0, 40, v[179:180]
	s_delay_alu instid0(VALU_DEP_3) | instskip(NEXT) | instid1(VALU_DEP_1)
	v_fma_f32 v15, -v7, v13, v11
	v_dual_fmac_f32 v12, v14, v8 :: v_dual_fmac_f32 v13, v15, v9
	s_delay_alu instid0(VALU_DEP_3) | instskip(NEXT) | instid1(VALU_DEP_2)
	v_ashrrev_i32_e32 v2, 31, v1
	v_fma_f32 v0, -v6, v12, v10
	s_delay_alu instid0(VALU_DEP_3) | instskip(NEXT) | instid1(VALU_DEP_2)
	v_fma_f32 v6, -v7, v13, v11
	v_div_fmas_f32 v7, v0, v8, v12
	s_delay_alu instid0(VALU_DEP_4) | instskip(SKIP_1) | instid1(VALU_DEP_3)
	v_lshlrev_b64 v[0:1], 3, v[1:2]
	s_mov_b32 vcc_lo, s1
	v_div_fmas_f32 v6, v6, v9, v13
	s_delay_alu instid0(VALU_DEP_3) | instskip(NEXT) | instid1(VALU_DEP_3)
	v_div_fixup_f32 v2, v7, v3, v4
	v_add_co_u32 v4, vcc_lo, s57, v0
	s_delay_alu instid0(VALU_DEP_3)
	v_div_fixup_f32 v3, v6, v3, v5
	v_add_co_ci_u32_e32 v5, vcc_lo, s73, v1, vcc_lo
	v_mov_b32_e32 v0, 0
	global_store_b64 v[4:5], v[2:3], off
.LBB9_306:                              ;   in Loop: Header=BB9_15 Depth=1
	s_or_b32 exec_lo, exec_lo, s3
	s_mov_b32 s0, -1
	s_mov_b32 s1, exec_lo
	v_cmpx_gt_i32_e32 50, v0
; %bb.307:                              ;   in Loop: Header=BB9_15 Depth=1
	v_cmp_eq_u32_e32 vcc_lo, 0, v0
	s_or_not1_b32 s0, vcc_lo, exec_lo
; %bb.308:                              ;   in Loop: Header=BB9_15 Depth=1
	s_or_b32 exec_lo, exec_lo, s1
	s_delay_alu instid0(SALU_CYCLE_1)
	s_and_b32 exec_lo, exec_lo, s0
	s_cbranch_execz .LBB9_376
; %bb.309:                              ;   in Loop: Header=BB9_15 Depth=1
	v_mov_b32_e32 v0, 50
	s_and_saveexec_b32 s0, s88
	s_cbranch_execz .LBB9_311
; %bb.310:                              ;   in Loop: Header=BB9_15 Depth=1
	s_clause 0x2
	scratch_load_b32 v0, off, off offset:72
	scratch_load_b32 v2, off, off offset:80
	;; [unrolled: 1-line block ×3, first 2 shown]
	s_waitcnt vmcnt(2)
	ds_load_b32 v0, v0
	s_waitcnt vmcnt(0)
	ds_load_b32 v3, v1 offset:1572
	s_waitcnt lgkmcnt(1)
	v_lshrrev_b32_e32 v1, 16, v0
	v_cvt_f32_f16_e32 v0, v0
	s_delay_alu instid0(VALU_DEP_2) | instskip(NEXT) | instid1(VALU_DEP_1)
	v_cvt_f32_f16_e32 v1, v1
	v_dual_add_f32 v4, 0, v0 :: v_dual_add_f32 v5, 0, v1
	s_waitcnt lgkmcnt(0)
	s_delay_alu instid0(VALU_DEP_1) | instskip(SKIP_1) | instid1(VALU_DEP_3)
	v_div_scale_f32 v6, null, v3, v3, v4
	v_div_scale_f32 v10, vcc_lo, v4, v3, v4
	v_div_scale_f32 v7, null, v3, v3, v5
	s_delay_alu instid0(VALU_DEP_3) | instskip(SKIP_1) | instid1(VALU_DEP_2)
	v_rcp_f32_e32 v8, v6
	v_div_scale_f32 v11, s1, v5, v3, v5
	v_rcp_f32_e32 v9, v7
	s_waitcnt_depctr 0xfff
	v_fma_f32 v0, -v6, v8, 1.0
	v_fma_f32 v1, -v7, v9, 1.0
	s_delay_alu instid0(VALU_DEP_1) | instskip(SKIP_1) | instid1(VALU_DEP_2)
	v_dual_fmac_f32 v8, v0, v8 :: v_dual_fmac_f32 v9, v1, v9
	v_mad_u64_u32 v[0:1], null, v2, s45, v[191:192]
	v_dual_mul_f32 v12, v10, v8 :: v_dual_mul_f32 v13, v11, v9
	s_delay_alu instid0(VALU_DEP_1) | instskip(NEXT) | instid1(VALU_DEP_3)
	v_fma_f32 v14, -v6, v12, v10
	v_mad_u64_u32 v[1:2], null, v0, 40, v[179:180]
	s_delay_alu instid0(VALU_DEP_3) | instskip(NEXT) | instid1(VALU_DEP_1)
	v_fma_f32 v15, -v7, v13, v11
	v_dual_fmac_f32 v12, v14, v8 :: v_dual_fmac_f32 v13, v15, v9
	s_delay_alu instid0(VALU_DEP_3) | instskip(NEXT) | instid1(VALU_DEP_2)
	v_ashrrev_i32_e32 v2, 31, v1
	v_fma_f32 v0, -v6, v12, v10
	s_delay_alu instid0(VALU_DEP_3) | instskip(NEXT) | instid1(VALU_DEP_2)
	v_fma_f32 v6, -v7, v13, v11
	v_div_fmas_f32 v7, v0, v8, v12
	s_delay_alu instid0(VALU_DEP_4) | instskip(SKIP_1) | instid1(VALU_DEP_3)
	v_lshlrev_b64 v[0:1], 3, v[1:2]
	s_mov_b32 vcc_lo, s1
	v_div_fmas_f32 v6, v6, v9, v13
	s_delay_alu instid0(VALU_DEP_3) | instskip(NEXT) | instid1(VALU_DEP_3)
	v_div_fixup_f32 v2, v7, v3, v4
	v_add_co_u32 v4, vcc_lo, s57, v0
	s_delay_alu instid0(VALU_DEP_3)
	v_div_fixup_f32 v3, v6, v3, v5
	v_add_co_ci_u32_e32 v5, vcc_lo, s73, v1, vcc_lo
	v_mov_b32_e32 v0, 0
	global_store_b64 v[4:5], v[2:3], off
.LBB9_311:                              ;   in Loop: Header=BB9_15 Depth=1
	s_or_b32 exec_lo, exec_lo, s0
	s_mov_b32 s0, -1
	s_mov_b32 s1, exec_lo
	v_cmpx_gt_i32_e32 50, v0
; %bb.312:                              ;   in Loop: Header=BB9_15 Depth=1
	v_cmp_eq_u32_e32 vcc_lo, 0, v0
	s_or_not1_b32 s0, vcc_lo, exec_lo
; %bb.313:                              ;   in Loop: Header=BB9_15 Depth=1
	s_or_b32 exec_lo, exec_lo, s1
	s_delay_alu instid0(SALU_CYCLE_1)
	s_and_b32 exec_lo, exec_lo, s0
	s_cbranch_execz .LBB9_376
; %bb.314:                              ;   in Loop: Header=BB9_15 Depth=1
	v_mov_b32_e32 v0, 50
	s_and_saveexec_b32 s0, s63
	s_cbranch_execz .LBB9_316
; %bb.315:                              ;   in Loop: Header=BB9_15 Depth=1
	s_clause 0x1
	scratch_load_b32 v1, off, off offset:364
	scratch_load_b32 v2, off, off offset:84
	ds_load_b32 v0, v186
	s_waitcnt vmcnt(1)
	ds_load_b32 v3, v1 offset:2276
	s_waitcnt lgkmcnt(1)
	v_lshrrev_b32_e32 v1, 16, v0
	v_cvt_f32_f16_e32 v0, v0
	s_delay_alu instid0(VALU_DEP_2) | instskip(NEXT) | instid1(VALU_DEP_1)
	v_cvt_f32_f16_e32 v1, v1
	v_dual_add_f32 v4, 0, v0 :: v_dual_add_f32 v5, 0, v1
	s_waitcnt lgkmcnt(0)
	s_delay_alu instid0(VALU_DEP_1) | instskip(NEXT) | instid1(VALU_DEP_2)
	v_div_scale_f32 v6, null, v3, v3, v4
	v_div_scale_f32 v7, null, v3, v3, v5
	v_div_scale_f32 v10, vcc_lo, v4, v3, v4
	s_delay_alu instid0(VALU_DEP_3) | instskip(NEXT) | instid1(VALU_DEP_2)
	v_rcp_f32_e32 v8, v6
	v_rcp_f32_e32 v9, v7
	v_div_scale_f32 v11, s1, v5, v3, v5
	s_waitcnt_depctr 0xfff
	v_fma_f32 v0, -v6, v8, 1.0
	v_fma_f32 v1, -v7, v9, 1.0
	s_delay_alu instid0(VALU_DEP_1) | instskip(SKIP_2) | instid1(VALU_DEP_2)
	v_dual_fmac_f32 v8, v0, v8 :: v_dual_fmac_f32 v9, v1, v9
	s_waitcnt vmcnt(0)
	v_mad_u64_u32 v[0:1], null, v2, s45, v[191:192]
	v_dual_mul_f32 v12, v10, v8 :: v_dual_mul_f32 v13, v11, v9
	s_delay_alu instid0(VALU_DEP_2) | instskip(NEXT) | instid1(VALU_DEP_2)
	v_mad_u64_u32 v[1:2], null, v0, 40, v[179:180]
	v_fma_f32 v14, -v6, v12, v10
	s_delay_alu instid0(VALU_DEP_3) | instskip(NEXT) | instid1(VALU_DEP_1)
	v_fma_f32 v15, -v7, v13, v11
	v_dual_fmac_f32 v12, v14, v8 :: v_dual_fmac_f32 v13, v15, v9
	s_delay_alu instid0(VALU_DEP_4) | instskip(NEXT) | instid1(VALU_DEP_2)
	v_ashrrev_i32_e32 v2, 31, v1
	v_fma_f32 v0, -v6, v12, v10
	s_delay_alu instid0(VALU_DEP_3) | instskip(NEXT) | instid1(VALU_DEP_2)
	v_fma_f32 v6, -v7, v13, v11
	v_div_fmas_f32 v7, v0, v8, v12
	s_delay_alu instid0(VALU_DEP_4) | instskip(SKIP_1) | instid1(VALU_DEP_3)
	v_lshlrev_b64 v[0:1], 3, v[1:2]
	s_mov_b32 vcc_lo, s1
	v_div_fmas_f32 v6, v6, v9, v13
	s_delay_alu instid0(VALU_DEP_3) | instskip(NEXT) | instid1(VALU_DEP_3)
	v_div_fixup_f32 v2, v7, v3, v4
	v_add_co_u32 v4, vcc_lo, s57, v0
	s_delay_alu instid0(VALU_DEP_3)
	v_div_fixup_f32 v3, v6, v3, v5
	v_add_co_ci_u32_e32 v5, vcc_lo, s73, v1, vcc_lo
	v_mov_b32_e32 v0, 0
	global_store_b64 v[4:5], v[2:3], off
.LBB9_316:                              ;   in Loop: Header=BB9_15 Depth=1
	s_or_b32 exec_lo, exec_lo, s0
	s_mov_b32 s0, -1
	s_mov_b32 s1, exec_lo
	v_cmpx_gt_i32_e32 50, v0
; %bb.317:                              ;   in Loop: Header=BB9_15 Depth=1
	v_cmp_eq_u32_e32 vcc_lo, 0, v0
	s_or_not1_b32 s0, vcc_lo, exec_lo
; %bb.318:                              ;   in Loop: Header=BB9_15 Depth=1
	s_or_b32 exec_lo, exec_lo, s1
	s_delay_alu instid0(SALU_CYCLE_1)
	s_and_b32 exec_lo, exec_lo, s0
	s_cbranch_execz .LBB9_376
; %bb.319:                              ;   in Loop: Header=BB9_15 Depth=1
	v_mov_b32_e32 v0, 50
	s_and_saveexec_b32 s0, s62
	s_cbranch_execz .LBB9_321
; %bb.320:                              ;   in Loop: Header=BB9_15 Depth=1
	s_clause 0x2
	scratch_load_b32 v0, off, off offset:548
	scratch_load_b32 v1, off, off offset:556
	scratch_load_b32 v2, off, off offset:232
	s_waitcnt vmcnt(2)
	ds_load_b32 v0, v0
	s_waitcnt vmcnt(1)
	ds_load_b32 v3, v1 offset:164
	s_waitcnt lgkmcnt(1)
	v_lshrrev_b32_e32 v1, 16, v0
	v_cvt_f32_f16_e32 v0, v0
	s_delay_alu instid0(VALU_DEP_2) | instskip(NEXT) | instid1(VALU_DEP_1)
	v_cvt_f32_f16_e32 v1, v1
	v_dual_add_f32 v4, 0, v0 :: v_dual_add_f32 v5, 0, v1
	s_waitcnt lgkmcnt(0)
	s_delay_alu instid0(VALU_DEP_1) | instskip(SKIP_1) | instid1(VALU_DEP_3)
	v_div_scale_f32 v6, null, v3, v3, v4
	v_div_scale_f32 v10, vcc_lo, v4, v3, v4
	v_div_scale_f32 v7, null, v3, v3, v5
	s_delay_alu instid0(VALU_DEP_3) | instskip(SKIP_1) | instid1(VALU_DEP_2)
	v_rcp_f32_e32 v8, v6
	v_div_scale_f32 v11, s1, v5, v3, v5
	v_rcp_f32_e32 v9, v7
	s_waitcnt_depctr 0xfff
	v_fma_f32 v0, -v6, v8, 1.0
	v_fma_f32 v1, -v7, v9, 1.0
	s_delay_alu instid0(VALU_DEP_1) | instskip(SKIP_2) | instid1(VALU_DEP_2)
	v_dual_fmac_f32 v8, v0, v8 :: v_dual_fmac_f32 v9, v1, v9
	s_waitcnt vmcnt(0)
	v_mad_u64_u32 v[0:1], null, v2, s45, v[191:192]
	v_dual_mul_f32 v12, v10, v8 :: v_dual_mul_f32 v13, v11, v9
	s_delay_alu instid0(VALU_DEP_1) | instskip(NEXT) | instid1(VALU_DEP_3)
	v_fma_f32 v14, -v6, v12, v10
	v_mad_u64_u32 v[1:2], null, v0, 40, v[179:180]
	s_delay_alu instid0(VALU_DEP_3) | instskip(NEXT) | instid1(VALU_DEP_1)
	v_fma_f32 v15, -v7, v13, v11
	v_dual_fmac_f32 v12, v14, v8 :: v_dual_fmac_f32 v13, v15, v9
	s_delay_alu instid0(VALU_DEP_3) | instskip(NEXT) | instid1(VALU_DEP_2)
	v_ashrrev_i32_e32 v2, 31, v1
	v_fma_f32 v0, -v6, v12, v10
	s_delay_alu instid0(VALU_DEP_3) | instskip(NEXT) | instid1(VALU_DEP_2)
	v_fma_f32 v6, -v7, v13, v11
	v_div_fmas_f32 v7, v0, v8, v12
	s_delay_alu instid0(VALU_DEP_4) | instskip(SKIP_1) | instid1(VALU_DEP_3)
	v_lshlrev_b64 v[0:1], 3, v[1:2]
	s_mov_b32 vcc_lo, s1
	v_div_fmas_f32 v6, v6, v9, v13
	s_delay_alu instid0(VALU_DEP_3) | instskip(NEXT) | instid1(VALU_DEP_3)
	v_div_fixup_f32 v2, v7, v3, v4
	v_add_co_u32 v4, vcc_lo, s57, v0
	s_delay_alu instid0(VALU_DEP_3)
	v_div_fixup_f32 v3, v6, v3, v5
	v_add_co_ci_u32_e32 v5, vcc_lo, s73, v1, vcc_lo
	v_mov_b32_e32 v0, 0
	global_store_b64 v[4:5], v[2:3], off
.LBB9_321:                              ;   in Loop: Header=BB9_15 Depth=1
	s_or_b32 exec_lo, exec_lo, s0
	s_mov_b32 s0, -1
	s_mov_b32 s1, exec_lo
	v_cmpx_gt_i32_e32 50, v0
; %bb.322:                              ;   in Loop: Header=BB9_15 Depth=1
	v_cmp_eq_u32_e32 vcc_lo, 0, v0
	s_or_not1_b32 s0, vcc_lo, exec_lo
; %bb.323:                              ;   in Loop: Header=BB9_15 Depth=1
	s_or_b32 exec_lo, exec_lo, s1
	s_delay_alu instid0(SALU_CYCLE_1)
	s_and_b32 exec_lo, exec_lo, s0
	s_cbranch_execz .LBB9_376
; %bb.324:                              ;   in Loop: Header=BB9_15 Depth=1
	v_mov_b32_e32 v0, 50
	s_and_saveexec_b32 s0, s99
	s_cbranch_execz .LBB9_326
; %bb.325:                              ;   in Loop: Header=BB9_15 Depth=1
	s_clause 0x1
	scratch_load_b32 v1, off, off offset:364
	scratch_load_b32 v2, off, off offset:240
	ds_load_b32 v0, v186 offset:1408
	s_waitcnt vmcnt(1)
	ds_load_b32 v3, v1 offset:3684
	s_waitcnt lgkmcnt(1)
	v_lshrrev_b32_e32 v1, 16, v0
	v_cvt_f32_f16_e32 v0, v0
	s_delay_alu instid0(VALU_DEP_2) | instskip(NEXT) | instid1(VALU_DEP_1)
	v_cvt_f32_f16_e32 v1, v1
	v_dual_add_f32 v4, 0, v0 :: v_dual_add_f32 v5, 0, v1
	s_waitcnt lgkmcnt(0)
	s_delay_alu instid0(VALU_DEP_1) | instskip(NEXT) | instid1(VALU_DEP_2)
	v_div_scale_f32 v6, null, v3, v3, v4
	v_div_scale_f32 v7, null, v3, v3, v5
	v_div_scale_f32 v10, vcc_lo, v4, v3, v4
	s_delay_alu instid0(VALU_DEP_3) | instskip(NEXT) | instid1(VALU_DEP_2)
	v_rcp_f32_e32 v8, v6
	v_rcp_f32_e32 v9, v7
	v_div_scale_f32 v11, s1, v5, v3, v5
	s_waitcnt_depctr 0xfff
	v_fma_f32 v0, -v6, v8, 1.0
	v_fma_f32 v1, -v7, v9, 1.0
	s_delay_alu instid0(VALU_DEP_1) | instskip(SKIP_2) | instid1(VALU_DEP_2)
	v_dual_fmac_f32 v8, v0, v8 :: v_dual_fmac_f32 v9, v1, v9
	s_waitcnt vmcnt(0)
	v_mad_u64_u32 v[0:1], null, v2, s45, v[191:192]
	v_dual_mul_f32 v12, v10, v8 :: v_dual_mul_f32 v13, v11, v9
	s_delay_alu instid0(VALU_DEP_2) | instskip(NEXT) | instid1(VALU_DEP_2)
	v_mad_u64_u32 v[1:2], null, v0, 40, v[179:180]
	v_fma_f32 v14, -v6, v12, v10
	s_delay_alu instid0(VALU_DEP_3) | instskip(NEXT) | instid1(VALU_DEP_1)
	v_fma_f32 v15, -v7, v13, v11
	v_dual_fmac_f32 v12, v14, v8 :: v_dual_fmac_f32 v13, v15, v9
	s_delay_alu instid0(VALU_DEP_4) | instskip(NEXT) | instid1(VALU_DEP_2)
	v_ashrrev_i32_e32 v2, 31, v1
	v_fma_f32 v0, -v6, v12, v10
	s_delay_alu instid0(VALU_DEP_3) | instskip(NEXT) | instid1(VALU_DEP_2)
	v_fma_f32 v6, -v7, v13, v11
	v_div_fmas_f32 v7, v0, v8, v12
	s_delay_alu instid0(VALU_DEP_4) | instskip(SKIP_1) | instid1(VALU_DEP_3)
	v_lshlrev_b64 v[0:1], 3, v[1:2]
	s_mov_b32 vcc_lo, s1
	v_div_fmas_f32 v6, v6, v9, v13
	s_delay_alu instid0(VALU_DEP_3) | instskip(NEXT) | instid1(VALU_DEP_3)
	v_div_fixup_f32 v2, v7, v3, v4
	v_add_co_u32 v4, vcc_lo, s57, v0
	s_delay_alu instid0(VALU_DEP_3)
	v_div_fixup_f32 v3, v6, v3, v5
	v_add_co_ci_u32_e32 v5, vcc_lo, s73, v1, vcc_lo
	v_mov_b32_e32 v0, 0
	global_store_b64 v[4:5], v[2:3], off
.LBB9_326:                              ;   in Loop: Header=BB9_15 Depth=1
	s_or_b32 exec_lo, exec_lo, s0
	s_mov_b32 s0, -1
	s_mov_b32 s1, exec_lo
	v_cmpx_gt_i32_e32 50, v0
; %bb.327:                              ;   in Loop: Header=BB9_15 Depth=1
	v_cmp_eq_u32_e32 vcc_lo, 0, v0
	s_or_not1_b32 s0, vcc_lo, exec_lo
; %bb.328:                              ;   in Loop: Header=BB9_15 Depth=1
	s_or_b32 exec_lo, exec_lo, s1
	s_delay_alu instid0(SALU_CYCLE_1)
	s_and_b32 exec_lo, exec_lo, s0
	s_cbranch_execz .LBB9_376
; %bb.329:                              ;   in Loop: Header=BB9_15 Depth=1
	v_mov_b32_e32 v0, 50
	s_and_saveexec_b32 s0, s95
	s_cbranch_execz .LBB9_331
; %bb.330:                              ;   in Loop: Header=BB9_15 Depth=1
	s_clause 0x1
	scratch_load_b32 v1, off, off offset:364
	scratch_load_b32 v2, off, off offset:248
	ds_load_b32 v0, v186 offset:2112
	s_waitcnt vmcnt(1)
	ds_load_b32 v3, v1 offset:4388
	s_waitcnt lgkmcnt(1)
	v_lshrrev_b32_e32 v1, 16, v0
	v_cvt_f32_f16_e32 v0, v0
	s_delay_alu instid0(VALU_DEP_2) | instskip(NEXT) | instid1(VALU_DEP_1)
	v_cvt_f32_f16_e32 v1, v1
	v_dual_add_f32 v4, 0, v0 :: v_dual_add_f32 v5, 0, v1
	s_waitcnt lgkmcnt(0)
	s_delay_alu instid0(VALU_DEP_1) | instskip(NEXT) | instid1(VALU_DEP_2)
	v_div_scale_f32 v6, null, v3, v3, v4
	v_div_scale_f32 v7, null, v3, v3, v5
	v_div_scale_f32 v10, vcc_lo, v4, v3, v4
	s_delay_alu instid0(VALU_DEP_3) | instskip(NEXT) | instid1(VALU_DEP_2)
	v_rcp_f32_e32 v8, v6
	v_rcp_f32_e32 v9, v7
	v_div_scale_f32 v11, s1, v5, v3, v5
	s_waitcnt_depctr 0xfff
	v_fma_f32 v0, -v6, v8, 1.0
	v_fma_f32 v1, -v7, v9, 1.0
	s_delay_alu instid0(VALU_DEP_1) | instskip(SKIP_2) | instid1(VALU_DEP_2)
	v_dual_fmac_f32 v8, v0, v8 :: v_dual_fmac_f32 v9, v1, v9
	s_waitcnt vmcnt(0)
	v_mad_u64_u32 v[0:1], null, v2, s45, v[191:192]
	v_dual_mul_f32 v12, v10, v8 :: v_dual_mul_f32 v13, v11, v9
	s_delay_alu instid0(VALU_DEP_2) | instskip(NEXT) | instid1(VALU_DEP_2)
	v_mad_u64_u32 v[1:2], null, v0, 40, v[179:180]
	v_fma_f32 v14, -v6, v12, v10
	s_delay_alu instid0(VALU_DEP_3) | instskip(NEXT) | instid1(VALU_DEP_1)
	v_fma_f32 v15, -v7, v13, v11
	v_dual_fmac_f32 v12, v14, v8 :: v_dual_fmac_f32 v13, v15, v9
	s_delay_alu instid0(VALU_DEP_4) | instskip(NEXT) | instid1(VALU_DEP_2)
	v_ashrrev_i32_e32 v2, 31, v1
	v_fma_f32 v0, -v6, v12, v10
	s_delay_alu instid0(VALU_DEP_3) | instskip(NEXT) | instid1(VALU_DEP_2)
	v_fma_f32 v6, -v7, v13, v11
	v_div_fmas_f32 v7, v0, v8, v12
	s_delay_alu instid0(VALU_DEP_4) | instskip(SKIP_1) | instid1(VALU_DEP_3)
	v_lshlrev_b64 v[0:1], 3, v[1:2]
	s_mov_b32 vcc_lo, s1
	v_div_fmas_f32 v6, v6, v9, v13
	s_delay_alu instid0(VALU_DEP_3) | instskip(NEXT) | instid1(VALU_DEP_3)
	v_div_fixup_f32 v2, v7, v3, v4
	v_add_co_u32 v4, vcc_lo, s57, v0
	s_delay_alu instid0(VALU_DEP_3)
	v_div_fixup_f32 v3, v6, v3, v5
	v_add_co_ci_u32_e32 v5, vcc_lo, s73, v1, vcc_lo
	v_mov_b32_e32 v0, 0
	global_store_b64 v[4:5], v[2:3], off
.LBB9_331:                              ;   in Loop: Header=BB9_15 Depth=1
	s_or_b32 exec_lo, exec_lo, s0
	s_mov_b32 s0, -1
	s_mov_b32 s1, exec_lo
	v_cmpx_gt_i32_e32 50, v0
; %bb.332:                              ;   in Loop: Header=BB9_15 Depth=1
	v_cmp_eq_u32_e32 vcc_lo, 0, v0
	s_or_not1_b32 s0, vcc_lo, exec_lo
; %bb.333:                              ;   in Loop: Header=BB9_15 Depth=1
	s_or_b32 exec_lo, exec_lo, s1
	s_delay_alu instid0(SALU_CYCLE_1)
	s_and_b32 exec_lo, exec_lo, s0
	s_cbranch_execz .LBB9_376
; %bb.334:                              ;   in Loop: Header=BB9_15 Depth=1
	v_mov_b32_e32 v0, 50
	s_and_saveexec_b32 s0, s90
	s_cbranch_execz .LBB9_336
; %bb.335:                              ;   in Loop: Header=BB9_15 Depth=1
	s_clause 0x1
	scratch_load_b32 v1, off, off offset:364
	scratch_load_b32 v2, off, off offset:268
	ds_load_b32 v0, v186 offset:2816
	s_waitcnt vmcnt(1)
	ds_load_b32 v3, v1 offset:5092
	s_waitcnt lgkmcnt(1)
	v_lshrrev_b32_e32 v1, 16, v0
	v_cvt_f32_f16_e32 v0, v0
	s_delay_alu instid0(VALU_DEP_2) | instskip(NEXT) | instid1(VALU_DEP_1)
	v_cvt_f32_f16_e32 v1, v1
	v_dual_add_f32 v4, 0, v0 :: v_dual_add_f32 v5, 0, v1
	s_waitcnt lgkmcnt(0)
	s_delay_alu instid0(VALU_DEP_1) | instskip(NEXT) | instid1(VALU_DEP_2)
	v_div_scale_f32 v6, null, v3, v3, v4
	v_div_scale_f32 v7, null, v3, v3, v5
	v_div_scale_f32 v10, vcc_lo, v4, v3, v4
	s_delay_alu instid0(VALU_DEP_3) | instskip(NEXT) | instid1(VALU_DEP_2)
	v_rcp_f32_e32 v8, v6
	v_rcp_f32_e32 v9, v7
	v_div_scale_f32 v11, s1, v5, v3, v5
	s_waitcnt_depctr 0xfff
	v_fma_f32 v0, -v6, v8, 1.0
	v_fma_f32 v1, -v7, v9, 1.0
	s_delay_alu instid0(VALU_DEP_1) | instskip(SKIP_2) | instid1(VALU_DEP_2)
	v_dual_fmac_f32 v8, v0, v8 :: v_dual_fmac_f32 v9, v1, v9
	s_waitcnt vmcnt(0)
	v_mad_u64_u32 v[0:1], null, v2, s45, v[191:192]
	v_dual_mul_f32 v12, v10, v8 :: v_dual_mul_f32 v13, v11, v9
	s_delay_alu instid0(VALU_DEP_2) | instskip(NEXT) | instid1(VALU_DEP_2)
	v_mad_u64_u32 v[1:2], null, v0, 40, v[179:180]
	v_fma_f32 v14, -v6, v12, v10
	s_delay_alu instid0(VALU_DEP_3) | instskip(NEXT) | instid1(VALU_DEP_1)
	v_fma_f32 v15, -v7, v13, v11
	v_dual_fmac_f32 v12, v14, v8 :: v_dual_fmac_f32 v13, v15, v9
	s_delay_alu instid0(VALU_DEP_4) | instskip(NEXT) | instid1(VALU_DEP_2)
	v_ashrrev_i32_e32 v2, 31, v1
	v_fma_f32 v0, -v6, v12, v10
	s_delay_alu instid0(VALU_DEP_3) | instskip(NEXT) | instid1(VALU_DEP_2)
	v_fma_f32 v6, -v7, v13, v11
	v_div_fmas_f32 v7, v0, v8, v12
	s_delay_alu instid0(VALU_DEP_4) | instskip(SKIP_1) | instid1(VALU_DEP_3)
	v_lshlrev_b64 v[0:1], 3, v[1:2]
	s_mov_b32 vcc_lo, s1
	v_div_fmas_f32 v6, v6, v9, v13
	s_delay_alu instid0(VALU_DEP_3) | instskip(NEXT) | instid1(VALU_DEP_3)
	v_div_fixup_f32 v2, v7, v3, v4
	v_add_co_u32 v4, vcc_lo, s57, v0
	s_delay_alu instid0(VALU_DEP_3)
	v_div_fixup_f32 v3, v6, v3, v5
	v_add_co_ci_u32_e32 v5, vcc_lo, s73, v1, vcc_lo
	v_mov_b32_e32 v0, 0
	global_store_b64 v[4:5], v[2:3], off
.LBB9_336:                              ;   in Loop: Header=BB9_15 Depth=1
	s_or_b32 exec_lo, exec_lo, s0
	s_mov_b32 s0, -1
	s_mov_b32 s1, exec_lo
	v_cmpx_gt_i32_e32 50, v0
; %bb.337:                              ;   in Loop: Header=BB9_15 Depth=1
	v_cmp_eq_u32_e32 vcc_lo, 0, v0
	s_or_not1_b32 s0, vcc_lo, exec_lo
; %bb.338:                              ;   in Loop: Header=BB9_15 Depth=1
	s_or_b32 exec_lo, exec_lo, s1
	s_delay_alu instid0(SALU_CYCLE_1)
	s_and_b32 exec_lo, exec_lo, s0
	s_cbranch_execz .LBB9_376
; %bb.339:                              ;   in Loop: Header=BB9_15 Depth=1
	v_mov_b32_e32 v0, 50
	s_and_saveexec_b32 s0, s67
	s_cbranch_execz .LBB9_341
; %bb.340:                              ;   in Loop: Header=BB9_15 Depth=1
	s_clause 0x2
	scratch_load_b32 v0, off, off offset:560
	scratch_load_b32 v1, off, off offset:564
	scratch_load_b32 v2, off, off offset:280
	s_waitcnt vmcnt(2)
	ds_load_b32 v0, v0
	s_waitcnt vmcnt(1)
	ds_load_b32 v3, v1 offset:164
	s_waitcnt lgkmcnt(1)
	v_lshrrev_b32_e32 v1, 16, v0
	v_cvt_f32_f16_e32 v0, v0
	s_delay_alu instid0(VALU_DEP_2) | instskip(NEXT) | instid1(VALU_DEP_1)
	v_cvt_f32_f16_e32 v1, v1
	v_dual_add_f32 v4, 0, v0 :: v_dual_add_f32 v5, 0, v1
	s_waitcnt lgkmcnt(0)
	s_delay_alu instid0(VALU_DEP_1) | instskip(SKIP_1) | instid1(VALU_DEP_3)
	v_div_scale_f32 v6, null, v3, v3, v4
	v_div_scale_f32 v10, vcc_lo, v4, v3, v4
	v_div_scale_f32 v7, null, v3, v3, v5
	s_delay_alu instid0(VALU_DEP_3) | instskip(SKIP_1) | instid1(VALU_DEP_2)
	v_rcp_f32_e32 v8, v6
	v_div_scale_f32 v11, s1, v5, v3, v5
	v_rcp_f32_e32 v9, v7
	s_waitcnt_depctr 0xfff
	v_fma_f32 v0, -v6, v8, 1.0
	v_fma_f32 v1, -v7, v9, 1.0
	s_delay_alu instid0(VALU_DEP_1) | instskip(SKIP_2) | instid1(VALU_DEP_2)
	v_dual_fmac_f32 v8, v0, v8 :: v_dual_fmac_f32 v9, v1, v9
	s_waitcnt vmcnt(0)
	v_mad_u64_u32 v[0:1], null, v2, s45, v[191:192]
	v_dual_mul_f32 v12, v10, v8 :: v_dual_mul_f32 v13, v11, v9
	s_delay_alu instid0(VALU_DEP_1) | instskip(NEXT) | instid1(VALU_DEP_3)
	v_fma_f32 v14, -v6, v12, v10
	v_mad_u64_u32 v[1:2], null, v0, 40, v[179:180]
	s_delay_alu instid0(VALU_DEP_3) | instskip(NEXT) | instid1(VALU_DEP_1)
	v_fma_f32 v15, -v7, v13, v11
	v_dual_fmac_f32 v12, v14, v8 :: v_dual_fmac_f32 v13, v15, v9
	s_delay_alu instid0(VALU_DEP_3) | instskip(NEXT) | instid1(VALU_DEP_2)
	v_ashrrev_i32_e32 v2, 31, v1
	v_fma_f32 v0, -v6, v12, v10
	s_delay_alu instid0(VALU_DEP_3) | instskip(NEXT) | instid1(VALU_DEP_2)
	v_fma_f32 v6, -v7, v13, v11
	v_div_fmas_f32 v7, v0, v8, v12
	s_delay_alu instid0(VALU_DEP_4) | instskip(SKIP_1) | instid1(VALU_DEP_3)
	v_lshlrev_b64 v[0:1], 3, v[1:2]
	s_mov_b32 vcc_lo, s1
	v_div_fmas_f32 v6, v6, v9, v13
	s_delay_alu instid0(VALU_DEP_3) | instskip(NEXT) | instid1(VALU_DEP_3)
	v_div_fixup_f32 v2, v7, v3, v4
	v_add_co_u32 v4, vcc_lo, s57, v0
	s_delay_alu instid0(VALU_DEP_3)
	v_div_fixup_f32 v3, v6, v3, v5
	v_add_co_ci_u32_e32 v5, vcc_lo, s73, v1, vcc_lo
	v_mov_b32_e32 v0, 0
	global_store_b64 v[4:5], v[2:3], off
.LBB9_341:                              ;   in Loop: Header=BB9_15 Depth=1
	s_or_b32 exec_lo, exec_lo, s0
	s_mov_b32 s0, -1
	s_mov_b32 s1, exec_lo
	v_cmpx_gt_i32_e32 50, v0
; %bb.342:                              ;   in Loop: Header=BB9_15 Depth=1
	v_cmp_eq_u32_e32 vcc_lo, 0, v0
	s_or_not1_b32 s0, vcc_lo, exec_lo
; %bb.343:                              ;   in Loop: Header=BB9_15 Depth=1
	s_or_b32 exec_lo, exec_lo, s1
	s_delay_alu instid0(SALU_CYCLE_1)
	s_and_b32 exec_lo, exec_lo, s0
	s_cbranch_execz .LBB9_376
; %bb.344:                              ;   in Loop: Header=BB9_15 Depth=1
	v_mov_b32_e32 v0, 50
	s_and_saveexec_b32 s0, s82
	s_cbranch_execz .LBB9_346
; %bb.345:                              ;   in Loop: Header=BB9_15 Depth=1
	s_clause 0x1
	scratch_load_b32 v1, off, off offset:364
	scratch_load_b32 v2, off, off offset:284
	ds_load_b32 v0, v186 offset:4224
	s_waitcnt vmcnt(1)
	ds_load_b32 v3, v1 offset:6500
	s_waitcnt lgkmcnt(1)
	v_lshrrev_b32_e32 v1, 16, v0
	v_cvt_f32_f16_e32 v0, v0
	s_delay_alu instid0(VALU_DEP_2) | instskip(NEXT) | instid1(VALU_DEP_1)
	v_cvt_f32_f16_e32 v1, v1
	v_dual_add_f32 v4, 0, v0 :: v_dual_add_f32 v5, 0, v1
	s_waitcnt lgkmcnt(0)
	s_delay_alu instid0(VALU_DEP_1) | instskip(NEXT) | instid1(VALU_DEP_2)
	v_div_scale_f32 v6, null, v3, v3, v4
	v_div_scale_f32 v7, null, v3, v3, v5
	v_div_scale_f32 v10, vcc_lo, v4, v3, v4
	s_delay_alu instid0(VALU_DEP_3) | instskip(NEXT) | instid1(VALU_DEP_2)
	v_rcp_f32_e32 v8, v6
	v_rcp_f32_e32 v9, v7
	v_div_scale_f32 v11, s1, v5, v3, v5
	s_waitcnt_depctr 0xfff
	v_fma_f32 v0, -v6, v8, 1.0
	v_fma_f32 v1, -v7, v9, 1.0
	s_delay_alu instid0(VALU_DEP_1) | instskip(SKIP_2) | instid1(VALU_DEP_2)
	v_dual_fmac_f32 v8, v0, v8 :: v_dual_fmac_f32 v9, v1, v9
	s_waitcnt vmcnt(0)
	v_mad_u64_u32 v[0:1], null, v2, s45, v[191:192]
	v_dual_mul_f32 v12, v10, v8 :: v_dual_mul_f32 v13, v11, v9
	s_delay_alu instid0(VALU_DEP_2) | instskip(NEXT) | instid1(VALU_DEP_2)
	v_mad_u64_u32 v[1:2], null, v0, 40, v[179:180]
	v_fma_f32 v14, -v6, v12, v10
	s_delay_alu instid0(VALU_DEP_3) | instskip(NEXT) | instid1(VALU_DEP_1)
	v_fma_f32 v15, -v7, v13, v11
	v_dual_fmac_f32 v12, v14, v8 :: v_dual_fmac_f32 v13, v15, v9
	s_delay_alu instid0(VALU_DEP_4) | instskip(NEXT) | instid1(VALU_DEP_2)
	v_ashrrev_i32_e32 v2, 31, v1
	v_fma_f32 v0, -v6, v12, v10
	s_delay_alu instid0(VALU_DEP_3) | instskip(NEXT) | instid1(VALU_DEP_2)
	v_fma_f32 v6, -v7, v13, v11
	v_div_fmas_f32 v7, v0, v8, v12
	s_delay_alu instid0(VALU_DEP_4) | instskip(SKIP_1) | instid1(VALU_DEP_3)
	v_lshlrev_b64 v[0:1], 3, v[1:2]
	s_mov_b32 vcc_lo, s1
	v_div_fmas_f32 v6, v6, v9, v13
	s_delay_alu instid0(VALU_DEP_3) | instskip(NEXT) | instid1(VALU_DEP_3)
	v_div_fixup_f32 v2, v7, v3, v4
	v_add_co_u32 v4, vcc_lo, s57, v0
	s_delay_alu instid0(VALU_DEP_3)
	v_div_fixup_f32 v3, v6, v3, v5
	v_add_co_ci_u32_e32 v5, vcc_lo, s73, v1, vcc_lo
	v_mov_b32_e32 v0, 0
	global_store_b64 v[4:5], v[2:3], off
.LBB9_346:                              ;   in Loop: Header=BB9_15 Depth=1
	s_or_b32 exec_lo, exec_lo, s0
	s_mov_b32 s0, -1
	s_mov_b32 s1, exec_lo
	v_cmpx_gt_i32_e32 50, v0
; %bb.347:                              ;   in Loop: Header=BB9_15 Depth=1
	v_cmp_eq_u32_e32 vcc_lo, 0, v0
	s_or_not1_b32 s0, vcc_lo, exec_lo
; %bb.348:                              ;   in Loop: Header=BB9_15 Depth=1
	s_or_b32 exec_lo, exec_lo, s1
	s_delay_alu instid0(SALU_CYCLE_1)
	s_and_b32 exec_lo, exec_lo, s0
	s_cbranch_execz .LBB9_376
; %bb.349:                              ;   in Loop: Header=BB9_15 Depth=1
	v_mov_b32_e32 v0, 50
	s_and_saveexec_b32 s0, s85
	s_cbranch_execz .LBB9_351
; %bb.350:                              ;   in Loop: Header=BB9_15 Depth=1
	s_clause 0x1
	scratch_load_b32 v1, off, off offset:364
	scratch_load_b32 v2, off, off offset:288
	ds_load_b32 v0, v186 offset:4928
	s_waitcnt vmcnt(1)
	ds_load_b32 v3, v1 offset:7204
	s_waitcnt lgkmcnt(1)
	v_lshrrev_b32_e32 v1, 16, v0
	v_cvt_f32_f16_e32 v0, v0
	s_delay_alu instid0(VALU_DEP_2) | instskip(NEXT) | instid1(VALU_DEP_1)
	v_cvt_f32_f16_e32 v1, v1
	v_dual_add_f32 v4, 0, v0 :: v_dual_add_f32 v5, 0, v1
	s_waitcnt lgkmcnt(0)
	s_delay_alu instid0(VALU_DEP_1) | instskip(NEXT) | instid1(VALU_DEP_2)
	v_div_scale_f32 v6, null, v3, v3, v4
	v_div_scale_f32 v7, null, v3, v3, v5
	v_div_scale_f32 v10, vcc_lo, v4, v3, v4
	s_delay_alu instid0(VALU_DEP_3) | instskip(NEXT) | instid1(VALU_DEP_2)
	v_rcp_f32_e32 v8, v6
	v_rcp_f32_e32 v9, v7
	v_div_scale_f32 v11, s1, v5, v3, v5
	s_waitcnt_depctr 0xfff
	v_fma_f32 v0, -v6, v8, 1.0
	v_fma_f32 v1, -v7, v9, 1.0
	s_delay_alu instid0(VALU_DEP_1) | instskip(SKIP_2) | instid1(VALU_DEP_2)
	v_dual_fmac_f32 v8, v0, v8 :: v_dual_fmac_f32 v9, v1, v9
	s_waitcnt vmcnt(0)
	v_mad_u64_u32 v[0:1], null, v2, s45, v[191:192]
	v_dual_mul_f32 v12, v10, v8 :: v_dual_mul_f32 v13, v11, v9
	s_delay_alu instid0(VALU_DEP_2) | instskip(NEXT) | instid1(VALU_DEP_2)
	v_mad_u64_u32 v[1:2], null, v0, 40, v[179:180]
	v_fma_f32 v14, -v6, v12, v10
	s_delay_alu instid0(VALU_DEP_3) | instskip(NEXT) | instid1(VALU_DEP_1)
	v_fma_f32 v15, -v7, v13, v11
	v_dual_fmac_f32 v12, v14, v8 :: v_dual_fmac_f32 v13, v15, v9
	s_delay_alu instid0(VALU_DEP_4) | instskip(NEXT) | instid1(VALU_DEP_2)
	v_ashrrev_i32_e32 v2, 31, v1
	v_fma_f32 v0, -v6, v12, v10
	s_delay_alu instid0(VALU_DEP_3) | instskip(NEXT) | instid1(VALU_DEP_2)
	v_fma_f32 v6, -v7, v13, v11
	v_div_fmas_f32 v7, v0, v8, v12
	s_delay_alu instid0(VALU_DEP_4) | instskip(SKIP_1) | instid1(VALU_DEP_3)
	v_lshlrev_b64 v[0:1], 3, v[1:2]
	s_mov_b32 vcc_lo, s1
	v_div_fmas_f32 v6, v6, v9, v13
	s_delay_alu instid0(VALU_DEP_3) | instskip(NEXT) | instid1(VALU_DEP_3)
	v_div_fixup_f32 v2, v7, v3, v4
	v_add_co_u32 v4, vcc_lo, s57, v0
	s_delay_alu instid0(VALU_DEP_3)
	v_div_fixup_f32 v3, v6, v3, v5
	v_add_co_ci_u32_e32 v5, vcc_lo, s73, v1, vcc_lo
	v_mov_b32_e32 v0, 0
	global_store_b64 v[4:5], v[2:3], off
.LBB9_351:                              ;   in Loop: Header=BB9_15 Depth=1
	s_or_b32 exec_lo, exec_lo, s0
	s_mov_b32 s0, -1
	s_mov_b32 s1, exec_lo
	v_cmpx_gt_i32_e32 50, v0
; %bb.352:                              ;   in Loop: Header=BB9_15 Depth=1
	v_cmp_eq_u32_e32 vcc_lo, 0, v0
	s_or_not1_b32 s0, vcc_lo, exec_lo
; %bb.353:                              ;   in Loop: Header=BB9_15 Depth=1
	s_or_b32 exec_lo, exec_lo, s1
	s_delay_alu instid0(SALU_CYCLE_1)
	s_and_b32 exec_lo, exec_lo, s0
	s_cbranch_execz .LBB9_376
; %bb.354:                              ;   in Loop: Header=BB9_15 Depth=1
	v_mov_b32_e32 v0, 50
	s_and_saveexec_b32 s0, s84
	s_cbranch_execz .LBB9_356
; %bb.355:                              ;   in Loop: Header=BB9_15 Depth=1
	scratch_load_b32 v1, off, off offset:364 ; 4-byte Folded Reload
	ds_load_b32 v0, v186 offset:5632
	s_waitcnt vmcnt(0)
	ds_load_b32 v3, v1 offset:7908
	s_waitcnt lgkmcnt(1)
	v_lshrrev_b32_e32 v1, 16, v0
	v_cvt_f32_f16_e32 v0, v0
	s_delay_alu instid0(VALU_DEP_2) | instskip(NEXT) | instid1(VALU_DEP_1)
	v_cvt_f32_f16_e32 v1, v1
	v_dual_add_f32 v4, 0, v0 :: v_dual_add_f32 v5, 0, v1
	s_waitcnt lgkmcnt(0)
	s_delay_alu instid0(VALU_DEP_1) | instskip(NEXT) | instid1(VALU_DEP_2)
	v_div_scale_f32 v6, null, v3, v3, v4
	v_div_scale_f32 v7, null, v3, v3, v5
	v_div_scale_f32 v10, vcc_lo, v4, v3, v4
	s_delay_alu instid0(VALU_DEP_3) | instskip(NEXT) | instid1(VALU_DEP_2)
	v_rcp_f32_e32 v8, v6
	v_rcp_f32_e32 v9, v7
	v_div_scale_f32 v11, s1, v5, v3, v5
	s_waitcnt_depctr 0xfff
	v_fma_f32 v0, -v6, v8, 1.0
	v_fma_f32 v1, -v7, v9, 1.0
	s_delay_alu instid0(VALU_DEP_1) | instskip(SKIP_1) | instid1(VALU_DEP_2)
	v_dual_fmac_f32 v8, v0, v8 :: v_dual_fmac_f32 v9, v1, v9
	v_mad_u64_u32 v[0:1], null, v176, s45, v[191:192]
	v_dual_mul_f32 v12, v10, v8 :: v_dual_mul_f32 v13, v11, v9
	s_delay_alu instid0(VALU_DEP_2) | instskip(NEXT) | instid1(VALU_DEP_2)
	v_mad_u64_u32 v[1:2], null, v0, 40, v[179:180]
	v_fma_f32 v14, -v6, v12, v10
	s_delay_alu instid0(VALU_DEP_3) | instskip(NEXT) | instid1(VALU_DEP_1)
	v_fma_f32 v15, -v7, v13, v11
	v_dual_fmac_f32 v12, v14, v8 :: v_dual_fmac_f32 v13, v15, v9
	s_delay_alu instid0(VALU_DEP_4) | instskip(NEXT) | instid1(VALU_DEP_2)
	v_ashrrev_i32_e32 v2, 31, v1
	v_fma_f32 v0, -v6, v12, v10
	s_delay_alu instid0(VALU_DEP_3) | instskip(NEXT) | instid1(VALU_DEP_2)
	v_fma_f32 v6, -v7, v13, v11
	v_div_fmas_f32 v7, v0, v8, v12
	s_delay_alu instid0(VALU_DEP_4) | instskip(SKIP_1) | instid1(VALU_DEP_3)
	v_lshlrev_b64 v[0:1], 3, v[1:2]
	s_mov_b32 vcc_lo, s1
	v_div_fmas_f32 v6, v6, v9, v13
	s_delay_alu instid0(VALU_DEP_3) | instskip(NEXT) | instid1(VALU_DEP_3)
	v_div_fixup_f32 v2, v7, v3, v4
	v_add_co_u32 v4, vcc_lo, s57, v0
	s_delay_alu instid0(VALU_DEP_3)
	v_div_fixup_f32 v3, v6, v3, v5
	v_add_co_ci_u32_e32 v5, vcc_lo, s73, v1, vcc_lo
	v_mov_b32_e32 v0, 0
	global_store_b64 v[4:5], v[2:3], off
.LBB9_356:                              ;   in Loop: Header=BB9_15 Depth=1
	s_or_b32 exec_lo, exec_lo, s0
	s_mov_b32 s0, -1
	s_mov_b32 s1, exec_lo
	v_cmpx_gt_i32_e32 50, v0
; %bb.357:                              ;   in Loop: Header=BB9_15 Depth=1
	v_cmp_eq_u32_e32 vcc_lo, 0, v0
	s_or_not1_b32 s0, vcc_lo, exec_lo
; %bb.358:                              ;   in Loop: Header=BB9_15 Depth=1
	s_or_b32 exec_lo, exec_lo, s1
	s_delay_alu instid0(SALU_CYCLE_1)
	s_and_b32 exec_lo, exec_lo, s0
	s_cbranch_execz .LBB9_376
; %bb.359:                              ;   in Loop: Header=BB9_15 Depth=1
	v_mov_b32_e32 v0, 50
	s_and_saveexec_b32 s0, s83
	s_cbranch_execz .LBB9_361
; %bb.360:                              ;   in Loop: Header=BB9_15 Depth=1
	s_clause 0x2
	scratch_load_b32 v0, off, off offset:568
	scratch_load_b32 v1, off, off offset:572
	;; [unrolled: 1-line block ×3, first 2 shown]
	s_waitcnt vmcnt(2)
	ds_load_b32 v0, v0
	s_waitcnt vmcnt(1)
	ds_load_b32 v3, v1 offset:164
	s_waitcnt lgkmcnt(1)
	v_lshrrev_b32_e32 v1, 16, v0
	v_cvt_f32_f16_e32 v0, v0
	s_delay_alu instid0(VALU_DEP_2) | instskip(NEXT) | instid1(VALU_DEP_1)
	v_cvt_f32_f16_e32 v1, v1
	v_dual_add_f32 v4, 0, v0 :: v_dual_add_f32 v5, 0, v1
	s_waitcnt lgkmcnt(0)
	s_delay_alu instid0(VALU_DEP_1) | instskip(SKIP_1) | instid1(VALU_DEP_3)
	v_div_scale_f32 v6, null, v3, v3, v4
	v_div_scale_f32 v10, vcc_lo, v4, v3, v4
	v_div_scale_f32 v7, null, v3, v3, v5
	s_delay_alu instid0(VALU_DEP_3) | instskip(SKIP_1) | instid1(VALU_DEP_2)
	v_rcp_f32_e32 v8, v6
	v_div_scale_f32 v11, s1, v5, v3, v5
	v_rcp_f32_e32 v9, v7
	s_waitcnt_depctr 0xfff
	v_fma_f32 v0, -v6, v8, 1.0
	v_fma_f32 v1, -v7, v9, 1.0
	s_delay_alu instid0(VALU_DEP_1) | instskip(SKIP_2) | instid1(VALU_DEP_2)
	v_dual_fmac_f32 v8, v0, v8 :: v_dual_fmac_f32 v9, v1, v9
	s_waitcnt vmcnt(0)
	v_mad_u64_u32 v[0:1], null, v2, s45, v[191:192]
	v_dual_mul_f32 v12, v10, v8 :: v_dual_mul_f32 v13, v11, v9
	s_delay_alu instid0(VALU_DEP_1) | instskip(NEXT) | instid1(VALU_DEP_3)
	v_fma_f32 v14, -v6, v12, v10
	v_mad_u64_u32 v[1:2], null, v0, 40, v[179:180]
	s_delay_alu instid0(VALU_DEP_3) | instskip(NEXT) | instid1(VALU_DEP_1)
	v_fma_f32 v15, -v7, v13, v11
	v_dual_fmac_f32 v12, v14, v8 :: v_dual_fmac_f32 v13, v15, v9
	s_delay_alu instid0(VALU_DEP_3) | instskip(NEXT) | instid1(VALU_DEP_2)
	v_ashrrev_i32_e32 v2, 31, v1
	v_fma_f32 v0, -v6, v12, v10
	s_delay_alu instid0(VALU_DEP_3) | instskip(NEXT) | instid1(VALU_DEP_2)
	v_fma_f32 v6, -v7, v13, v11
	v_div_fmas_f32 v7, v0, v8, v12
	s_delay_alu instid0(VALU_DEP_4) | instskip(SKIP_1) | instid1(VALU_DEP_3)
	v_lshlrev_b64 v[0:1], 3, v[1:2]
	s_mov_b32 vcc_lo, s1
	v_div_fmas_f32 v6, v6, v9, v13
	s_delay_alu instid0(VALU_DEP_3) | instskip(NEXT) | instid1(VALU_DEP_3)
	v_div_fixup_f32 v2, v7, v3, v4
	v_add_co_u32 v4, vcc_lo, s57, v0
	s_delay_alu instid0(VALU_DEP_3)
	v_div_fixup_f32 v3, v6, v3, v5
	v_add_co_ci_u32_e32 v5, vcc_lo, s73, v1, vcc_lo
	v_mov_b32_e32 v0, 0
	global_store_b64 v[4:5], v[2:3], off
.LBB9_361:                              ;   in Loop: Header=BB9_15 Depth=1
	s_or_b32 exec_lo, exec_lo, s0
	s_mov_b32 s0, -1
	s_mov_b32 s1, exec_lo
	v_cmpx_gt_i32_e32 50, v0
; %bb.362:                              ;   in Loop: Header=BB9_15 Depth=1
	v_cmp_eq_u32_e32 vcc_lo, 0, v0
	s_or_not1_b32 s0, vcc_lo, exec_lo
; %bb.363:                              ;   in Loop: Header=BB9_15 Depth=1
	s_or_b32 exec_lo, exec_lo, s1
	s_delay_alu instid0(SALU_CYCLE_1)
	s_and_b32 exec_lo, exec_lo, s0
	s_cbranch_execz .LBB9_376
; %bb.364:                              ;   in Loop: Header=BB9_15 Depth=1
	v_mov_b32_e32 v0, 50
	s_and_saveexec_b32 s0, s13
	s_cbranch_execz .LBB9_366
; %bb.365:                              ;   in Loop: Header=BB9_15 Depth=1
	scratch_load_b32 v1, off, off offset:364 ; 4-byte Folded Reload
	ds_load_b32 v0, v186 offset:7040
	s_waitcnt vmcnt(0)
	ds_load_b32 v3, v1 offset:9316
	s_waitcnt lgkmcnt(1)
	v_lshrrev_b32_e32 v1, 16, v0
	v_cvt_f32_f16_e32 v0, v0
	s_delay_alu instid0(VALU_DEP_2) | instskip(NEXT) | instid1(VALU_DEP_1)
	v_cvt_f32_f16_e32 v1, v1
	v_dual_add_f32 v4, 0, v0 :: v_dual_add_f32 v5, 0, v1
	s_waitcnt lgkmcnt(0)
	s_delay_alu instid0(VALU_DEP_1) | instskip(NEXT) | instid1(VALU_DEP_2)
	v_div_scale_f32 v6, null, v3, v3, v4
	v_div_scale_f32 v7, null, v3, v3, v5
	v_div_scale_f32 v10, vcc_lo, v4, v3, v4
	s_delay_alu instid0(VALU_DEP_3) | instskip(NEXT) | instid1(VALU_DEP_2)
	v_rcp_f32_e32 v8, v6
	v_rcp_f32_e32 v9, v7
	v_div_scale_f32 v11, s1, v5, v3, v5
	s_waitcnt_depctr 0xfff
	v_fma_f32 v0, -v6, v8, 1.0
	v_fma_f32 v1, -v7, v9, 1.0
	s_delay_alu instid0(VALU_DEP_1) | instskip(SKIP_1) | instid1(VALU_DEP_2)
	v_dual_fmac_f32 v8, v0, v8 :: v_dual_fmac_f32 v9, v1, v9
	v_mad_u64_u32 v[0:1], null, v180, s45, v[191:192]
	v_dual_mul_f32 v12, v10, v8 :: v_dual_mul_f32 v13, v11, v9
	s_delay_alu instid0(VALU_DEP_2) | instskip(NEXT) | instid1(VALU_DEP_2)
	v_mad_u64_u32 v[1:2], null, v0, 40, v[179:180]
	v_fma_f32 v14, -v6, v12, v10
	s_delay_alu instid0(VALU_DEP_3) | instskip(NEXT) | instid1(VALU_DEP_1)
	v_fma_f32 v15, -v7, v13, v11
	v_dual_fmac_f32 v12, v14, v8 :: v_dual_fmac_f32 v13, v15, v9
	s_delay_alu instid0(VALU_DEP_4) | instskip(NEXT) | instid1(VALU_DEP_2)
	v_ashrrev_i32_e32 v2, 31, v1
	v_fma_f32 v0, -v6, v12, v10
	s_delay_alu instid0(VALU_DEP_3) | instskip(NEXT) | instid1(VALU_DEP_2)
	v_fma_f32 v6, -v7, v13, v11
	v_div_fmas_f32 v7, v0, v8, v12
	s_delay_alu instid0(VALU_DEP_4) | instskip(SKIP_1) | instid1(VALU_DEP_3)
	v_lshlrev_b64 v[0:1], 3, v[1:2]
	s_mov_b32 vcc_lo, s1
	v_div_fmas_f32 v6, v6, v9, v13
	s_delay_alu instid0(VALU_DEP_3) | instskip(NEXT) | instid1(VALU_DEP_3)
	v_div_fixup_f32 v2, v7, v3, v4
	v_add_co_u32 v4, vcc_lo, s57, v0
	s_delay_alu instid0(VALU_DEP_3)
	v_div_fixup_f32 v3, v6, v3, v5
	v_add_co_ci_u32_e32 v5, vcc_lo, s73, v1, vcc_lo
	v_mov_b32_e32 v0, 0
	global_store_b64 v[4:5], v[2:3], off
.LBB9_366:                              ;   in Loop: Header=BB9_15 Depth=1
	s_or_b32 exec_lo, exec_lo, s0
	s_mov_b32 s0, -1
	s_mov_b32 s1, exec_lo
	v_cmpx_gt_i32_e32 50, v0
; %bb.367:                              ;   in Loop: Header=BB9_15 Depth=1
	v_cmp_eq_u32_e32 vcc_lo, 0, v0
	s_or_not1_b32 s0, vcc_lo, exec_lo
; %bb.368:                              ;   in Loop: Header=BB9_15 Depth=1
	s_or_b32 exec_lo, exec_lo, s1
	s_delay_alu instid0(SALU_CYCLE_1)
	s_and_b32 exec_lo, exec_lo, s0
	s_cbranch_execz .LBB9_376
; %bb.369:                              ;   in Loop: Header=BB9_15 Depth=1
	v_mov_b32_e32 v0, 50
	s_and_saveexec_b32 s0, s50
	s_cbranch_execz .LBB9_371
; %bb.370:                              ;   in Loop: Header=BB9_15 Depth=1
	s_clause 0x1
	scratch_load_b32 v1, off, off offset:364
	scratch_load_b32 v2, off, off offset:296
	ds_load_b32 v0, v186 offset:7744
	s_waitcnt vmcnt(1)
	ds_load_b32 v3, v1 offset:10020
	s_waitcnt lgkmcnt(1)
	v_lshrrev_b32_e32 v1, 16, v0
	v_cvt_f32_f16_e32 v0, v0
	s_delay_alu instid0(VALU_DEP_2) | instskip(NEXT) | instid1(VALU_DEP_1)
	v_cvt_f32_f16_e32 v1, v1
	v_dual_add_f32 v4, 0, v0 :: v_dual_add_f32 v5, 0, v1
	s_waitcnt lgkmcnt(0)
	s_delay_alu instid0(VALU_DEP_1) | instskip(NEXT) | instid1(VALU_DEP_2)
	v_div_scale_f32 v6, null, v3, v3, v4
	v_div_scale_f32 v7, null, v3, v3, v5
	v_div_scale_f32 v10, vcc_lo, v4, v3, v4
	s_delay_alu instid0(VALU_DEP_3) | instskip(NEXT) | instid1(VALU_DEP_2)
	v_rcp_f32_e32 v8, v6
	v_rcp_f32_e32 v9, v7
	v_div_scale_f32 v11, s1, v5, v3, v5
	s_waitcnt_depctr 0xfff
	v_fma_f32 v0, -v6, v8, 1.0
	v_fma_f32 v1, -v7, v9, 1.0
	s_delay_alu instid0(VALU_DEP_1) | instskip(SKIP_2) | instid1(VALU_DEP_2)
	v_dual_fmac_f32 v8, v0, v8 :: v_dual_fmac_f32 v9, v1, v9
	s_waitcnt vmcnt(0)
	v_mad_u64_u32 v[0:1], null, v2, s45, v[191:192]
	v_dual_mul_f32 v12, v10, v8 :: v_dual_mul_f32 v13, v11, v9
	s_delay_alu instid0(VALU_DEP_2) | instskip(NEXT) | instid1(VALU_DEP_2)
	v_mad_u64_u32 v[1:2], null, v0, 40, v[179:180]
	v_fma_f32 v14, -v6, v12, v10
	s_delay_alu instid0(VALU_DEP_3) | instskip(NEXT) | instid1(VALU_DEP_1)
	v_fma_f32 v15, -v7, v13, v11
	v_dual_fmac_f32 v12, v14, v8 :: v_dual_fmac_f32 v13, v15, v9
	s_delay_alu instid0(VALU_DEP_4) | instskip(NEXT) | instid1(VALU_DEP_2)
	v_ashrrev_i32_e32 v2, 31, v1
	v_fma_f32 v0, -v6, v12, v10
	s_delay_alu instid0(VALU_DEP_3) | instskip(NEXT) | instid1(VALU_DEP_2)
	v_fma_f32 v6, -v7, v13, v11
	v_div_fmas_f32 v7, v0, v8, v12
	s_delay_alu instid0(VALU_DEP_4) | instskip(SKIP_1) | instid1(VALU_DEP_3)
	v_lshlrev_b64 v[0:1], 3, v[1:2]
	s_mov_b32 vcc_lo, s1
	v_div_fmas_f32 v6, v6, v9, v13
	s_delay_alu instid0(VALU_DEP_3) | instskip(NEXT) | instid1(VALU_DEP_3)
	v_div_fixup_f32 v2, v7, v3, v4
	v_add_co_u32 v4, vcc_lo, s57, v0
	s_delay_alu instid0(VALU_DEP_3)
	v_div_fixup_f32 v3, v6, v3, v5
	v_add_co_ci_u32_e32 v5, vcc_lo, s73, v1, vcc_lo
	v_mov_b32_e32 v0, 0
	global_store_b64 v[4:5], v[2:3], off
.LBB9_371:                              ;   in Loop: Header=BB9_15 Depth=1
	s_or_b32 exec_lo, exec_lo, s0
	s_mov_b32 s0, -1
	s_mov_b32 s1, exec_lo
	v_cmpx_gt_i32_e32 50, v0
; %bb.372:                              ;   in Loop: Header=BB9_15 Depth=1
	v_cmp_eq_u32_e32 vcc_lo, 0, v0
	s_or_not1_b32 s0, vcc_lo, exec_lo
; %bb.373:                              ;   in Loop: Header=BB9_15 Depth=1
	s_or_b32 exec_lo, exec_lo, s1
	s_delay_alu instid0(SALU_CYCLE_1)
	s_and_b32 exec_lo, exec_lo, s0
	s_cbranch_execz .LBB9_376
; %bb.374:                              ;   in Loop: Header=BB9_15 Depth=1
	s_and_b32 exec_lo, exec_lo, s6
	s_cbranch_execz .LBB9_376
; %bb.375:                              ;   in Loop: Header=BB9_15 Depth=1
	scratch_load_b32 v1, off, off offset:364 ; 4-byte Folded Reload
	ds_load_b32 v0, v186 offset:8448
	s_waitcnt vmcnt(0)
	ds_load_b32 v3, v1 offset:10724
	s_waitcnt lgkmcnt(1)
	v_lshrrev_b32_e32 v1, 16, v0
	v_cvt_f32_f16_e32 v0, v0
	s_delay_alu instid0(VALU_DEP_2) | instskip(NEXT) | instid1(VALU_DEP_1)
	v_cvt_f32_f16_e32 v1, v1
	v_dual_add_f32 v4, 0, v0 :: v_dual_add_f32 v5, 0, v1
	s_waitcnt lgkmcnt(0)
	s_delay_alu instid0(VALU_DEP_1) | instskip(NEXT) | instid1(VALU_DEP_2)
	v_div_scale_f32 v6, null, v3, v3, v4
	v_div_scale_f32 v7, null, v3, v3, v5
	v_div_scale_f32 v10, vcc_lo, v4, v3, v4
	s_delay_alu instid0(VALU_DEP_3) | instskip(NEXT) | instid1(VALU_DEP_2)
	v_rcp_f32_e32 v8, v6
	v_rcp_f32_e32 v9, v7
	v_div_scale_f32 v11, s1, v5, v3, v5
	s_waitcnt_depctr 0xfff
	v_fma_f32 v0, -v6, v8, 1.0
	v_fma_f32 v1, -v7, v9, 1.0
	s_delay_alu instid0(VALU_DEP_1) | instskip(SKIP_1) | instid1(VALU_DEP_2)
	v_dual_fmac_f32 v8, v0, v8 :: v_dual_fmac_f32 v9, v1, v9
	v_mad_u64_u32 v[0:1], null, v187, s45, v[191:192]
	v_dual_mul_f32 v12, v10, v8 :: v_dual_mul_f32 v13, v11, v9
	s_delay_alu instid0(VALU_DEP_2) | instskip(NEXT) | instid1(VALU_DEP_2)
	v_mad_u64_u32 v[1:2], null, v0, 40, v[179:180]
	v_fma_f32 v14, -v6, v12, v10
	s_delay_alu instid0(VALU_DEP_3) | instskip(NEXT) | instid1(VALU_DEP_1)
	v_fma_f32 v15, -v7, v13, v11
	v_dual_fmac_f32 v12, v14, v8 :: v_dual_fmac_f32 v13, v15, v9
	s_delay_alu instid0(VALU_DEP_4) | instskip(NEXT) | instid1(VALU_DEP_2)
	v_ashrrev_i32_e32 v2, 31, v1
	v_fma_f32 v0, -v6, v12, v10
	s_delay_alu instid0(VALU_DEP_3) | instskip(NEXT) | instid1(VALU_DEP_2)
	v_fma_f32 v6, -v7, v13, v11
	v_div_fmas_f32 v7, v0, v8, v12
	s_delay_alu instid0(VALU_DEP_4) | instskip(SKIP_1) | instid1(VALU_DEP_3)
	v_lshlrev_b64 v[0:1], 3, v[1:2]
	s_mov_b32 vcc_lo, s1
	v_div_fmas_f32 v6, v6, v9, v13
	s_delay_alu instid0(VALU_DEP_3) | instskip(NEXT) | instid1(VALU_DEP_3)
	v_div_fixup_f32 v2, v7, v3, v4
	v_add_co_u32 v0, vcc_lo, s57, v0
	s_delay_alu instid0(VALU_DEP_3)
	v_div_fixup_f32 v3, v6, v3, v5
	v_add_co_ci_u32_e32 v1, vcc_lo, s73, v1, vcc_lo
	global_store_b64 v[0:1], v[2:3], off
.LBB9_376:                              ;   in Loop: Header=BB9_15 Depth=1
	s_or_b32 exec_lo, exec_lo, s2
	v_mov_b32_e32 v0, 50
	s_and_saveexec_b32 s0, s15
	s_cbranch_execz .LBB9_378
; %bb.377:                              ;   in Loop: Header=BB9_15 Depth=1
	scratch_load_b32 v1, off, off offset:404 ; 4-byte Folded Reload
	ds_load_b32 v0, v165 offset:128
	s_waitcnt vmcnt(0)
	ds_load_b32 v3, v1 offset:164
	s_waitcnt lgkmcnt(1)
	v_lshrrev_b32_e32 v1, 16, v0
	v_cvt_f32_f16_e32 v0, v0
	s_delay_alu instid0(VALU_DEP_2) | instskip(NEXT) | instid1(VALU_DEP_2)
	v_cvt_f32_f16_e32 v1, v1
	v_add_f32_e32 v2, 0, v0
	s_waitcnt lgkmcnt(0)
	s_delay_alu instid0(VALU_DEP_1) | instskip(NEXT) | instid1(VALU_DEP_1)
	v_div_scale_f32 v5, null, v3, v3, v2
	v_rcp_f32_e32 v7, v5
	s_waitcnt_depctr 0xfff
	v_fma_f32 v9, -v5, v7, 1.0
	s_delay_alu instid0(VALU_DEP_1) | instskip(SKIP_3) | instid1(VALU_DEP_3)
	v_fmac_f32_e32 v7, v9, v7
	v_div_scale_f32 v10, vcc_lo, v2, v3, v2
	v_add_f32_e32 v4, 0, v1
	v_mad_u64_u32 v[0:1], null, v175, s45, v[206:207]
	v_mul_f32_e32 v11, v10, v7
	s_delay_alu instid0(VALU_DEP_3) | instskip(SKIP_1) | instid1(VALU_DEP_4)
	v_div_scale_f32 v6, null, v3, v3, v4
	v_div_scale_f32 v9, s1, v4, v3, v4
	v_mul_lo_u32 v0, v0, 40
	s_delay_alu instid0(VALU_DEP_3) | instskip(SKIP_2) | instid1(VALU_DEP_1)
	v_rcp_f32_e32 v8, v6
	s_waitcnt_depctr 0xfff
	v_fma_f32 v1, -v6, v8, 1.0
	v_fmac_f32_e32 v8, v1, v8
	v_fma_f32 v1, -v5, v11, v10
	s_delay_alu instid0(VALU_DEP_2) | instskip(NEXT) | instid1(VALU_DEP_2)
	v_mul_f32_e32 v12, v9, v8
	v_fmac_f32_e32 v11, v1, v7
	v_ashrrev_i32_e32 v1, 31, v0
	v_or_b32_e32 v0, v0, v216
	s_delay_alu instid0(VALU_DEP_4) | instskip(NEXT) | instid1(VALU_DEP_4)
	v_fma_f32 v13, -v6, v12, v9
	v_fma_f32 v5, -v5, v11, v10
	s_delay_alu instid0(VALU_DEP_4) | instskip(NEXT) | instid1(VALU_DEP_3)
	v_or_b32_e32 v1, 0, v1
	v_fmac_f32_e32 v12, v13, v8
	s_delay_alu instid0(VALU_DEP_3) | instskip(SKIP_1) | instid1(VALU_DEP_3)
	v_div_fmas_f32 v5, v5, v7, v11
	s_mov_b32 vcc_lo, s1
	v_lshlrev_b64 v[0:1], 3, v[0:1]
	s_delay_alu instid0(VALU_DEP_3) | instskip(NEXT) | instid1(VALU_DEP_3)
	v_fma_f32 v6, -v6, v12, v9
	v_div_fixup_f32 v2, v5, v3, v2
	s_delay_alu instid0(VALU_DEP_2) | instskip(NEXT) | instid1(VALU_DEP_1)
	v_div_fmas_f32 v6, v6, v8, v12
	v_div_fixup_f32 v3, v6, v3, v4
	v_add_co_u32 v4, vcc_lo, s57, v0
	v_mov_b32_e32 v0, 0
	v_add_co_ci_u32_e32 v5, vcc_lo, s73, v1, vcc_lo
	global_store_b64 v[4:5], v[2:3], off offset:256
.LBB9_378:                              ;   in Loop: Header=BB9_15 Depth=1
	s_or_b32 exec_lo, exec_lo, s0
	s_mov_b32 s1, -1
	s_mov_b32 s0, exec_lo
	v_cmpx_gt_i32_e32 50, v0
; %bb.379:                              ;   in Loop: Header=BB9_15 Depth=1
	v_cmp_eq_u32_e32 vcc_lo, 0, v0
	s_or_not1_b32 s1, vcc_lo, exec_lo
; %bb.380:                              ;   in Loop: Header=BB9_15 Depth=1
	s_or_b32 exec_lo, exec_lo, s0
                                        ; implicit-def: $vgpr1
	s_and_saveexec_b32 s0, s1
	s_cbranch_execz .LBB9_396
; %bb.381:                              ;   in Loop: Header=BB9_15 Depth=1
	v_mov_b32_e32 v0, 50
	s_and_saveexec_b32 s2, s14
	s_cbranch_execz .LBB9_383
; %bb.382:                              ;   in Loop: Header=BB9_15 Depth=1
	s_clause 0x1
	scratch_load_b32 v0, off, off offset:400
	scratch_load_b32 v1, off, off offset:496
	s_waitcnt vmcnt(1)
	ds_load_b32 v0, v0 offset:128
	s_waitcnt vmcnt(0)
	ds_load_b32 v3, v1 offset:164
	s_waitcnt lgkmcnt(1)
	v_lshrrev_b32_e32 v1, 16, v0
	v_cvt_f32_f16_e32 v0, v0
	s_delay_alu instid0(VALU_DEP_2) | instskip(NEXT) | instid1(VALU_DEP_2)
	v_cvt_f32_f16_e32 v1, v1
	v_add_f32_e32 v2, 0, v0
	s_waitcnt lgkmcnt(0)
	s_delay_alu instid0(VALU_DEP_1) | instskip(NEXT) | instid1(VALU_DEP_1)
	v_div_scale_f32 v5, null, v3, v3, v2
	v_rcp_f32_e32 v7, v5
	s_waitcnt_depctr 0xfff
	v_fma_f32 v9, -v5, v7, 1.0
	s_delay_alu instid0(VALU_DEP_1) | instskip(SKIP_3) | instid1(VALU_DEP_3)
	v_fmac_f32_e32 v7, v9, v7
	v_div_scale_f32 v10, vcc_lo, v2, v3, v2
	v_add_f32_e32 v4, 0, v1
	v_mad_u64_u32 v[0:1], null, v174, s45, v[206:207]
	v_mul_f32_e32 v11, v10, v7
	s_delay_alu instid0(VALU_DEP_3) | instskip(SKIP_1) | instid1(VALU_DEP_4)
	v_div_scale_f32 v6, null, v3, v3, v4
	v_div_scale_f32 v9, s1, v4, v3, v4
	v_mul_lo_u32 v0, v0, 40
	s_delay_alu instid0(VALU_DEP_3) | instskip(SKIP_2) | instid1(VALU_DEP_1)
	v_rcp_f32_e32 v8, v6
	s_waitcnt_depctr 0xfff
	v_fma_f32 v1, -v6, v8, 1.0
	v_fmac_f32_e32 v8, v1, v8
	v_fma_f32 v1, -v5, v11, v10
	s_delay_alu instid0(VALU_DEP_2) | instskip(NEXT) | instid1(VALU_DEP_2)
	v_mul_f32_e32 v12, v9, v8
	v_fmac_f32_e32 v11, v1, v7
	v_ashrrev_i32_e32 v1, 31, v0
	v_or_b32_e32 v0, v0, v216
	s_delay_alu instid0(VALU_DEP_4) | instskip(NEXT) | instid1(VALU_DEP_4)
	v_fma_f32 v13, -v6, v12, v9
	v_fma_f32 v5, -v5, v11, v10
	s_delay_alu instid0(VALU_DEP_4) | instskip(NEXT) | instid1(VALU_DEP_3)
	v_or_b32_e32 v1, 0, v1
	v_fmac_f32_e32 v12, v13, v8
	s_delay_alu instid0(VALU_DEP_3) | instskip(SKIP_1) | instid1(VALU_DEP_3)
	v_div_fmas_f32 v5, v5, v7, v11
	s_mov_b32 vcc_lo, s1
	v_lshlrev_b64 v[0:1], 3, v[0:1]
	s_delay_alu instid0(VALU_DEP_3) | instskip(NEXT) | instid1(VALU_DEP_3)
	v_fma_f32 v6, -v6, v12, v9
	v_div_fixup_f32 v2, v5, v3, v2
	s_delay_alu instid0(VALU_DEP_2) | instskip(NEXT) | instid1(VALU_DEP_1)
	v_div_fmas_f32 v6, v6, v8, v12
	v_div_fixup_f32 v3, v6, v3, v4
	v_add_co_u32 v4, vcc_lo, s57, v0
	v_mov_b32_e32 v0, 0
	v_add_co_ci_u32_e32 v5, vcc_lo, s73, v1, vcc_lo
	global_store_b64 v[4:5], v[2:3], off offset:256
.LBB9_383:                              ;   in Loop: Header=BB9_15 Depth=1
	s_or_b32 exec_lo, exec_lo, s2
	s_mov_b32 s3, -1
	s_mov_b32 s1, exec_lo
	v_cmpx_gt_i32_e32 50, v0
; %bb.384:                              ;   in Loop: Header=BB9_15 Depth=1
	v_cmp_eq_u32_e32 vcc_lo, 0, v0
	s_or_not1_b32 s3, vcc_lo, exec_lo
; %bb.385:                              ;   in Loop: Header=BB9_15 Depth=1
	s_or_b32 exec_lo, exec_lo, s1
	s_mov_b32 s1, s81
                                        ; implicit-def: $vgpr1
	s_and_saveexec_b32 s2, s3
	s_cbranch_execz .LBB9_395
; %bb.386:                              ;   in Loop: Header=BB9_15 Depth=1
	v_mov_b32_e32 v0, 50
	s_and_saveexec_b32 s3, s35
	s_cbranch_execz .LBB9_388
; %bb.387:                              ;   in Loop: Header=BB9_15 Depth=1
	s_clause 0x1
	scratch_load_b32 v0, off, off offset:492
	scratch_load_b32 v1, off, off offset:544
	s_waitcnt vmcnt(1)
	ds_load_b32 v0, v0 offset:128
	s_waitcnt vmcnt(0)
	ds_load_b32 v3, v1 offset:164
	s_waitcnt lgkmcnt(1)
	v_lshrrev_b32_e32 v1, 16, v0
	v_cvt_f32_f16_e32 v0, v0
	s_delay_alu instid0(VALU_DEP_2) | instskip(NEXT) | instid1(VALU_DEP_2)
	v_cvt_f32_f16_e32 v1, v1
	v_add_f32_e32 v2, 0, v0
	s_waitcnt lgkmcnt(0)
	s_delay_alu instid0(VALU_DEP_1) | instskip(NEXT) | instid1(VALU_DEP_1)
	v_div_scale_f32 v5, null, v3, v3, v2
	v_rcp_f32_e32 v7, v5
	s_waitcnt_depctr 0xfff
	v_fma_f32 v9, -v5, v7, 1.0
	s_delay_alu instid0(VALU_DEP_1) | instskip(SKIP_3) | instid1(VALU_DEP_3)
	v_fmac_f32_e32 v7, v9, v7
	v_div_scale_f32 v10, vcc_lo, v2, v3, v2
	v_add_f32_e32 v4, 0, v1
	v_mad_u64_u32 v[0:1], null, v173, s45, v[206:207]
	v_mul_f32_e32 v11, v10, v7
	s_delay_alu instid0(VALU_DEP_3) | instskip(SKIP_1) | instid1(VALU_DEP_4)
	v_div_scale_f32 v6, null, v3, v3, v4
	v_div_scale_f32 v9, s1, v4, v3, v4
	v_mul_lo_u32 v0, v0, 40
	s_delay_alu instid0(VALU_DEP_3) | instskip(SKIP_2) | instid1(VALU_DEP_1)
	v_rcp_f32_e32 v8, v6
	s_waitcnt_depctr 0xfff
	v_fma_f32 v1, -v6, v8, 1.0
	v_fmac_f32_e32 v8, v1, v8
	v_fma_f32 v1, -v5, v11, v10
	s_delay_alu instid0(VALU_DEP_2) | instskip(NEXT) | instid1(VALU_DEP_2)
	v_mul_f32_e32 v12, v9, v8
	v_fmac_f32_e32 v11, v1, v7
	v_ashrrev_i32_e32 v1, 31, v0
	v_or_b32_e32 v0, v0, v216
	s_delay_alu instid0(VALU_DEP_4) | instskip(NEXT) | instid1(VALU_DEP_4)
	v_fma_f32 v13, -v6, v12, v9
	v_fma_f32 v5, -v5, v11, v10
	s_delay_alu instid0(VALU_DEP_4) | instskip(NEXT) | instid1(VALU_DEP_3)
	v_or_b32_e32 v1, 0, v1
	v_fmac_f32_e32 v12, v13, v8
	s_delay_alu instid0(VALU_DEP_3) | instskip(SKIP_1) | instid1(VALU_DEP_3)
	v_div_fmas_f32 v5, v5, v7, v11
	s_mov_b32 vcc_lo, s1
	v_lshlrev_b64 v[0:1], 3, v[0:1]
	s_delay_alu instid0(VALU_DEP_3) | instskip(NEXT) | instid1(VALU_DEP_3)
	v_fma_f32 v6, -v6, v12, v9
	v_div_fixup_f32 v2, v5, v3, v2
	s_delay_alu instid0(VALU_DEP_2) | instskip(NEXT) | instid1(VALU_DEP_1)
	v_div_fmas_f32 v6, v6, v8, v12
	v_div_fixup_f32 v3, v6, v3, v4
	v_add_co_u32 v4, vcc_lo, s57, v0
	v_mov_b32_e32 v0, 0
	v_add_co_ci_u32_e32 v5, vcc_lo, s73, v1, vcc_lo
	global_store_b64 v[4:5], v[2:3], off offset:256
.LBB9_388:                              ;   in Loop: Header=BB9_15 Depth=1
	s_or_b32 exec_lo, exec_lo, s3
	s_mov_b32 s4, -1
	s_mov_b32 s1, exec_lo
	v_cmpx_gt_i32_e32 50, v0
; %bb.389:                              ;   in Loop: Header=BB9_15 Depth=1
	v_cmp_eq_u32_e32 vcc_lo, 0, v0
	s_or_not1_b32 s4, vcc_lo, exec_lo
; %bb.390:                              ;   in Loop: Header=BB9_15 Depth=1
	s_or_b32 exec_lo, exec_lo, s1
	s_mov_b32 s1, s81
                                        ; implicit-def: $vgpr1
	s_and_saveexec_b32 s3, s4
	s_cbranch_execz .LBB9_394
; %bb.391:                              ;   in Loop: Header=BB9_15 Depth=1
	s_mov_b32 s1, s81
                                        ; implicit-def: $vgpr1
	s_and_saveexec_b32 s4, s34
	s_cbranch_execz .LBB9_393
; %bb.392:                              ;   in Loop: Header=BB9_15 Depth=1
	s_clause 0x1
	scratch_load_b32 v0, off, off offset:536
	scratch_load_b32 v1, off, off offset:552
	s_waitcnt vmcnt(1)
	ds_load_b32 v0, v0 offset:128
	s_waitcnt vmcnt(0)
	ds_load_b32 v1, v1 offset:164
	s_waitcnt lgkmcnt(1)
	v_lshrrev_b32_e32 v2, 16, v0
	v_cvt_f32_f16_e32 v0, v0
	s_delay_alu instid0(VALU_DEP_2) | instskip(NEXT) | instid1(VALU_DEP_2)
	v_cvt_f32_f16_e32 v2, v2
	v_add_f32_e32 v0, 0, v0
	s_delay_alu instid0(VALU_DEP_2) | instskip(SKIP_1) | instid1(VALU_DEP_2)
	v_add_f32_e32 v2, 0, v2
	s_waitcnt lgkmcnt(0)
	v_div_scale_f32 v3, null, v1, v1, v0
	s_delay_alu instid0(VALU_DEP_2) | instskip(NEXT) | instid1(VALU_DEP_2)
	v_div_scale_f32 v4, null, v1, v1, v2
	v_rcp_f32_e32 v5, v3
	s_delay_alu instid0(VALU_DEP_1) | instskip(SKIP_3) | instid1(VALU_DEP_2)
	v_rcp_f32_e32 v6, v4
	s_waitcnt_depctr 0xfff
	v_fma_f32 v7, -v3, v5, 1.0
	v_fma_f32 v8, -v4, v6, 1.0
	v_fmac_f32_e32 v5, v7, v5
	v_div_scale_f32 v9, vcc_lo, v0, v1, v0
	v_div_scale_f32 v7, s1, v2, v1, v2
	s_delay_alu instid0(VALU_DEP_4) | instskip(NEXT) | instid1(VALU_DEP_3)
	v_fmac_f32_e32 v6, v8, v6
	v_mul_f32_e32 v8, v9, v5
	s_delay_alu instid0(VALU_DEP_2) | instskip(NEXT) | instid1(VALU_DEP_2)
	v_mul_f32_e32 v10, v7, v6
	v_fma_f32 v11, -v3, v8, v9
	s_delay_alu instid0(VALU_DEP_2) | instskip(NEXT) | instid1(VALU_DEP_2)
	v_fma_f32 v12, -v4, v10, v7
	v_fmac_f32_e32 v8, v11, v5
	s_delay_alu instid0(VALU_DEP_2) | instskip(NEXT) | instid1(VALU_DEP_2)
	v_fmac_f32_e32 v10, v12, v6
	v_fma_f32 v3, -v3, v8, v9
	s_delay_alu instid0(VALU_DEP_2) | instskip(NEXT) | instid1(VALU_DEP_2)
	v_fma_f32 v4, -v4, v10, v7
	v_div_fmas_f32 v3, v3, v5, v8
	s_mov_b32 vcc_lo, s1
	s_or_b32 s1, s81, exec_lo
	s_delay_alu instid0(VALU_DEP_2) | instskip(NEXT) | instid1(VALU_DEP_2)
	v_div_fmas_f32 v4, v4, v6, v10
	v_div_fixup_f32 v0, v3, v1, v0
	s_delay_alu instid0(VALU_DEP_2)
	v_div_fixup_f32 v1, v4, v1, v2
.LBB9_393:                              ;   in Loop: Header=BB9_15 Depth=1
	s_or_b32 exec_lo, exec_lo, s4
	s_delay_alu instid0(SALU_CYCLE_1) | instskip(SKIP_1) | instid1(SALU_CYCLE_1)
	s_and_not1_b32 s4, s81, exec_lo
	s_and_b32 s1, s1, exec_lo
	s_or_b32 s1, s4, s1
.LBB9_394:                              ;   in Loop: Header=BB9_15 Depth=1
	s_or_b32 exec_lo, exec_lo, s3
	s_delay_alu instid0(SALU_CYCLE_1) | instskip(SKIP_1) | instid1(SALU_CYCLE_1)
	s_and_not1_b32 s3, s81, exec_lo
	s_and_b32 s1, s1, exec_lo
	s_or_b32 s1, s3, s1
.LBB9_395:                              ;   in Loop: Header=BB9_15 Depth=1
	s_or_b32 exec_lo, exec_lo, s2
	s_delay_alu instid0(SALU_CYCLE_1) | instskip(SKIP_1) | instid1(SALU_CYCLE_1)
	s_and_not1_b32 s2, s81, exec_lo
	s_and_b32 s1, s1, exec_lo
	s_or_b32 s81, s2, s1
.LBB9_396:                              ;   in Loop: Header=BB9_15 Depth=1
	s_or_b32 exec_lo, exec_lo, s0
.LBB9_397:                              ;   in Loop: Header=BB9_15 Depth=1
	s_and_saveexec_b32 s0, s81
	s_cbranch_execz .LBB9_14
; %bb.398:                              ;   in Loop: Header=BB9_15 Depth=1
	v_mad_u64_u32 v[2:3], null, v172, s45, v[206:207]
	s_delay_alu instid0(VALU_DEP_1) | instskip(NEXT) | instid1(VALU_DEP_1)
	v_mul_lo_u32 v2, v2, 40
	v_ashrrev_i32_e32 v3, 31, v2
	v_or_b32_e32 v2, v2, v216
	s_delay_alu instid0(VALU_DEP_2) | instskip(NEXT) | instid1(VALU_DEP_1)
	v_or_b32_e32 v3, 0, v3
	v_lshlrev_b64 v[2:3], 3, v[2:3]
	s_delay_alu instid0(VALU_DEP_1) | instskip(NEXT) | instid1(VALU_DEP_2)
	v_add_co_u32 v2, vcc_lo, s57, v2
	v_add_co_ci_u32_e32 v3, vcc_lo, s73, v3, vcc_lo
	global_store_b64 v[2:3], v[0:1], off offset:256
	s_branch .LBB9_14
.LBB9_399:
	v_readlane_b32 s12, v255, 28
	v_readlane_b32 s13, v255, 29
	s_and_not1_b32 vcc_lo, exec_lo, s0
	s_cbranch_vccnz .LBB9_12
.LBB9_400:
	v_readlane_b32 s6, v255, 3
	s_abs_i32 s3, s64
	v_readlane_b32 s9, v255, 2
	v_readlane_b32 s11, v255, 1
	s_delay_alu instid0(VALU_DEP_3) | instskip(NEXT) | instid1(SALU_CYCLE_1)
	s_abs_i32 s0, s6
	v_cvt_f32_u32_e32 v0, s0
	s_sub_i32 s2, 0, s0
	s_delay_alu instid0(VALU_DEP_1) | instskip(SKIP_2) | instid1(VALU_DEP_1)
	v_rcp_iflag_f32_e32 v0, v0
	s_waitcnt_depctr 0xfff
	v_mul_f32_e32 v0, 0x4f7ffffe, v0
	v_cvt_u32_f32_e32 v0, v0
	s_delay_alu instid0(VALU_DEP_1) | instskip(NEXT) | instid1(VALU_DEP_1)
	v_readfirstlane_b32 s1, v0
	s_mul_i32 s2, s2, s1
	s_delay_alu instid0(SALU_CYCLE_1) | instskip(NEXT) | instid1(SALU_CYCLE_1)
	s_mul_hi_u32 s2, s1, s2
	s_add_i32 s1, s1, s2
	s_xor_b32 s2, s64, s6
	s_mul_hi_u32 s1, s3, s1
	s_ashr_i32 s2, s2, 31
	s_mul_i32 s4, s1, s0
	s_delay_alu instid0(SALU_CYCLE_1)
	s_sub_i32 s3, s3, s4
	s_add_i32 s4, s1, 1
	s_sub_i32 s5, s3, s0
	s_cmp_ge_u32 s3, s0
	s_cselect_b32 s1, s4, s1
	s_cselect_b32 s3, s5, s3
	s_add_i32 s4, s1, 1
	s_cmp_ge_u32 s3, s0
	s_cselect_b32 s0, s4, s1
	s_abs_i32 s1, s9
	s_xor_b32 s0, s0, s2
	v_cvt_f32_u32_e32 v0, s1
	s_sub_i32 s2, s0, s2
	s_sub_i32 s0, 0, s1
	s_mul_i32 s4, s2, s6
	s_delay_alu instid0(VALU_DEP_1) | instskip(SKIP_1) | instid1(SALU_CYCLE_1)
	v_rcp_iflag_f32_e32 v0, v0
	s_sub_i32 s4, s64, s4
	s_abs_i32 s5, s4
	s_waitcnt_depctr 0xfff
	v_mul_f32_e32 v0, 0x4f7ffffe, v0
	s_delay_alu instid0(VALU_DEP_1) | instskip(NEXT) | instid1(VALU_DEP_1)
	v_cvt_u32_f32_e32 v0, v0
	v_readfirstlane_b32 s3, v0
	s_delay_alu instid0(VALU_DEP_1) | instskip(NEXT) | instid1(SALU_CYCLE_1)
	s_mul_i32 s0, s0, s3
	s_mul_hi_u32 s0, s3, s0
	s_delay_alu instid0(SALU_CYCLE_1) | instskip(NEXT) | instid1(SALU_CYCLE_1)
	s_add_i32 s3, s3, s0
	s_mul_hi_u32 s0, s5, s3
	s_xor_b32 s3, s4, s9
	s_mul_i32 s6, s0, s1
	s_ashr_i32 s3, s3, 31
	s_sub_i32 s5, s5, s6
	s_add_i32 s6, s0, 1
	s_sub_i32 s7, s5, s1
	s_cmp_ge_u32 s5, s1
	s_cselect_b32 s0, s6, s0
	s_cselect_b32 s5, s7, s5
	s_add_i32 s6, s0, 1
	s_cmp_ge_u32 s5, s1
	s_cselect_b32 s0, s6, s0
	s_abs_i32 s1, s11
	s_xor_b32 s0, s0, s3
	v_cvt_f32_u32_e32 v0, s1
	s_sub_i32 s3, s0, s3
	s_sub_i32 s0, 0, s1
	s_mul_i32 s6, s3, s9
	s_delay_alu instid0(VALU_DEP_1) | instskip(SKIP_1) | instid1(SALU_CYCLE_1)
	v_rcp_iflag_f32_e32 v0, v0
	s_sub_i32 s4, s4, s6
	s_abs_i32 s6, s4
	s_waitcnt_depctr 0xfff
	v_mul_f32_e32 v0, 0x4f7ffffe, v0
	s_delay_alu instid0(VALU_DEP_1) | instskip(NEXT) | instid1(VALU_DEP_1)
	v_cvt_u32_f32_e32 v0, v0
	v_readfirstlane_b32 s5, v0
	s_delay_alu instid0(VALU_DEP_1) | instskip(NEXT) | instid1(SALU_CYCLE_1)
	s_mul_i32 s0, s0, s5
	s_mul_hi_u32 s0, s5, s0
	s_delay_alu instid0(SALU_CYCLE_1) | instskip(NEXT) | instid1(SALU_CYCLE_1)
	s_add_i32 s5, s5, s0
	s_mul_hi_u32 s0, s6, s5
	s_xor_b32 s5, s4, s11
	s_mul_i32 s7, s0, s1
	s_ashr_i32 s5, s5, 31
	s_sub_i32 s6, s6, s7
	s_add_i32 s7, s0, 1
	s_sub_i32 s9, s6, s1
	s_cmp_ge_u32 s6, s1
	s_cselect_b32 s0, s7, s0
	s_cselect_b32 s6, s9, s6
	s_add_i32 s7, s0, 1
	s_cmp_ge_u32 s6, s1
	s_cselect_b32 s0, s7, s0
	v_readlane_b32 s7, v255, 12
	s_xor_b32 s0, s0, s5
	s_delay_alu instid0(SALU_CYCLE_1) | instskip(NEXT) | instid1(SALU_CYCLE_1)
	s_sub_i32 s0, s0, s5
	s_mul_i32 s1, s0, s11
	s_delay_alu instid0(SALU_CYCLE_1) | instskip(NEXT) | instid1(SALU_CYCLE_1)
	s_sub_i32 s1, s4, s1
	s_abs_i32 s4, s1
	s_ashr_i32 s1, s1, 31
	s_mul_hi_u32 s5, s4, s89
	s_xor_b32 s1, s1, s7
	s_mul_i32 s6, s5, s87
	s_delay_alu instid0(SALU_CYCLE_1)
	s_sub_i32 s4, s4, s6
	s_add_i32 s6, s5, 1
	s_sub_i32 s7, s4, s87
	s_cmp_ge_u32 s4, s87
	s_cselect_b32 s5, s6, s5
	s_cselect_b32 s4, s7, s4
	s_add_i32 s6, s5, 1
	s_cmp_ge_u32 s4, s87
	s_cselect_b32 s5, s6, s5
	s_abs_i32 s4, s12
	s_xor_b32 s5, s5, s1
	v_cvt_f32_u32_e32 v0, s4
	s_sub_i32 s1, s5, s1
	s_cmp_eq_u64 s[26:27], 0
	s_delay_alu instid0(VALU_DEP_1) | instskip(SKIP_2) | instid1(VALU_DEP_1)
	v_rcp_iflag_f32_e32 v0, v0
	s_waitcnt_depctr 0xfff
	v_mul_f32_e32 v0, 0x4f7ffffe, v0
	v_cvt_u32_f32_e32 v0, v0
	s_delay_alu instid0(VALU_DEP_1)
	v_readfirstlane_b32 s7, v0
	v_mov_b32_e32 v0, s8
	s_cbranch_scc1 .LBB9_402
; %bb.401:
	v_readlane_b32 s5, v255, 0
	v_mov_b32_e32 v0, 0
	s_delay_alu instid0(VALU_DEP_2) | instskip(NEXT) | instid1(SALU_CYCLE_1)
	s_mul_i32 s5, s2, s5
	s_add_i32 s12, s1, s5
	s_delay_alu instid0(SALU_CYCLE_1) | instskip(NEXT) | instid1(SALU_CYCLE_1)
	s_ashr_i32 s13, s12, 31
	s_lshl_b64 s[12:13], s[12:13], 2
	s_delay_alu instid0(SALU_CYCLE_1) | instskip(SKIP_4) | instid1(VALU_DEP_1)
	s_add_u32 s12, s26, s12
	s_addc_u32 s13, s27, s13
	global_load_b32 v0, v0, s[12:13]
	s_waitcnt vmcnt(0)
	v_ashrrev_i32_e32 v1, 31, v0
	v_lshrrev_b32_e32 v1, 26, v1
	s_delay_alu instid0(VALU_DEP_1) | instskip(NEXT) | instid1(VALU_DEP_1)
	v_add_nc_u32_e32 v0, v0, v1
	v_ashrrev_i32_e32 v0, 6, v0
	s_delay_alu instid0(VALU_DEP_1)
	v_min_i32_e32 v0, s8, v0
.LBB9_402:
	v_readlane_b32 s12, v255, 6
	v_readlane_b32 s13, v255, 7
	s_mul_i32 s5, s3, s33
	s_lshl_b32 s8, s0, 2
	v_mad_u32_u24 v195, v201, 44, v179
	s_add_i32 s5, s8, s5
	s_mul_i32 s0, s2, s13
	s_mul_i32 s5, s5, s12
	s_ashr_i32 s6, s0, 31
	s_add_u32 s0, s16, s0
	s_addc_u32 s6, s17, s6
	s_ashr_i32 s9, s5, 31
	s_add_u32 s5, s0, s5
	s_addc_u32 s6, s6, s9
	s_lshl_b32 s1, s1, 4
	v_or_b32_e32 v2, s8, v191
	v_add_nc_u32_e32 v1, s1, v215
	s_delay_alu instid0(VALU_DEP_2) | instskip(NEXT) | instid1(VALU_DEP_2)
	v_cmp_gt_i32_e32 vcc_lo, s33, v2
	v_cmp_le_i32_e64 s0, s44, v1
	s_xor_b32 s9, vcc_lo, -1
	s_delay_alu instid0(VALU_DEP_1) | instid1(SALU_CYCLE_1)
	s_or_b32 s0, s0, s9
	s_delay_alu instid0(SALU_CYCLE_1) | instskip(NEXT) | instid1(SALU_CYCLE_1)
	s_and_saveexec_b32 s11, s0
	s_xor_b32 s0, exec_lo, s11
	s_cbranch_execz .LBB9_404
; %bb.403:
	v_lshl_add_u32 v1, v195, 2, 0
	v_mov_b32_e32 v2, 0
	ds_store_b32 v1, v2
                                        ; implicit-def: $vgpr1
.LBB9_404:
	s_or_saveexec_b32 s0, s0
	s_clause 0x8
	scratch_load_b32 v3, off, off offset:500
	scratch_load_b32 v4, off, off offset:504
	;; [unrolled: 1-line block ×9, first 2 shown]
	v_readlane_b32 s13, v255, 15
	s_xor_b32 exec_lo, exec_lo, s0
	s_cbranch_execz .LBB9_406
; %bb.405:
	v_mul_lo_u32 v1, v1, s65
	s_delay_alu instid0(VALU_DEP_2) | instskip(NEXT) | instid1(VALU_DEP_1)
	v_mul_lo_u32 v2, v191, s13
	v_add3_u32 v1, v2, v179, v1
	s_delay_alu instid0(VALU_DEP_1) | instskip(NEXT) | instid1(VALU_DEP_1)
	v_ashrrev_i32_e32 v2, 31, v1
	v_lshlrev_b64 v[1:2], 3, v[1:2]
	s_delay_alu instid0(VALU_DEP_1) | instskip(NEXT) | instid1(VALU_DEP_2)
	v_add_co_u32 v1, vcc_lo, s5, v1
	v_add_co_ci_u32_e32 v2, vcc_lo, s6, v2, vcc_lo
	global_load_b64 v[1:2], v[1:2], off
	s_waitcnt vmcnt(0)
	v_cvt_f16_f32_e32 v1, v1
	v_cvt_f16_f32_e32 v2, v2
	s_delay_alu instid0(VALU_DEP_1) | instskip(SKIP_1) | instid1(VALU_DEP_2)
	v_pack_b32_f16 v1, v1, v2
	v_lshl_add_u32 v2, v195, 2, 0
	v_pk_mul_f16 v1, v220, v1
	ds_store_b32 v2, v1
.LBB9_406:
	s_or_b32 exec_lo, exec_lo, s0
	v_lshrrev_b32_e32 v1, 2, v190
	s_delay_alu instid0(VALU_DEP_1) | instskip(NEXT) | instid1(VALU_DEP_1)
	v_add_nc_u32_e32 v1, s1, v1
	v_cmp_le_i32_e32 vcc_lo, s44, v1
	s_or_b32 s0, vcc_lo, s9
	s_delay_alu instid0(SALU_CYCLE_1) | instskip(NEXT) | instid1(SALU_CYCLE_1)
	s_and_saveexec_b32 s11, s0
	s_xor_b32 s0, exec_lo, s11
	s_cbranch_execz .LBB9_408
; %bb.407:
	v_mad_u32_u24 v1, v190, 44, v179
	v_mov_b32_e32 v2, 0
	s_delay_alu instid0(VALU_DEP_2)
	v_lshl_add_u32 v1, v1, 2, 0
	ds_store_b32 v1, v2
                                        ; implicit-def: $vgpr1
.LBB9_408:
	s_and_not1_saveexec_b32 s0, s0
	s_cbranch_execz .LBB9_410
; %bb.409:
	v_mul_lo_u32 v1, v1, s65
	v_mul_lo_u32 v2, v191, s13
	s_delay_alu instid0(VALU_DEP_1) | instskip(NEXT) | instid1(VALU_DEP_1)
	v_add3_u32 v1, v2, v179, v1
	v_ashrrev_i32_e32 v2, 31, v1
	s_delay_alu instid0(VALU_DEP_1) | instskip(NEXT) | instid1(VALU_DEP_1)
	v_lshlrev_b64 v[1:2], 3, v[1:2]
	v_add_co_u32 v1, vcc_lo, s5, v1
	s_delay_alu instid0(VALU_DEP_2) | instskip(SKIP_4) | instid1(VALU_DEP_1)
	v_add_co_ci_u32_e32 v2, vcc_lo, s6, v2, vcc_lo
	global_load_b64 v[1:2], v[1:2], off
	s_waitcnt vmcnt(0)
	v_cvt_f16_f32_e32 v1, v1
	v_cvt_f16_f32_e32 v2, v2
	v_pack_b32_f16 v1, v1, v2
	v_mad_u32_u24 v2, v190, 44, v179
	s_delay_alu instid0(VALU_DEP_2) | instskip(NEXT) | instid1(VALU_DEP_2)
	v_pk_mul_f16 v1, v220, v1
	v_lshl_add_u32 v2, v2, 2, 0
	ds_store_b32 v2, v1
.LBB9_410:
	s_or_b32 exec_lo, exec_lo, s0
	v_lshrrev_b32_e32 v1, 2, v202
	s_delay_alu instid0(VALU_DEP_1) | instskip(NEXT) | instid1(VALU_DEP_1)
	v_add_nc_u32_e32 v1, s1, v1
	v_cmp_le_i32_e32 vcc_lo, s44, v1
	s_or_b32 s0, vcc_lo, s9
	s_delay_alu instid0(SALU_CYCLE_1) | instskip(NEXT) | instid1(SALU_CYCLE_1)
	s_and_saveexec_b32 s11, s0
	s_xor_b32 s0, exec_lo, s11
	s_cbranch_execz .LBB9_412
; %bb.411:
	v_mad_u32_u24 v1, v202, 44, v179
	v_mov_b32_e32 v2, 0
	s_delay_alu instid0(VALU_DEP_2)
	v_lshl_add_u32 v1, v1, 2, 0
	ds_store_b32 v1, v2
                                        ; implicit-def: $vgpr1
.LBB9_412:
	s_and_not1_saveexec_b32 s0, s0
	s_cbranch_execz .LBB9_414
; %bb.413:
	v_mul_lo_u32 v1, v1, s65
	v_mul_lo_u32 v2, v191, s13
	s_delay_alu instid0(VALU_DEP_1) | instskip(NEXT) | instid1(VALU_DEP_1)
	v_add3_u32 v1, v2, v179, v1
	v_ashrrev_i32_e32 v2, 31, v1
	s_delay_alu instid0(VALU_DEP_1) | instskip(NEXT) | instid1(VALU_DEP_1)
	v_lshlrev_b64 v[1:2], 3, v[1:2]
	v_add_co_u32 v1, vcc_lo, s5, v1
	s_delay_alu instid0(VALU_DEP_2) | instskip(SKIP_4) | instid1(VALU_DEP_1)
	v_add_co_ci_u32_e32 v2, vcc_lo, s6, v2, vcc_lo
	global_load_b64 v[1:2], v[1:2], off
	s_waitcnt vmcnt(0)
	v_cvt_f16_f32_e32 v1, v1
	v_cvt_f16_f32_e32 v2, v2
	v_pack_b32_f16 v1, v1, v2
	v_mad_u32_u24 v2, v202, 44, v179
	s_delay_alu instid0(VALU_DEP_2) | instskip(NEXT) | instid1(VALU_DEP_2)
	v_pk_mul_f16 v1, v220, v1
	v_lshl_add_u32 v2, v2, 2, 0
	ds_store_b32 v2, v1
.LBB9_414:
	;; [unrolled: 42-line block ×4, first 2 shown]
	s_or_b32 exec_lo, exec_lo, s0
	s_waitcnt vmcnt(4)
	v_lshrrev_b32_e32 v1, 2, v7
	s_delay_alu instid0(VALU_DEP_1) | instskip(NEXT) | instid1(VALU_DEP_1)
	v_add_nc_u32_e32 v1, s1, v1
	v_cmp_le_i32_e32 vcc_lo, s44, v1
	s_or_b32 s0, vcc_lo, s9
	s_delay_alu instid0(SALU_CYCLE_1) | instskip(NEXT) | instid1(SALU_CYCLE_1)
	s_and_saveexec_b32 s11, s0
	s_xor_b32 s0, exec_lo, s11
	s_cbranch_execz .LBB9_424
; %bb.423:
	v_mad_u32_u24 v1, v7, 44, v179
	v_mov_b32_e32 v2, 0
	s_delay_alu instid0(VALU_DEP_2)
	v_lshl_add_u32 v1, v1, 2, 0
	ds_store_b32 v1, v2
                                        ; implicit-def: $vgpr1
.LBB9_424:
	s_and_not1_saveexec_b32 s0, s0
	s_cbranch_execz .LBB9_426
; %bb.425:
	v_mul_lo_u32 v1, v1, s65
	v_mul_lo_u32 v2, v191, s13
	s_delay_alu instid0(VALU_DEP_1) | instskip(NEXT) | instid1(VALU_DEP_1)
	v_add3_u32 v1, v2, v179, v1
	v_ashrrev_i32_e32 v2, 31, v1
	s_delay_alu instid0(VALU_DEP_1) | instskip(NEXT) | instid1(VALU_DEP_1)
	v_lshlrev_b64 v[1:2], 3, v[1:2]
	v_add_co_u32 v1, vcc_lo, s5, v1
	s_delay_alu instid0(VALU_DEP_2) | instskip(SKIP_4) | instid1(VALU_DEP_1)
	v_add_co_ci_u32_e32 v2, vcc_lo, s6, v2, vcc_lo
	global_load_b64 v[1:2], v[1:2], off
	s_waitcnt vmcnt(0)
	v_cvt_f16_f32_e32 v1, v1
	v_cvt_f16_f32_e32 v2, v2
	v_pack_b32_f16 v1, v1, v2
	v_mad_u32_u24 v2, v7, 44, v179
	s_delay_alu instid0(VALU_DEP_2) | instskip(NEXT) | instid1(VALU_DEP_2)
	v_pk_mul_f16 v1, v220, v1
	v_lshl_add_u32 v2, v2, 2, 0
	ds_store_b32 v2, v1
.LBB9_426:
	s_or_b32 exec_lo, exec_lo, s0
	s_waitcnt vmcnt(3)
	v_lshrrev_b32_e32 v1, 2, v8
	s_delay_alu instid0(VALU_DEP_1) | instskip(NEXT) | instid1(VALU_DEP_1)
	v_add_nc_u32_e32 v1, s1, v1
	v_cmp_le_i32_e32 vcc_lo, s44, v1
	s_or_b32 s0, vcc_lo, s9
	s_delay_alu instid0(SALU_CYCLE_1) | instskip(NEXT) | instid1(SALU_CYCLE_1)
	s_and_saveexec_b32 s11, s0
	s_xor_b32 s0, exec_lo, s11
	s_cbranch_execz .LBB9_428
; %bb.427:
	v_mad_u32_u24 v1, v8, 44, v179
	v_mov_b32_e32 v2, 0
	s_delay_alu instid0(VALU_DEP_2)
	v_lshl_add_u32 v1, v1, 2, 0
	ds_store_b32 v1, v2
                                        ; implicit-def: $vgpr1
.LBB9_428:
	s_and_not1_saveexec_b32 s0, s0
	s_cbranch_execz .LBB9_430
; %bb.429:
	v_mul_lo_u32 v1, v1, s65
	v_mul_lo_u32 v2, v191, s13
	s_delay_alu instid0(VALU_DEP_1) | instskip(NEXT) | instid1(VALU_DEP_1)
	v_add3_u32 v1, v2, v179, v1
	v_ashrrev_i32_e32 v2, 31, v1
	s_delay_alu instid0(VALU_DEP_1) | instskip(NEXT) | instid1(VALU_DEP_1)
	v_lshlrev_b64 v[1:2], 3, v[1:2]
	v_add_co_u32 v1, vcc_lo, s5, v1
	s_delay_alu instid0(VALU_DEP_2) | instskip(SKIP_4) | instid1(VALU_DEP_1)
	v_add_co_ci_u32_e32 v2, vcc_lo, s6, v2, vcc_lo
	global_load_b64 v[1:2], v[1:2], off
	s_waitcnt vmcnt(0)
	v_cvt_f16_f32_e32 v1, v1
	v_cvt_f16_f32_e32 v2, v2
	v_pack_b32_f16 v1, v1, v2
	v_mad_u32_u24 v2, v8, 44, v179
	s_delay_alu instid0(VALU_DEP_2) | instskip(NEXT) | instid1(VALU_DEP_2)
	v_pk_mul_f16 v1, v220, v1
	v_lshl_add_u32 v2, v2, 2, 0
	ds_store_b32 v2, v1
.LBB9_430:
	;; [unrolled: 43-line block ×3, first 2 shown]
	s_or_b32 exec_lo, exec_lo, s0
	v_lshrrev_b32_e32 v1, 2, v194
	s_delay_alu instid0(VALU_DEP_1) | instskip(NEXT) | instid1(VALU_DEP_1)
	v_add_nc_u32_e32 v1, s1, v1
	v_cmp_le_i32_e32 vcc_lo, s44, v1
	s_or_b32 s0, vcc_lo, s9
	s_delay_alu instid0(SALU_CYCLE_1) | instskip(NEXT) | instid1(SALU_CYCLE_1)
	s_and_saveexec_b32 s11, s0
	s_xor_b32 s0, exec_lo, s11
	s_cbranch_execz .LBB9_436
; %bb.435:
	v_mad_u32_u24 v1, v194, 44, v179
	v_mov_b32_e32 v2, 0
	s_delay_alu instid0(VALU_DEP_2)
	v_lshl_add_u32 v1, v1, 2, 0
	ds_store_b32 v1, v2
                                        ; implicit-def: $vgpr1
.LBB9_436:
	s_and_not1_saveexec_b32 s0, s0
	s_cbranch_execz .LBB9_438
; %bb.437:
	v_mul_lo_u32 v1, v1, s65
	v_mul_lo_u32 v2, v191, s13
	s_delay_alu instid0(VALU_DEP_1) | instskip(NEXT) | instid1(VALU_DEP_1)
	v_add3_u32 v1, v2, v179, v1
	v_ashrrev_i32_e32 v2, 31, v1
	s_delay_alu instid0(VALU_DEP_1) | instskip(NEXT) | instid1(VALU_DEP_1)
	v_lshlrev_b64 v[1:2], 3, v[1:2]
	v_add_co_u32 v1, vcc_lo, s5, v1
	s_delay_alu instid0(VALU_DEP_2) | instskip(SKIP_4) | instid1(VALU_DEP_1)
	v_add_co_ci_u32_e32 v2, vcc_lo, s6, v2, vcc_lo
	global_load_b64 v[1:2], v[1:2], off
	s_waitcnt vmcnt(0)
	v_cvt_f16_f32_e32 v1, v1
	v_cvt_f16_f32_e32 v2, v2
	v_pack_b32_f16 v1, v1, v2
	v_mad_u32_u24 v2, v194, 44, v179
	s_delay_alu instid0(VALU_DEP_2) | instskip(NEXT) | instid1(VALU_DEP_2)
	v_pk_mul_f16 v1, v220, v1
	v_lshl_add_u32 v2, v2, 2, 0
	ds_store_b32 v2, v1
.LBB9_438:
	s_or_b32 exec_lo, exec_lo, s0
	s_waitcnt vmcnt(1)
	v_lshrrev_b32_e32 v1, 2, v10
	s_delay_alu instid0(VALU_DEP_1) | instskip(NEXT) | instid1(VALU_DEP_1)
	v_add_nc_u32_e32 v1, s1, v1
	v_cmp_le_i32_e32 vcc_lo, s44, v1
	s_or_b32 s0, vcc_lo, s9
	s_delay_alu instid0(SALU_CYCLE_1) | instskip(NEXT) | instid1(SALU_CYCLE_1)
	s_and_saveexec_b32 s11, s0
	s_xor_b32 s0, exec_lo, s11
	s_cbranch_execz .LBB9_440
; %bb.439:
	v_mad_u32_u24 v1, v10, 44, v179
	v_mov_b32_e32 v2, 0
	s_delay_alu instid0(VALU_DEP_2)
	v_lshl_add_u32 v1, v1, 2, 0
	ds_store_b32 v1, v2
                                        ; implicit-def: $vgpr1
.LBB9_440:
	s_and_not1_saveexec_b32 s0, s0
	s_cbranch_execz .LBB9_442
; %bb.441:
	v_mul_lo_u32 v1, v1, s65
	v_mul_lo_u32 v2, v191, s13
	s_delay_alu instid0(VALU_DEP_1) | instskip(NEXT) | instid1(VALU_DEP_1)
	v_add3_u32 v1, v2, v179, v1
	v_ashrrev_i32_e32 v2, 31, v1
	s_delay_alu instid0(VALU_DEP_1) | instskip(NEXT) | instid1(VALU_DEP_1)
	v_lshlrev_b64 v[1:2], 3, v[1:2]
	v_add_co_u32 v1, vcc_lo, s5, v1
	s_delay_alu instid0(VALU_DEP_2) | instskip(SKIP_4) | instid1(VALU_DEP_1)
	v_add_co_ci_u32_e32 v2, vcc_lo, s6, v2, vcc_lo
	global_load_b64 v[1:2], v[1:2], off
	s_waitcnt vmcnt(0)
	v_cvt_f16_f32_e32 v1, v1
	v_cvt_f16_f32_e32 v2, v2
	v_pack_b32_f16 v1, v1, v2
	v_mad_u32_u24 v2, v10, 44, v179
	s_delay_alu instid0(VALU_DEP_2) | instskip(NEXT) | instid1(VALU_DEP_2)
	v_pk_mul_f16 v1, v220, v1
	v_lshl_add_u32 v2, v2, 2, 0
	ds_store_b32 v2, v1
.LBB9_442:
	s_or_b32 exec_lo, exec_lo, s0
	s_waitcnt vmcnt(0)
	v_lshrrev_b32_e32 v1, 2, v11
	s_delay_alu instid0(VALU_DEP_1) | instskip(NEXT) | instid1(VALU_DEP_1)
	v_add_nc_u32_e32 v1, s1, v1
	v_cmp_le_i32_e32 vcc_lo, s44, v1
	s_or_b32 s0, vcc_lo, s9
	s_delay_alu instid0(SALU_CYCLE_1) | instskip(NEXT) | instid1(SALU_CYCLE_1)
	s_and_saveexec_b32 s11, s0
	s_xor_b32 s0, exec_lo, s11
	s_cbranch_execz .LBB9_444
; %bb.443:
	v_mad_u32_u24 v1, v11, 44, v179
	v_mov_b32_e32 v2, 0
	s_delay_alu instid0(VALU_DEP_2)
	v_lshl_add_u32 v1, v1, 2, 0
	ds_store_b32 v1, v2
                                        ; implicit-def: $vgpr1
.LBB9_444:
	s_and_not1_saveexec_b32 s0, s0
	s_cbranch_execz .LBB9_446
; %bb.445:
	v_mul_lo_u32 v1, v1, s65
	v_mul_lo_u32 v2, v191, s13
	s_delay_alu instid0(VALU_DEP_1) | instskip(NEXT) | instid1(VALU_DEP_1)
	v_add3_u32 v1, v2, v179, v1
	v_ashrrev_i32_e32 v2, 31, v1
	s_delay_alu instid0(VALU_DEP_1) | instskip(NEXT) | instid1(VALU_DEP_1)
	v_lshlrev_b64 v[1:2], 3, v[1:2]
	v_add_co_u32 v1, vcc_lo, s5, v1
	s_delay_alu instid0(VALU_DEP_2) | instskip(SKIP_4) | instid1(VALU_DEP_1)
	v_add_co_ci_u32_e32 v2, vcc_lo, s6, v2, vcc_lo
	global_load_b64 v[1:2], v[1:2], off
	s_waitcnt vmcnt(0)
	v_cvt_f16_f32_e32 v1, v1
	v_cvt_f16_f32_e32 v2, v2
	v_pack_b32_f16 v1, v1, v2
	v_mad_u32_u24 v2, v11, 44, v179
	s_delay_alu instid0(VALU_DEP_2) | instskip(NEXT) | instid1(VALU_DEP_2)
	v_pk_mul_f16 v1, v220, v1
	v_lshl_add_u32 v2, v2, 2, 0
	ds_store_b32 v2, v1
.LBB9_446:
	s_or_b32 exec_lo, exec_lo, s0
	v_lshrrev_b32_e32 v1, 2, v6
	s_delay_alu instid0(VALU_DEP_1) | instskip(NEXT) | instid1(VALU_DEP_1)
	v_add_nc_u32_e32 v1, s1, v1
	v_cmp_le_i32_e32 vcc_lo, s44, v1
	s_or_b32 s0, vcc_lo, s9
	s_delay_alu instid0(SALU_CYCLE_1) | instskip(NEXT) | instid1(SALU_CYCLE_1)
	s_and_saveexec_b32 s11, s0
	s_xor_b32 s0, exec_lo, s11
	s_cbranch_execz .LBB9_448
; %bb.447:
	v_mad_u32_u24 v1, v6, 44, v179
	v_mov_b32_e32 v2, 0
	s_delay_alu instid0(VALU_DEP_2)
	v_lshl_add_u32 v1, v1, 2, 0
	ds_store_b32 v1, v2
                                        ; implicit-def: $vgpr1
.LBB9_448:
	s_and_not1_saveexec_b32 s0, s0
	s_cbranch_execz .LBB9_450
; %bb.449:
	v_mul_lo_u32 v1, v1, s65
	v_mul_lo_u32 v2, v191, s13
	s_delay_alu instid0(VALU_DEP_1) | instskip(NEXT) | instid1(VALU_DEP_1)
	v_add3_u32 v1, v2, v179, v1
	v_ashrrev_i32_e32 v2, 31, v1
	s_delay_alu instid0(VALU_DEP_1) | instskip(NEXT) | instid1(VALU_DEP_1)
	v_lshlrev_b64 v[1:2], 3, v[1:2]
	v_add_co_u32 v1, vcc_lo, s5, v1
	s_delay_alu instid0(VALU_DEP_2) | instskip(SKIP_4) | instid1(VALU_DEP_1)
	v_add_co_ci_u32_e32 v2, vcc_lo, s6, v2, vcc_lo
	global_load_b64 v[1:2], v[1:2], off
	s_waitcnt vmcnt(0)
	v_cvt_f16_f32_e32 v1, v1
	v_cvt_f16_f32_e32 v2, v2
	v_pack_b32_f16 v1, v1, v2
	v_mad_u32_u24 v2, v6, 44, v179
	s_delay_alu instid0(VALU_DEP_2) | instskip(NEXT) | instid1(VALU_DEP_2)
	v_pk_mul_f16 v1, v220, v1
	v_lshl_add_u32 v2, v2, 2, 0
	ds_store_b32 v2, v1
.LBB9_450:
	s_or_b32 exec_lo, exec_lo, s0
	;; [unrolled: 42-line block ×5, first 2 shown]
	v_lshrrev_b32_e32 v1, 2, v3
	s_delay_alu instid0(VALU_DEP_1) | instskip(NEXT) | instid1(VALU_DEP_1)
	v_add_nc_u32_e32 v1, s1, v1
	v_cmp_le_i32_e32 vcc_lo, s44, v1
	s_or_b32 s0, vcc_lo, s9
	s_delay_alu instid0(SALU_CYCLE_1) | instskip(NEXT) | instid1(SALU_CYCLE_1)
	s_and_saveexec_b32 s9, s0
	s_xor_b32 s0, exec_lo, s9
	s_cbranch_execz .LBB9_464
; %bb.463:
	v_mad_u32_u24 v1, v3, 44, v179
	v_mov_b32_e32 v2, 0
                                        ; implicit-def: $vgpr191
	s_delay_alu instid0(VALU_DEP_2)
	v_lshl_add_u32 v1, v1, 2, 0
	ds_store_b32 v1, v2
                                        ; implicit-def: $vgpr1
.LBB9_464:
	s_and_not1_saveexec_b32 s0, s0
	s_cbranch_execz .LBB9_466
; %bb.465:
	v_mul_lo_u32 v1, v1, s65
	v_mul_lo_u32 v2, v191, s13
	s_delay_alu instid0(VALU_DEP_1) | instskip(NEXT) | instid1(VALU_DEP_1)
	v_add3_u32 v1, v2, v179, v1
	v_ashrrev_i32_e32 v2, 31, v1
	s_delay_alu instid0(VALU_DEP_1) | instskip(NEXT) | instid1(VALU_DEP_1)
	v_lshlrev_b64 v[1:2], 3, v[1:2]
	v_add_co_u32 v1, vcc_lo, s5, v1
	s_delay_alu instid0(VALU_DEP_2) | instskip(SKIP_4) | instid1(VALU_DEP_1)
	v_add_co_ci_u32_e32 v2, vcc_lo, s6, v2, vcc_lo
	global_load_b64 v[1:2], v[1:2], off
	s_waitcnt vmcnt(0)
	v_cvt_f16_f32_e32 v1, v1
	v_cvt_f16_f32_e32 v2, v2
	v_pack_b32_f16 v1, v1, v2
	v_mad_u32_u24 v2, v3, 44, v179
	s_delay_alu instid0(VALU_DEP_2) | instskip(NEXT) | instid1(VALU_DEP_2)
	v_pk_mul_f16 v1, v220, v1
	v_lshl_add_u32 v2, v2, 2, 0
	ds_store_b32 v2, v1
.LBB9_466:
	s_or_b32 exec_lo, exec_lo, s0
	v_lshlrev_b32_e32 v207, 2, v201
	v_lshrrev_b32_e32 v1, 3, v179
	v_and_b32_e32 v197, 7, v179
	s_delay_alu instid0(VALU_DEP_2) | instskip(SKIP_1) | instid1(VALU_DEP_2)
	v_add_nc_u32_e32 v198, v1, v207
	v_bfe_u32 v1, v179, 3, 2
	v_lshrrev_b32_e32 v2, 2, v198
	s_delay_alu instid0(VALU_DEP_2) | instskip(SKIP_1) | instid1(VALU_DEP_3)
	v_or_b32_e32 v4, s8, v1
	v_mad_u32_u24 v200, v198, 44, v197
	v_add_nc_u32_e32 v3, s1, v2
	s_delay_alu instid0(VALU_DEP_3) | instskip(NEXT) | instid1(VALU_DEP_2)
	v_cmp_gt_i32_e32 vcc_lo, s33, v4
	v_cmp_le_i32_e64 s0, s44, v3
	s_xor_b32 s8, vcc_lo, -1
	s_delay_alu instid0(VALU_DEP_1) | instid1(SALU_CYCLE_1)
	s_or_b32 s0, s0, s8
	s_delay_alu instid0(SALU_CYCLE_1) | instskip(NEXT) | instid1(SALU_CYCLE_1)
	s_and_saveexec_b32 s9, s0
	s_xor_b32 s0, exec_lo, s9
	s_cbranch_execz .LBB9_468
; %bb.467:
	v_lshl_add_u32 v2, v200, 2, 0
	v_mov_b32_e32 v3, 0
	ds_store_b32 v2, v3 offset:128
                                        ; implicit-def: $vgpr3
.LBB9_468:
	s_or_saveexec_b32 s0, s0
	v_or_b32_e32 v2, 32, v197
	s_xor_b32 exec_lo, exec_lo, s0
	s_cbranch_execz .LBB9_470
; %bb.469:
	v_mul_lo_u32 v3, v3, s65
	v_mul_lo_u32 v4, v1, s13
	s_delay_alu instid0(VALU_DEP_1) | instskip(NEXT) | instid1(VALU_DEP_1)
	v_add3_u32 v3, v4, v2, v3
	v_ashrrev_i32_e32 v4, 31, v3
	s_delay_alu instid0(VALU_DEP_1) | instskip(NEXT) | instid1(VALU_DEP_1)
	v_lshlrev_b64 v[3:4], 3, v[3:4]
	v_add_co_u32 v3, vcc_lo, s5, v3
	s_delay_alu instid0(VALU_DEP_2) | instskip(SKIP_4) | instid1(VALU_DEP_1)
	v_add_co_ci_u32_e32 v4, vcc_lo, s6, v4, vcc_lo
	global_load_b64 v[3:4], v[3:4], off
	s_waitcnt vmcnt(0)
	v_cvt_f16_f32_e32 v3, v3
	v_cvt_f16_f32_e32 v4, v4
	v_pack_b32_f16 v3, v3, v4
	v_lshl_add_u32 v4, v200, 2, 0
	s_delay_alu instid0(VALU_DEP_2)
	v_pk_mul_f16 v3, v220, v3
	ds_store_b32 v4, v3 offset:128
.LBB9_470:
	s_or_b32 exec_lo, exec_lo, s0
	v_add_nc_u32_e32 v203, 16, v198
	s_sub_i32 s0, 0, s4
	s_delay_alu instid0(VALU_DEP_1) | instskip(NEXT) | instid1(VALU_DEP_1)
	v_lshrrev_b32_e32 v3, 2, v203
	v_add_nc_u32_e32 v3, s1, v3
	s_delay_alu instid0(VALU_DEP_1) | instskip(SKIP_1) | instid1(SALU_CYCLE_1)
	v_cmp_le_i32_e32 vcc_lo, s44, v3
	s_or_b32 s9, vcc_lo, s8
	s_and_saveexec_b32 s11, s9
	s_delay_alu instid0(SALU_CYCLE_1)
	s_xor_b32 s9, exec_lo, s11
	s_cbranch_execz .LBB9_472
; %bb.471:
	v_mad_u32_u24 v3, v203, 44, v197
	v_mov_b32_e32 v4, 0
	s_delay_alu instid0(VALU_DEP_2)
	v_lshl_add_u32 v3, v3, 2, 0
	ds_store_b32 v3, v4 offset:128
                                        ; implicit-def: $vgpr3
.LBB9_472:
	s_or_saveexec_b32 s9, s9
	s_mul_i32 s0, s0, s7
	s_xor_b32 exec_lo, exec_lo, s9
	s_cbranch_execz .LBB9_474
; %bb.473:
	v_mul_lo_u32 v3, v3, s65
	v_mul_lo_u32 v4, v1, s13
	s_delay_alu instid0(VALU_DEP_1) | instskip(NEXT) | instid1(VALU_DEP_1)
	v_add3_u32 v3, v4, v2, v3
	v_ashrrev_i32_e32 v4, 31, v3
	s_delay_alu instid0(VALU_DEP_1) | instskip(NEXT) | instid1(VALU_DEP_1)
	v_lshlrev_b64 v[3:4], 3, v[3:4]
	v_add_co_u32 v3, vcc_lo, s5, v3
	s_delay_alu instid0(VALU_DEP_2) | instskip(SKIP_4) | instid1(VALU_DEP_1)
	v_add_co_ci_u32_e32 v4, vcc_lo, s6, v4, vcc_lo
	global_load_b64 v[3:4], v[3:4], off
	s_waitcnt vmcnt(0)
	v_cvt_f16_f32_e32 v3, v3
	v_cvt_f16_f32_e32 v4, v4
	v_pack_b32_f16 v3, v3, v4
	v_mad_u32_u24 v4, v203, 44, v197
	s_delay_alu instid0(VALU_DEP_2) | instskip(NEXT) | instid1(VALU_DEP_2)
	v_pk_mul_f16 v3, v220, v3
	v_lshl_add_u32 v4, v4, 2, 0
	ds_store_b32 v4, v3 offset:128
.LBB9_474:
	s_or_b32 exec_lo, exec_lo, s9
	v_add_nc_u32_e32 v205, 32, v198
	s_mul_hi_u32 s11, s7, s0
	s_delay_alu instid0(VALU_DEP_1) | instskip(NEXT) | instid1(VALU_DEP_1)
	v_lshrrev_b32_e32 v3, 2, v205
	v_add_nc_u32_e32 v3, s1, v3
	s_delay_alu instid0(VALU_DEP_1) | instskip(SKIP_1) | instid1(SALU_CYCLE_1)
	v_cmp_le_i32_e32 vcc_lo, s44, v3
	s_or_b32 s0, vcc_lo, s8
	s_and_saveexec_b32 s9, s0
	s_delay_alu instid0(SALU_CYCLE_1)
	s_xor_b32 s0, exec_lo, s9
	s_cbranch_execz .LBB9_476
; %bb.475:
	v_mad_u32_u24 v3, v205, 44, v197
	v_mov_b32_e32 v4, 0
	s_delay_alu instid0(VALU_DEP_2)
	v_lshl_add_u32 v3, v3, 2, 0
	ds_store_b32 v3, v4 offset:128
                                        ; implicit-def: $vgpr3
.LBB9_476:
	s_or_saveexec_b32 s0, s0
	s_abs_i32 s9, s2
	s_add_i32 s7, s7, s11
	s_xor_b32 exec_lo, exec_lo, s0
	s_cbranch_execz .LBB9_478
; %bb.477:
	v_mul_lo_u32 v3, v3, s65
	v_mul_lo_u32 v4, v1, s13
	s_delay_alu instid0(VALU_DEP_1) | instskip(NEXT) | instid1(VALU_DEP_1)
	v_add3_u32 v3, v4, v2, v3
	v_ashrrev_i32_e32 v4, 31, v3
	s_delay_alu instid0(VALU_DEP_1) | instskip(NEXT) | instid1(VALU_DEP_1)
	v_lshlrev_b64 v[3:4], 3, v[3:4]
	v_add_co_u32 v3, vcc_lo, s5, v3
	s_delay_alu instid0(VALU_DEP_2) | instskip(SKIP_4) | instid1(VALU_DEP_1)
	v_add_co_ci_u32_e32 v4, vcc_lo, s6, v4, vcc_lo
	global_load_b64 v[3:4], v[3:4], off
	s_waitcnt vmcnt(0)
	v_cvt_f16_f32_e32 v3, v3
	v_cvt_f16_f32_e32 v4, v4
	v_pack_b32_f16 v3, v3, v4
	v_mad_u32_u24 v4, v205, 44, v197
	s_delay_alu instid0(VALU_DEP_2) | instskip(NEXT) | instid1(VALU_DEP_2)
	v_pk_mul_f16 v3, v220, v3
	v_lshl_add_u32 v4, v4, 2, 0
	ds_store_b32 v4, v3 offset:128
.LBB9_478:
	s_or_b32 exec_lo, exec_lo, s0
	v_add_nc_u32_e32 v206, 48, v198
	s_mul_hi_u32 s7, s9, s7
	s_delay_alu instid0(VALU_DEP_1) | instskip(NEXT) | instid1(VALU_DEP_1)
	v_lshrrev_b32_e32 v3, 2, v206
	v_add_nc_u32_e32 v3, s1, v3
	s_delay_alu instid0(VALU_DEP_1) | instskip(SKIP_1) | instid1(SALU_CYCLE_1)
	v_cmp_le_i32_e32 vcc_lo, s44, v3
	s_or_b32 s0, vcc_lo, s8
	s_and_saveexec_b32 s8, s0
	s_delay_alu instid0(SALU_CYCLE_1)
	s_xor_b32 s0, exec_lo, s8
	s_cbranch_execz .LBB9_480
; %bb.479:
	v_mad_u32_u24 v1, v206, 44, v197
	v_mov_b32_e32 v2, 0
                                        ; implicit-def: $vgpr3
                                        ; implicit-def: $vgpr220
	s_delay_alu instid0(VALU_DEP_2)
	v_lshl_add_u32 v1, v1, 2, 0
	ds_store_b32 v1, v2 offset:128
                                        ; implicit-def: $vgpr1
                                        ; implicit-def: $vgpr2
.LBB9_480:
	s_or_saveexec_b32 s8, s0
	s_ashr_i32 s0, s2, 31
	s_xor_b32 exec_lo, exec_lo, s8
	s_cbranch_execz .LBB9_482
; %bb.481:
	v_mul_lo_u32 v3, v3, s65
	v_mul_lo_u32 v1, v1, s13
	s_delay_alu instid0(VALU_DEP_1) | instskip(NEXT) | instid1(VALU_DEP_1)
	v_add3_u32 v1, v1, v2, v3
	v_ashrrev_i32_e32 v2, 31, v1
	s_delay_alu instid0(VALU_DEP_1) | instskip(NEXT) | instid1(VALU_DEP_1)
	v_lshlrev_b64 v[1:2], 3, v[1:2]
	v_add_co_u32 v1, vcc_lo, s5, v1
	s_delay_alu instid0(VALU_DEP_2) | instskip(SKIP_4) | instid1(VALU_DEP_1)
	v_add_co_ci_u32_e32 v2, vcc_lo, s6, v2, vcc_lo
	global_load_b64 v[1:2], v[1:2], off
	s_waitcnt vmcnt(0)
	v_cvt_f16_f32_e32 v1, v1
	v_cvt_f16_f32_e32 v2, v2
	v_pack_b32_f16 v1, v1, v2
	v_mad_u32_u24 v2, v206, 44, v197
	s_delay_alu instid0(VALU_DEP_2) | instskip(NEXT) | instid1(VALU_DEP_2)
	v_pk_mul_f16 v1, v220, v1
	v_lshl_add_u32 v2, v2, 2, 0
	ds_store_b32 v2, v1 offset:128
.LBB9_482:
	s_or_b32 exec_lo, exec_lo, s8
	v_readlane_b32 s12, v255, 13
	s_mul_i32 s5, s2, s49
	s_mul_hi_u32 s6, s2, s48
	v_readlane_b32 s13, v255, 14
	s_add_i32 s5, s6, s5
	s_mul_i32 s6, s0, s48
	v_and_b32_e32 v208, 15, v179
	s_mul_i32 s8, s2, s48
	s_add_i32 s5, s5, s6
	s_add_u32 s6, s18, s8
	s_mul_i32 s8, s3, s13
	s_addc_u32 s5, s19, s5
	s_ashr_i32 s11, s8, 31
	s_mul_i32 s7, s7, s4
	v_mul_u32_u24_e32 v1, 0xb00, v201
	v_mul_u32_u24_e32 v172, 0xb0, v208
	s_add_u32 s13, s6, s8
	s_addc_u32 s14, s5, s11
	s_sub_i32 s5, s9, s7
	s_waitcnt lgkmcnt(0)
	s_waitcnt_vscnt null, 0x0
	s_sub_i32 s6, s5, s4
	s_cmp_ge_u32 s5, s4
	v_add3_u32 v1, 0, v1, v172
	s_cselect_b32 s5, s6, s5
	s_barrier
	s_sub_i32 s6, s5, s4
	s_cmp_ge_u32 s5, s4
	buffer_gl0_inv
	ds_load_b128 v[72:75], v1
	ds_load_b128 v[76:79], v1 offset:16
	ds_load_b128 v[64:67], v1 offset:32
	;; [unrolled: 1-line block ×9, first 2 shown]
	s_cselect_b32 s4, s6, s5
	v_add_nc_u32_e32 v171, -1, v0
	s_xor_b32 s4, s4, s0
	s_mul_i32 s3, s3, s51
	s_sub_i32 s4, s4, s0
	v_lshlrev_b32_e32 v0, 1, v179
	s_mul_i32 s5, s4, s61
	s_mul_hi_u32 s6, s4, s60
	s_ashr_i32 s7, s4, 31
	s_add_i32 s5, s6, s5
	s_mul_i32 s7, s7, s60
	s_mul_i32 s4, s4, s60
	s_add_i32 s5, s5, s7
	v_readlane_b32 s6, v255, 10
	v_readlane_b32 s7, v255, 11
	s_add_u32 s15, s22, s4
	s_addc_u32 s24, s23, s5
	v_cmp_lt_i32_e32 vcc_lo, s10, v171
	s_mul_hi_u32 s5, s2, s6
	s_mul_i32 s4, s2, s7
	s_mul_i32 s0, s0, s6
	s_add_i32 s4, s5, s4
	s_mul_i32 s2, s2, s6
	s_add_i32 s4, s4, s0
	s_add_u32 s0, s20, s2
	s_addc_u32 s2, s21, s4
	s_ashr_i32 s4, s3, 31
	s_add_u32 s11, s0, s3
	s_addc_u32 s12, s2, s4
	s_mov_b32 s0, 0
	s_movk_i32 s2, 0xb0
	s_and_b32 vcc_lo, exec_lo, vcc_lo
	s_mov_b32 s3, -1
	s_waitcnt lgkmcnt(0)
	s_barrier
	buffer_gl0_inv
	s_cbranch_vccnz .LBB9_484
; %bb.483:
	v_dual_mov_b32 v107, 0 :: v_dual_add_nc_u32 v2, s1, v190
	v_add_nc_u32_e32 v1, s1, v201
	v_add_nc_u32_e32 v7, s1, v196
	v_dual_mov_b32 v102, 32 :: v_dual_add_nc_u32 v3, s1, v202
	s_delay_alu instid0(VALU_DEP_4) | instskip(SKIP_1) | instid1(VALU_DEP_4)
	v_mul_hi_u32 v5, s54, v2
	v_mov_b32_e32 v96, v107
	v_mul_hi_u32 v8, s54, v7
	s_delay_alu instid0(VALU_DEP_4)
	v_mul_hi_u32 v6, s54, v3
	v_mul_lo_u32 v44, s52, v198
	v_mul_lo_u32 v169, s46, v198
	s_movk_i32 s3, 0x240
	v_mad_u32_u24 v98, v198, s2, 0xb00
	v_add_nc_u32_e32 v5, v2, v5
	s_movk_i32 s2, 0x1600
	v_add_nc_u32_e32 v8, v7, v8
	v_add_nc_u32_e32 v6, v3, v6
	v_mad_u32_u24 v91, 0x90, v201, s3
	v_lshrrev_b32_e32 v5, s55, v5
	s_movk_i32 s3, 0x6c0
	v_lshrrev_b32_e32 v8, s55, v8
	v_lshrrev_b32_e32 v6, s55, v6
	v_mad_u32_u24 v99, 0xb0, v198, s2
	v_mul_lo_u32 v5, v5, s44
	s_movk_i32 s2, 0x2100
	v_lshlrev_b32_e32 v209, 4, v201
	v_lshrrev_b32_e32 v9, 1, v179
	v_mad_u32_u24 v93, 0x90, v201, s3
	s_lshl_b32 s3, s52, 4
	v_mad_u32_u24 v105, 0xb0, v198, s2
	s_lshl_b32 s2, s46, 4
	v_sub_nc_u32_e32 v2, v2, v5
	v_mul_lo_u32 v6, v6, s44
	v_add_nc_u32_e32 v46, s3, v44
	v_add_nc_u32_e32 v187, s2, v169
	;; [unrolled: 1-line block ×3, first 2 shown]
	v_mad_i64_i32 v[40:41], null, v2, s56, 0
	v_mov_b32_e32 v2, v179
	v_mul_hi_u32 v4, s54, v1
	v_add_nc_u32_e32 v173, s3, v46
	v_add_nc_u32_e32 v189, s2, v187
	v_sub_nc_u32_e32 v3, v3, v6
	v_mul_lo_u32 v185, s52, v9
	v_mul_lo_u32 v215, s46, v9
	v_mbcnt_lo_u32_b32 v103, -1, 0
	v_lshrrev_b32_e32 v214, 4, v2
	v_add_nc_u32_e32 v4, v1, v4
	v_add_nc_u32_e32 v177, s2, v189
	v_mad_i64_i32 v[84:85], null, v3, s56, 0
	s_movk_i32 s4, 0x480
	s_delay_alu instid0(VALU_DEP_3)
	v_lshrrev_b32_e32 v4, s55, v4
	v_mul_u32_u24_e32 v90, 0x90, v201
	v_mad_u32_u24 v92, 0x90, v201, s4
	v_mul_u32_u24_e32 v94, 0xb0, v9
	v_ashrrev_i32_e32 v186, 31, v185
	v_mul_lo_u32 v4, v4, s44
	v_mul_u32_u24_e32 v97, 0xb0, v198
	v_ashrrev_i32_e32 v45, 31, v44
	v_ashrrev_i32_e32 v47, 31, v46
	;; [unrolled: 1-line block ×3, first 2 shown]
	v_xor_b32_e32 v161, 16, v103
	v_xor_b32_e32 v175, 1, v214
	v_ashrrev_i32_e32 v216, 31, v215
	v_sub_nc_u32_e32 v1, v1, v4
	v_mul_lo_u32 v4, v8, s44
	v_ashrrev_i32_e32 v170, 31, v169
	v_ashrrev_i32_e32 v188, 31, v187
	;; [unrolled: 1-line block ×3, first 2 shown]
	v_mad_i64_i32 v[211:212], null, v1, s56, 0
	v_ashrrev_i32_e32 v178, 31, v177
	v_or_b32_e32 v101, 0xb0, v208
	v_sub_nc_u32_e32 v1, v7, v4
	v_or_b32_e32 v163, 0x160, v208
	v_or_b32_e32 v164, 0x210, v208
	;; [unrolled: 1-line block ×4, first 2 shown]
	v_mad_i64_i32 v[108:109], null, v1, s56, 0
	v_lshlrev_b32_e32 v1, 2, v179
	v_add_nc_u32_e32 v179, s3, v173
	v_or_b32_e32 v168, 0x420, v208
	v_or_b32_e32 v167, 0x4d0, v208
	s_ashr_i32 s7, s52, 31
	v_and_or_b32 v106, v1, 4, 32
	v_and_b32_e32 v95, 28, v1
	v_and_or_b32 v1, v2, 12, v209
	v_ashrrev_i32_e32 v180, 31, v179
	s_ashr_i32 s5, s46, 31
	s_mov_b32 s2, 0xfeffffff
	s_mov_b32 s3, 0
	v_lshrrev_b32_e32 v1, 2, v1
	s_delay_alu instid0(VALU_DEP_1)
	v_mul_u32_u24_e32 v100, 0x90, v1
	s_branch .LBB9_485
.LBB9_484:
                                        ; implicit-def: $sgpr0
                                        ; implicit-def: $sgpr2
                                        ; implicit-def: $vgpr90
                                        ; implicit-def: $vgpr211_vgpr212
                                        ; implicit-def: $vgpr91
                                        ; implicit-def: $vgpr40_vgpr41
                                        ; implicit-def: $vgpr92
                                        ; implicit-def: $vgpr84_vgpr85
                                        ; implicit-def: $vgpr93
                                        ; implicit-def: $vgpr108_vgpr109
                                        ; implicit-def: $vgpr209
                                        ; implicit-def: $vgpr94
                                        ; implicit-def: $vgpr185_vgpr186
                                        ; implicit-def: $vgpr106
                                        ; implicit-def: $vgpr97
                                        ; implicit-def: $vgpr95
                                        ; implicit-def: $vgpr44_vgpr45
                                        ; implicit-def: $vgpr98
                                        ; implicit-def: $vgpr46_vgpr47
                                        ; implicit-def: $vgpr99
                                        ; implicit-def: $vgpr173_vgpr174
                                        ; implicit-def: $vgpr105
                                        ; implicit-def: $vgpr179_vgpr180
                                        ; implicit-def: $vgpr214
                                        ; implicit-def: $vgpr100
                                        ; implicit-def: $vgpr103
                                        ; implicit-def: $vgpr161
                                        ; implicit-def: $vgpr102
                                        ; implicit-def: $vgpr175_vgpr176
                                        ; implicit-def: $vgpr215_vgpr216
                                        ; implicit-def: $vgpr169_vgpr170
                                        ; implicit-def: $vgpr187_vgpr188
                                        ; implicit-def: $vgpr189_vgpr190
                                        ; implicit-def: $vgpr177_vgpr178
                                        ; implicit-def: $vgpr101
                                        ; implicit-def: $vgpr163
                                        ; implicit-def: $vgpr164
                                        ; implicit-def: $vgpr165
                                        ; implicit-def: $vgpr166
                                        ; implicit-def: $vgpr168
                                        ; implicit-def: $vgpr167
                                        ; implicit-def: $sgpr6_sgpr7
                                        ; implicit-def: $sgpr4_sgpr5
.LBB9_485:
	v_dual_mov_b32 v7, s0 :: v_dual_lshlrev_b32 v104, 1, v0
	v_dual_mov_b32 v213, s2 :: v_dual_mov_b32 v6, s0
	v_dual_mov_b32 v5, s0 :: v_dual_mov_b32 v4, s0
	v_dual_mov_b32 v3, s0 :: v_dual_mov_b32 v2, s0
	v_dual_mov_b32 v1, s0 :: v_dual_mov_b32 v0, s0
	v_dual_mov_b32 v15, s0 :: v_dual_mov_b32 v14, s0
	v_dual_mov_b32 v13, s0 :: v_dual_mov_b32 v12, s0
	v_dual_mov_b32 v11, s0 :: v_dual_mov_b32 v10, s0
	v_dual_mov_b32 v9, s0 :: v_dual_mov_b32 v8, s0
	v_dual_mov_b32 v23, s0 :: v_dual_mov_b32 v22, s0
	v_dual_mov_b32 v21, s0 :: v_dual_mov_b32 v20, s0
	v_dual_mov_b32 v19, s0 :: v_dual_mov_b32 v18, s0
	v_dual_mov_b32 v17, s0 :: v_dual_mov_b32 v16, s0
	v_dual_mov_b32 v39, s0 :: v_dual_mov_b32 v38, s0
	v_dual_mov_b32 v37, s0 :: v_dual_mov_b32 v36, s0
	v_dual_mov_b32 v35, s0 :: v_dual_mov_b32 v34, s0
	v_dual_mov_b32 v33, s0 :: v_dual_mov_b32 v32, s0
	v_dual_mov_b32 v31, s0 :: v_dual_mov_b32 v30, s0
	v_dual_mov_b32 v29, s0 :: v_dual_mov_b32 v28, s0
	v_dual_mov_b32 v27, s0 :: v_dual_mov_b32 v26, s0
	v_dual_mov_b32 v25, s0 :: v_dual_mov_b32 v24, s0
	v_mov_b32_e32 v204, s0
	s_and_not1_b32 vcc_lo, exec_lo, s3
	s_cbranch_vccnz .LBB9_489
; %bb.486:
	s_clause 0x6
	scratch_store_b32 off, v207, off offset:96
	scratch_store_b32 off, v206, off offset:92
	;; [unrolled: 1-line block ×7, first 2 shown]
	s_clause 0x1
	scratch_load_b32 v1, off, off offset:244
	scratch_load_b64 v[9:10], off, off offset:368
	v_dual_mov_b32 v213, 0xfeffffff :: v_dual_add_nc_u32 v2, s1, v202
	v_dual_mov_b32 v81, 0 :: v_dual_add_nc_u32 v0, s1, v201
	v_add_co_u32 v7, s0, s15, v104
	s_delay_alu instid0(VALU_DEP_3) | instskip(NEXT) | instid1(VALU_DEP_3)
	v_mul_hi_u32 v6, s54, v2
	v_mul_hi_u32 v4, s54, v0
	s_delay_alu instid0(VALU_DEP_4)
	v_dual_mov_b32 v204, v81 :: v_dual_lshlrev_b32 v11, 4, v201
	v_mov_b32_e32 v27, v81
	v_mov_b32_e32 v25, v81
	v_mul_lo_u32 v44, s52, v198
	v_mul_lo_u32 v169, s46, v198
	v_add_nc_u32_e32 v6, v2, v6
	v_add_nc_u32_e32 v4, v0, v4
	;; [unrolled: 1-line block ×3, first 2 shown]
	v_mul_u32_u24_e32 v12, 0x90, v201
	v_mov_b32_e32 v14, v81
	v_lshrrev_b32_e32 v6, s55, v6
	v_lshrrev_b32_e32 v4, s55, v4
	v_ashrrev_i32_e32 v45, 31, v44
	v_ashrrev_i32_e32 v170, 31, v169
	v_mov_b32_e32 v15, v81
	v_mul_lo_u32 v6, v6, s44
	v_mul_lo_u32 v4, v4, s44
	s_mov_b32 s16, 0
	s_ashr_i32 s7, s52, 31
	s_ashr_i32 s5, s46, 31
	s_lshl_b32 s8, s10, 6
	s_mov_b32 s17, s16
	s_mov_b32 s18, s16
	v_sub_nc_u32_e32 v2, v2, v6
	v_mul_u32_u24_e32 v6, 0xb0, v198
	scratch_store_b32 off, v7, off offset:4 ; 4-byte Folded Spill
	v_add_co_ci_u32_e64 v7, null, s24, 0, s0
	s_movk_i32 s0, 0x240
	v_sub_nc_u32_e32 v0, v0, v4
	v_mad_u32_u24 v13, 0x90, v201, s0
	scratch_store_b32 off, v7, off offset:12 ; 4-byte Folded Spill
	v_add_nc_u32_e32 v7, s1, v196
	s_movk_i32 s0, 0x6c0
	v_mad_i64_i32 v[211:212], null, v0, s56, 0
	v_mad_i64_i32 v[84:85], null, v2, s56, 0
	s_delay_alu instid0(VALU_DEP_3) | instskip(SKIP_3) | instid1(SALU_CYCLE_1)
	v_mul_hi_u32 v8, s54, v7
	v_mov_b32_e32 v29, v81
	v_mad_u32_u24 v2, 0x90, v201, s0
	s_lshl_b32 s0, s52, 4
	v_dual_mov_b32 v37, v81 :: v_dual_add_nc_u32 v46, s0, v44
	v_mov_b32_e32 v30, v81
	v_mov_b32_e32 v36, v81
	v_add_nc_u32_e32 v8, v7, v8
	s_delay_alu instid0(VALU_DEP_4) | instskip(SKIP_2) | instid1(VALU_DEP_4)
	v_dual_mov_b32 v38, v81 :: v_dual_add_nc_u32 v173, s0, v46
	v_ashrrev_i32_e32 v47, 31, v46
	v_mov_b32_e32 v34, v81
	v_lshrrev_b32_e32 v4, s55, v8
	s_delay_alu instid0(VALU_DEP_4) | instskip(SKIP_2) | instid1(VALU_DEP_3)
	v_dual_mov_b32 v8, v81 :: v_dual_add_nc_u32 v179, s0, v173
	s_lshl_b32 s0, s46, 4
	v_ashrrev_i32_e32 v174, 31, v173
	v_mul_lo_u32 v0, v4, s44
	v_add_nc_u32_e32 v187, s0, v169
	v_ashrrev_i32_e32 v180, 31, v179
	v_mov_b32_e32 v16, v81
	s_mov_b32 s19, s16
	s_mov_b32 s20, s16
	v_add_nc_u32_e32 v189, s0, v187
	v_ashrrev_i32_e32 v188, 31, v187
	v_sub_nc_u32_e32 v0, v7, v0
	s_mov_b32 s21, s16
	s_mov_b32 s22, s16
	v_add_nc_u32_e32 v177, s0, v189
	v_ashrrev_i32_e32 v190, 31, v189
	v_mad_i64_i32 v[108:109], null, v0, s56, 0
	s_mov_b32 s23, s16
	s_delay_alu instid0(VALU_DEP_3)
	v_ashrrev_i32_e32 v178, 31, v177
	v_mov_b32_e32 v24, v81
	v_mov_b32_e32 v31, v81
	;; [unrolled: 1-line block ×15, first 2 shown]
	s_waitcnt vmcnt(0)
	v_dual_mov_b32 v10, v9 :: v_dual_add_nc_u32 v1, s1, v1
	s_movk_i32 s1, 0x480
	s_delay_alu instid0(VALU_DEP_1) | instskip(NEXT) | instid1(VALU_DEP_2)
	v_mul_hi_u32 v5, s54, v1
	v_lshrrev_b32_e32 v9, 1, v10
	v_lshrrev_b32_e32 v214, 4, v10
	s_delay_alu instid0(VALU_DEP_1) | instskip(NEXT) | instid1(VALU_DEP_4)
	v_xor_b32_e32 v175, 1, v214
	v_add_nc_u32_e32 v5, v1, v5
	s_delay_alu instid0(VALU_DEP_1) | instskip(NEXT) | instid1(VALU_DEP_1)
	v_lshrrev_b32_e32 v5, s55, v5
	v_mul_lo_u32 v5, v5, s44
	s_delay_alu instid0(VALU_DEP_1) | instskip(NEXT) | instid1(VALU_DEP_1)
	v_sub_nc_u32_e32 v1, v1, v5
	v_mad_i64_i32 v[40:41], null, v1, s56, 0
	v_mad_u32_u24 v1, 0x90, v201, s1
	scratch_store_b32 off, v13, off offset:148 ; 4-byte Folded Spill
	s_movk_i32 s1, 0xb00
	v_mov_b32_e32 v13, v81
	scratch_store_b32 off, v1, off offset:152 ; 4-byte Folded Spill
	v_add_nc_u32_e32 v1, v11, v9
	v_mov_b32_e32 v9, v81
	s_delay_alu instid0(VALU_DEP_2)
	v_mul_u32_u24_e32 v0, 0xb0, v1
	scratch_store_b32 off, v2, off offset:156 ; 4-byte Folded Spill
	v_lshlrev_b32_e32 v2, 2, v10
	v_mad_u32_u24 v4, 0xb0, v1, 0
	v_mul_lo_u32 v185, s52, v1
	scratch_store_b32 off, v0, off offset:160 ; 4-byte Folded Spill
	v_mul_lo_u32 v215, s46, v1
	v_and_b32_e32 v0, 4, v2
	v_and_b32_e32 v7, 28, v2
	v_or_b32_e32 v1, 0xb0, v208
	s_delay_alu instid0(VALU_DEP_3) | instskip(NEXT) | instid1(VALU_DEP_3)
	v_lshlrev_b32_e32 v2, 2, v0
	v_lshlrev_b32_e32 v5, 2, v7
	v_or_b32_e32 v80, 32, v0
	v_lshlrev_b32_e32 v0, 2, v0
	v_ashrrev_i32_e32 v186, 31, v185
	v_add3_u32 v2, v4, v2, 0x80
	scratch_store_b32 off, v104, off offset:208 ; 4-byte Folded Spill
	v_add3_u32 v5, 0, v6, v5
	v_ashrrev_i32_e32 v216, 31, v215
	v_lshlrev_b32_e32 v206, 2, v7
	scratch_store_b32 off, v2, off offset:20 ; 4-byte Folded Spill
	v_mad_u32_u24 v2, 0xb0, v198, s1
	scratch_store_b32 off, v6, off offset:172 ; 4-byte Folded Spill
	s_movk_i32 s1, 0x1600
	v_add_nc_u32_e32 v4, 0x1600, v5
	scratch_store_b32 off, v2, off offset:180 ; 4-byte Folded Spill
	v_add_nc_u32_e32 v2, 0xb00, v5
	scratch_store_b32 off, v2, off offset:36 ; 4-byte Folded Spill
	v_mad_u32_u24 v2, 0xb0, v198, s1
	s_clause 0x1
	scratch_store_b32 off, v2, off offset:188
	scratch_store_b32 off, v11, off offset:104
	v_and_or_b32 v2, v10, 12, v11
	s_clause 0x1
	scratch_store_b32 off, v4, off offset:44
	scratch_store_b32 off, v5, off offset:28
	v_add_nc_u32_e32 v5, 0x2100, v5
	s_movk_i32 s1, 0x2100
	v_lshrrev_b32_e32 v2, 2, v2
	v_mad_u32_u24 v4, 0xb0, v198, s1
	v_mov_b32_e32 v10, v81
	scratch_store_b32 off, v5, off offset:52 ; 4-byte Folded Spill
	v_mov_b32_e32 v11, v81
	v_mul_u32_u24_e32 v6, 0x90, v2
	v_lshlrev_b32_e32 v2, 1, v214
	s_delay_alu instid0(VALU_DEP_1)
	v_add3_u32 v237, 0, v6, v2
	v_or_b32_e32 v2, 0x2c0, v208
	scratch_store_b32 off, v1, off offset:108 ; 4-byte Folded Spill
	v_or_b32_e32 v1, 0x160, v208
	s_clause 0x2
	scratch_store_b32 off, v198, off offset:76
	scratch_store_b32 off, v6, off offset:144
	;; [unrolled: 1-line block ×3, first 2 shown]
	v_or_b32_e32 v2, 0x370, v208
	s_clause 0x1
	scratch_store_b32 off, v1, off offset:112
	scratch_store_b32 off, v4, off offset:196
	v_mbcnt_lo_u32_b32 v4, -1, 0
	v_or_b32_e32 v1, 0x210, v208
	scratch_store_b32 off, v2, off offset:124 ; 4-byte Folded Spill
	v_or_b32_e32 v2, 0x420, v208
	v_mov_b32_e32 v6, v81
	v_xor_b32_e32 v5, 16, v4
	scratch_store_b32 off, v1, off offset:116 ; 4-byte Folded Spill
	v_lshlrev_b32_e32 v1, 1, v208
	v_cmp_gt_i32_e32 vcc_lo, 32, v5
	s_clause 0x2
	scratch_store_b32 off, v5, off offset:136
	scratch_store_b32 off, v2, off offset:132
	;; [unrolled: 1-line block ×3, first 2 shown]
	v_or_b32_e32 v2, 0x4d0, v208
	v_add_nc_u32_e32 v239, 0, v1
	v_cndmask_b32_e32 v4, v4, v5, vcc_lo
	v_add3_u32 v240, 0, 0xb00, v1
	v_add3_u32 v241, 0, 0x1600, v1
	;; [unrolled: 1-line block ×19, first 2 shown]
	v_add_nc_u32_e32 v1, v3, v12
	v_lshlrev_b32_e32 v238, 2, v4
	s_clause 0x1
	scratch_store_b32 off, v2, off offset:128
	scratch_store_b32 off, v12, off offset:140
	v_mov_b32_e32 v12, v81
	s_clause 0x2
	scratch_store_b32 off, v1, off offset:60
	scratch_store_b32 off, v0, off offset:64
	scratch_store_b64 off, v[7:8], off offset:164
	v_mov_b32_e32 v0, v81
	v_mov_b32_e32 v1, v81
	;; [unrolled: 1-line block ×7, first 2 shown]
	scratch_store_b64 off, v[80:81], off offset:200 ; 8-byte Folded Spill
.LBB9_487:                              ; =>This Inner Loop Header: Depth=1
	scratch_load_b32 v42, off, off offset:4 ; 4-byte Folded Reload
	s_ashr_i32 s9, s8, 31
	v_lshlrev_b64 v[80:81], 1, v[211:212]
	s_lshl_b64 s[0:1], s[8:9], 1
	v_dual_mov_b32 v208, v85 :: v_dual_mov_b32 v207, v84
	v_lshlrev_b64 v[82:83], 1, v[40:41]
	v_lshlrev_b64 v[86:87], 1, v[108:109]
	v_add_nc_u32_e32 v136, 0, v172
	v_mov_b32_e32 v210, v109
	v_lshlrev_b64 v[84:85], 1, v[207:208]
	v_mov_b32_e32 v209, v108
	v_cmp_eq_u32_e64 s2, 0, v214
	v_dual_mov_b32 v161, v185 :: v_dual_mov_b32 v162, v186
	v_dual_mov_b32 v119, s23 :: v_dual_mov_b32 v118, s22
	v_mov_b32_e32 v113, s17
	v_dual_mov_b32 v115, s19 :: v_dual_mov_b32 v114, s18
	v_dual_mov_b32 v112, s16 :: v_dual_mov_b32 v117, s21
	v_mov_b32_e32 v226, v175
	s_waitcnt vmcnt(0)
	v_add_co_u32 v88, vcc_lo, v42, s0
	scratch_load_b32 v42, off, off offset:12 ; 4-byte Folded Reload
	s_mul_i32 s0, s8, s52
	s_waitcnt vmcnt(0)
	v_add_co_ci_u32_e32 v89, vcc_lo, s1, v42, vcc_lo
	v_add_co_u32 v80, vcc_lo, v88, v80
	s_mul_hi_i32 s1, s8, s52
	s_delay_alu instid0(VALU_DEP_2)
	v_add_co_ci_u32_e32 v81, vcc_lo, v89, v81, vcc_lo
	v_add_co_u32 v82, vcc_lo, v88, v82
	v_add_co_ci_u32_e32 v83, vcc_lo, v89, v83, vcc_lo
	v_add_co_u32 v84, vcc_lo, v88, v84
	;; [unrolled: 2-line block ×3, first 2 shown]
	v_add_co_ci_u32_e32 v87, vcc_lo, v89, v87, vcc_lo
	s_clause 0x3
	global_load_b32 v80, v[80:81], off
	global_load_b32 v81, v[82:83], off
	;; [unrolled: 1-line block ×4, first 2 shown]
	s_clause 0x1
	scratch_load_b32 v42, off, off offset:60
	scratch_load_b32 v145, off, off offset:64
	s_lshl_b64 s[0:1], s[0:1], 2
	s_delay_alu instid0(SALU_CYCLE_1)
	s_add_u32 s0, s13, s0
	s_addc_u32 s1, s14, s1
	s_waitcnt vmcnt(1)
	v_add_nc_u32_e32 v84, 0x2c00, v42
	ds_store_2addr_b32 v84, v80, v81 offset1:144
	v_add_nc_u32_e32 v80, 0x3000, v42
	v_dual_mov_b32 v42, v179 :: v_dual_mov_b32 v43, v180
	ds_store_2addr_b32 v80, v82, v83 offset0:32 offset1:176
	v_lshlrev_b64 v[80:81], 2, v[185:186]
	s_delay_alu instid0(VALU_DEP_1) | instskip(NEXT) | instid1(VALU_DEP_2)
	v_add_co_u32 v82, vcc_lo, s0, v80
	v_add_co_ci_u32_e32 v83, vcc_lo, s1, v81, vcc_lo
	v_lshlrev_b64 v[80:81], 2, v[44:45]
	s_delay_alu instid0(VALU_DEP_1) | instskip(NEXT) | instid1(VALU_DEP_2)
	v_add_co_u32 v84, vcc_lo, s0, v80
	v_add_co_ci_u32_e32 v85, vcc_lo, s1, v81, vcc_lo
	s_waitcnt vmcnt(0)
	v_add_co_u32 v80, vcc_lo, v82, v145
	v_add_co_ci_u32_e32 v81, vcc_lo, 0, v83, vcc_lo
	v_add_co_u32 v84, vcc_lo, v84, v206
	v_add_co_ci_u32_e32 v85, vcc_lo, 0, v85, vcc_lo
	s_clause 0x1
	global_load_b128 v[80:83], v[80:81], off offset:128
	global_load_b128 v[84:87], v[84:85], off
	scratch_load_b32 v137, off, off offset:20 ; 4-byte Folded Reload
	s_waitcnt vmcnt(0)
	ds_store_b128 v137, v[80:83]
	v_lshlrev_b64 v[80:81], 2, v[46:47]
	s_delay_alu instid0(VALU_DEP_1) | instskip(NEXT) | instid1(VALU_DEP_2)
	v_add_co_u32 v82, vcc_lo, s0, v80
	v_add_co_ci_u32_e32 v83, vcc_lo, s1, v81, vcc_lo
	v_lshlrev_b64 v[80:81], 2, v[173:174]
	s_delay_alu instid0(VALU_DEP_1) | instskip(NEXT) | instid1(VALU_DEP_2)
	v_add_co_u32 v88, vcc_lo, s0, v80
	v_add_co_ci_u32_e32 v89, vcc_lo, s1, v81, vcc_lo
	v_add_co_u32 v80, vcc_lo, v82, v206
	v_add_co_ci_u32_e32 v81, vcc_lo, 0, v83, vcc_lo
	s_delay_alu instid0(VALU_DEP_4) | instskip(NEXT) | instid1(VALU_DEP_4)
	v_add_co_u32 v88, vcc_lo, v88, v206
	v_add_co_ci_u32_e32 v89, vcc_lo, 0, v89, vcc_lo
	s_clause 0x1
	global_load_b128 v[80:83], v[80:81], off
	global_load_b128 v[88:91], v[88:89], off
	s_clause 0x1
	scratch_load_b32 v138, off, off offset:28
	scratch_load_b32 v139, off, off offset:36
	s_waitcnt vmcnt(1)
	ds_store_b128 v138, v[84:87]
	s_waitcnt vmcnt(0)
	ds_store_b128 v139, v[80:83]
	v_lshlrev_b64 v[80:81], 2, v[179:180]
	v_mov_b32_e32 v179, v217
	v_mov_b32_e32 v181, v219
	;; [unrolled: 1-line block ×4, first 2 shown]
	v_add_co_u32 v80, vcc_lo, s0, v80
	v_add_co_ci_u32_e32 v81, vcc_lo, s1, v81, vcc_lo
	s_mul_hi_i32 s1, s8, s46
	s_delay_alu instid0(VALU_DEP_2) | instskip(NEXT) | instid1(VALU_DEP_2)
	v_add_co_u32 v80, vcc_lo, v80, v206
	v_add_co_ci_u32_e32 v81, vcc_lo, 0, v81, vcc_lo
	global_load_b128 v[80:83], v[80:81], off
	s_clause 0x1
	scratch_load_b32 v140, off, off offset:44
	scratch_load_b32 v141, off, off offset:52
	s_mul_i32 s0, s8, s46
	s_delay_alu instid0(SALU_CYCLE_1) | instskip(NEXT) | instid1(SALU_CYCLE_1)
	s_lshl_b64 s[0:1], s[0:1], 2
	s_add_u32 s0, s11, s0
	s_addc_u32 s1, s12, s1
	s_add_i32 s10, s10, 1
	s_add_i32 s8, s8, 64
	s_waitcnt vmcnt(1)
	ds_store_b128 v140, v[88:91]
	s_waitcnt vmcnt(0)
	ds_store_b128 v141, v[80:83]
	s_waitcnt lgkmcnt(0)
	s_waitcnt_vscnt null, 0x0
	s_barrier
	buffer_gl0_inv
	ds_load_b128 v[80:83], v136
	ds_load_b128 v[84:87], v136 offset:16
	ds_load_b128 v[88:91], v136 offset:2816
	ds_load_b128 v[92:95], v136 offset:2832
	ds_load_b128 v[96:99], v136 offset:5632
	ds_load_b128 v[100:103], v136 offset:5648
	ds_load_b128 v[104:107], v136 offset:8448
	ds_load_b128 v[108:111], v136 offset:8464
	v_mov_b32_e32 v116, s20
	s_waitcnt lgkmcnt(6)
	s_delay_alu instid0(VALU_DEP_1)
	v_wmma_f32_16x16x16_f16 v[120:127], v[80:87], v[72:79], v[112:119]
	ds_load_b128 v[80:83], v136 offset:32
	ds_load_b128 v[84:87], v136 offset:48
	s_waitcnt lgkmcnt(6)
	v_wmma_f32_16x16x16_f16 v[128:135], v[88:95], v[72:79], v[112:119]
	s_waitcnt lgkmcnt(4)
	v_wmma_f32_16x16x16_f16 v[88:95], v[96:103], v[72:79], v[112:119]
	;; [unrolled: 2-line block ×4, first 2 shown]
	ds_load_b128 v[80:83], v136 offset:2848
	ds_load_b128 v[84:87], v136 offset:2864
	s_waitcnt lgkmcnt(0)
	v_wmma_f32_16x16x16_f16 v[128:135], v[80:87], v[64:71], v[128:135]
	ds_load_b128 v[80:83], v136 offset:5664
	ds_load_b128 v[84:87], v136 offset:5680
	s_waitcnt lgkmcnt(0)
	v_wmma_f32_16x16x16_f16 v[88:95], v[80:87], v[64:71], v[88:95]
	ds_load_b128 v[80:83], v136 offset:8480
	ds_load_b128 v[84:87], v136 offset:8496
	s_waitcnt lgkmcnt(0)
	v_wmma_f32_16x16x16_f16 v[96:103], v[80:87], v[64:71], v[96:103]
	ds_load_b128 v[80:83], v136 offset:64
	ds_load_b128 v[84:87], v136 offset:80
	s_waitcnt lgkmcnt(0)
	v_wmma_f32_16x16x16_f16 v[120:127], v[80:87], v[217:224], v[120:127]
	ds_load_b128 v[80:83], v136 offset:2880
	ds_load_b128 v[84:87], v136 offset:2896
	s_waitcnt lgkmcnt(0)
	v_wmma_f32_16x16x16_f16 v[128:135], v[80:87], v[217:224], v[128:135]
	ds_load_b128 v[80:83], v136 offset:5696
	ds_load_b128 v[84:87], v136 offset:5712
	s_waitcnt lgkmcnt(0)
	v_wmma_f32_16x16x16_f16 v[88:95], v[80:87], v[217:224], v[88:95]
	ds_load_b128 v[80:83], v136 offset:8512
	ds_load_b128 v[84:87], v136 offset:8528
	s_waitcnt lgkmcnt(0)
	v_wmma_f32_16x16x16_f16 v[96:103], v[80:87], v[217:224], v[96:103]
	ds_load_b128 v[80:83], v136 offset:96
	ds_load_b128 v[84:87], v136 offset:112
	s_waitcnt lgkmcnt(0)
	v_wmma_f32_16x16x16_f16 v[120:127], v[80:87], v[48:55], v[120:127]
	ds_load_b128 v[80:83], v136 offset:2912
	ds_load_b128 v[84:87], v136 offset:2928
	s_waitcnt lgkmcnt(0)
	v_wmma_f32_16x16x16_f16 v[128:135], v[80:87], v[48:55], v[128:135]
	ds_load_b128 v[80:83], v136 offset:5728
	ds_load_b128 v[84:87], v136 offset:5744
	s_waitcnt lgkmcnt(0)
	v_wmma_f32_16x16x16_f16 v[88:95], v[80:87], v[48:55], v[88:95]
	ds_load_b128 v[80:83], v136 offset:8544
	ds_load_b128 v[84:87], v136 offset:8560
	s_waitcnt lgkmcnt(0)
	v_wmma_f32_16x16x16_f16 v[96:103], v[80:87], v[48:55], v[96:103]
	ds_load_b128 v[80:83], v136 offset:128
	ds_load_b128 v[84:87], v136 offset:144
	s_waitcnt lgkmcnt(0)
	v_wmma_f32_16x16x16_f16 v[120:127], v[80:87], v[56:63], v[120:127]
	ds_load_b128 v[80:83], v136 offset:2944
	ds_load_b128 v[84:87], v136 offset:2960
	s_waitcnt lgkmcnt(0)
	v_wmma_f32_16x16x16_f16 v[128:135], v[80:87], v[56:63], v[128:135]
	ds_load_b128 v[80:83], v136 offset:5760
	ds_load_b128 v[84:87], v136 offset:5776
	s_waitcnt lgkmcnt(0)
	v_wmma_f32_16x16x16_f16 v[88:95], v[80:87], v[56:63], v[88:95]
	ds_load_b128 v[80:83], v136 offset:8576
	ds_load_b128 v[84:87], v136 offset:8592
	s_waitcnt lgkmcnt(0)
	s_barrier
	buffer_gl0_inv
	v_wmma_f32_16x16x16_f16 v[96:103], v[80:87], v[56:63], v[96:103]
	ds_load_u16 v80, v237 offset:11264
	ds_load_u16 v81, v237 offset:11268
	;; [unrolled: 1-line block ×8, first 2 shown]
	v_mov_b32_e32 v180, v218
	v_mov_b32_e32 v182, v220
	;; [unrolled: 1-line block ×4, first 2 shown]
	s_waitcnt lgkmcnt(7)
	v_cvt_f32_f16_e32 v80, v80
	s_waitcnt lgkmcnt(6)
	v_cvt_f32_f16_e32 v81, v81
	;; [unrolled: 2-line block ×6, first 2 shown]
	v_add_f32_e32 v105, v121, v81
	s_waitcnt lgkmcnt(0)
	v_cvt_f32_f16_e32 v87, v87
	v_add_f32_e32 v104, v120, v80
	ds_load_u16 v80, v237 offset:11296
	ds_load_u16 v81, v237 offset:11300
	;; [unrolled: 1-line block ×8, first 2 shown]
	v_cvt_f32_f16_e32 v86, v86
	v_add_f32_e32 v83, v123, v83
	v_add_f32_e32 v87, v127, v87
	;; [unrolled: 1-line block ×3, first 2 shown]
	s_waitcnt lgkmcnt(7)
	v_cvt_f32_f16_e32 v80, v80
	s_waitcnt lgkmcnt(6)
	v_cvt_f32_f16_e32 v81, v81
	s_waitcnt lgkmcnt(5)
	v_cvt_f32_f16_e32 v106, v106
	s_waitcnt lgkmcnt(4)
	v_cvt_f32_f16_e32 v107, v107
	s_waitcnt lgkmcnt(3)
	v_cvt_f32_f16_e32 v108, v108
	s_waitcnt lgkmcnt(2)
	v_cvt_f32_f16_e32 v109, v109
	s_waitcnt lgkmcnt(1)
	v_cvt_f32_f16_e32 v110, v110
	s_waitcnt lgkmcnt(0)
	v_cvt_f32_f16_e32 v111, v111
	v_dual_add_f32 v82, v122, v82 :: v_dual_add_f32 v147, v128, v80
	v_dual_add_f32 v84, v124, v84 :: v_dual_add_f32 v143, v131, v107
	;; [unrolled: 1-line block ×3, first 2 shown]
	v_add_f32_e32 v148, v129, v81
	v_add_f32_e32 v144, v130, v106
	;; [unrolled: 1-line block ×5, first 2 shown]
	ds_load_u16 v80, v237 offset:11328
	ds_load_u16 v81, v237 offset:11332
	ds_load_u16 v106, v237 offset:11336
	ds_load_u16 v107, v237 offset:11340
	ds_load_u16 v108, v237 offset:11344
	ds_load_u16 v109, v237 offset:11348
	ds_load_u16 v110, v237 offset:11352
	ds_load_u16 v111, v237 offset:11356
	s_waitcnt lgkmcnt(7)
	v_cvt_f32_f16_e32 v80, v80
	s_waitcnt lgkmcnt(6)
	v_cvt_f32_f16_e32 v81, v81
	;; [unrolled: 2-line block ×7, first 2 shown]
	v_dual_add_f32 v223, v90, v106 :: v_dual_add_f32 v192, v88, v80
	v_dual_add_f32 v194, v89, v81 :: v_dual_add_f32 v233, v92, v108
	v_add_f32_e32 v220, v91, v107
	v_add_f32_e32 v156, v93, v109
	ds_load_u16 v80, v237 offset:11360
	ds_load_u16 v81, v237 offset:11364
	;; [unrolled: 1-line block ×8, first 2 shown]
	s_waitcnt lgkmcnt(8)
	v_cvt_f32_f16_e32 v111, v111
	s_delay_alu instid0(VALU_DEP_1)
	v_dual_add_f32 v155, v94, v110 :: v_dual_add_f32 v154, v95, v111
	s_waitcnt lgkmcnt(7)
	v_cvt_f32_f16_e32 v80, v80
	s_waitcnt lgkmcnt(6)
	v_cvt_f32_f16_e32 v81, v81
	;; [unrolled: 2-line block ×5, first 2 shown]
	v_add_f32_e32 v205, v96, v80
	v_add_f32_e32 v157, v97, v81
	v_lshlrev_b64 v[80:81], 2, v[215:216]
	v_add_f32_e32 v201, v98, v88
	v_add_f32_e32 v217, v99, v89
	s_waitcnt lgkmcnt(2)
	v_cvt_f32_f16_e32 v91, v91
	v_add_f32_e32 v227, v100, v90
	s_waitcnt lgkmcnt(1)
	v_cvt_f32_f16_e32 v92, v92
	v_add_co_u32 v88, vcc_lo, s0, v80
	v_add_co_ci_u32_e32 v89, vcc_lo, s1, v81, vcc_lo
	v_lshlrev_b64 v[80:81], 2, v[169:170]
	s_waitcnt lgkmcnt(0)
	v_cvt_f32_f16_e32 v93, v93
	v_dual_add_f32 v159, v101, v91 :: v_dual_add_f32 v158, v102, v92
	s_delay_alu instid0(VALU_DEP_3) | instskip(NEXT) | instid1(VALU_DEP_4)
	v_add_co_u32 v90, vcc_lo, s0, v80
	v_add_co_ci_u32_e32 v91, vcc_lo, s1, v81, vcc_lo
	v_add_co_u32 v80, vcc_lo, v88, v145
	v_add_co_ci_u32_e32 v81, vcc_lo, 0, v89, vcc_lo
	v_add_f32_e32 v100, v103, v93
	v_add_co_u32 v92, vcc_lo, v90, v206
	v_add_co_ci_u32_e32 v93, vcc_lo, 0, v91, vcc_lo
	scratch_store_b32 off, v100, off        ; 4-byte Folded Spill
	s_clause 0x1
	global_load_b128 v[88:91], v[80:81], off offset:128
	global_load_b128 v[92:95], v[92:93], off
	v_lshlrev_b64 v[80:81], 2, v[187:188]
	s_waitcnt vmcnt(1)
	ds_store_b128 v137, v[88:91]
	v_add_co_u32 v88, vcc_lo, s0, v80
	v_add_co_ci_u32_e32 v89, vcc_lo, s1, v81, vcc_lo
	v_lshlrev_b64 v[80:81], 2, v[189:190]
	s_delay_alu instid0(VALU_DEP_1) | instskip(NEXT) | instid1(VALU_DEP_2)
	v_add_co_u32 v90, vcc_lo, s0, v80
	v_add_co_ci_u32_e32 v91, vcc_lo, s1, v81, vcc_lo
	v_add_co_u32 v80, vcc_lo, v88, v206
	v_add_co_ci_u32_e32 v81, vcc_lo, 0, v89, vcc_lo
	s_delay_alu instid0(VALU_DEP_4) | instskip(NEXT) | instid1(VALU_DEP_4)
	v_add_co_u32 v96, vcc_lo, v90, v206
	v_add_co_ci_u32_e32 v97, vcc_lo, 0, v91, vcc_lo
	s_clause 0x1
	global_load_b128 v[88:91], v[80:81], off
	global_load_b128 v[96:99], v[96:97], off
	v_lshlrev_b64 v[80:81], 2, v[177:178]
	s_waitcnt vmcnt(2)
	ds_store_b128 v138, v[92:95]
	s_waitcnt vmcnt(1)
	ds_store_b128 v139, v[88:91]
	v_add_co_u32 v80, vcc_lo, s0, v80
	v_add_co_ci_u32_e32 v81, vcc_lo, s1, v81, vcc_lo
	v_cmp_eq_u32_e64 s1, 1, v214
	s_delay_alu instid0(VALU_DEP_3) | instskip(NEXT) | instid1(VALU_DEP_3)
	v_add_co_u32 v80, vcc_lo, v80, v206
	v_add_co_ci_u32_e32 v81, vcc_lo, 0, v81, vcc_lo
	global_load_b128 v[88:91], v[80:81], off
	s_waitcnt vmcnt(1)
	ds_store_b128 v140, v[96:99]
	s_waitcnt vmcnt(0)
	ds_store_b128 v141, v[88:91]
	v_dual_add_f32 v89, 0x40051340, v83 :: v_dual_mov_b32 v88, v213
	v_dual_add_f32 v80, 0x40051340, v104 :: v_dual_add_f32 v81, 0x40051340, v105
	s_waitcnt lgkmcnt(0)
	s_waitcnt_vscnt null, 0x0
	s_barrier
	buffer_gl0_inv
	v_max3_f32 v80, v88, v80, v81
	v_add_f32_e32 v81, 0x40051340, v82
	s_delay_alu instid0(VALU_DEP_1) | instskip(SKIP_2) | instid1(VALU_DEP_1)
	v_max3_f32 v80, v80, v81, v89
	v_add_f32_e32 v89, 0x40051340, v85
	v_add_f32_e32 v81, 0x40051340, v84
	v_max3_f32 v80, v80, v81, v89
	v_add_f32_e32 v81, 0x40051340, v86
	v_add_f32_e32 v89, 0x40051340, v87
	s_delay_alu instid0(VALU_DEP_1) | instskip(SKIP_2) | instid1(VALU_DEP_1)
	v_max3_f32 v80, v80, v81, v89
	v_add_f32_e32 v81, 0x40051340, v147
	v_add_f32_e32 v89, 0x40051340, v148
	v_max3_f32 v80, v80, v81, v89
	v_add_f32_e32 v81, 0x40051340, v144
	;; [unrolled: 7-line block ×7, first 2 shown]
	v_add_f32_e32 v89, 0x40051340, v100
	s_delay_alu instid0(VALU_DEP_1) | instskip(SKIP_3) | instid1(VALU_DEP_1)
	v_max3_f32 v80, v80, v81, v89
	ds_bpermute_b32 v81, v238, v80
	s_waitcnt lgkmcnt(0)
	v_max_f32_e32 v81, v81, v81
	v_max_f32_e32 v213, v80, v81
	s_delay_alu instid0(VALU_DEP_1) | instskip(SKIP_1) | instid1(VALU_DEP_2)
	v_sub_f32_e32 v80, v105, v213
	v_sub_f32_e32 v83, v83, v213
	v_dual_sub_f32 v82, v82, v213 :: v_dual_mul_f32 v81, 0x3fb8aa3b, v80
	v_cmp_ngt_f32_e32 vcc_lo, 0xc2ce8ed0, v80
	s_delay_alu instid0(VALU_DEP_2) | instskip(NEXT) | instid1(VALU_DEP_3)
	v_cmp_ngt_f32_e64 s3, 0xc2ce8ed0, v82
	v_fma_f32 v89, 0x3fb8aa3b, v80, -v81
	v_rndne_f32_e32 v90, v81
	s_delay_alu instid0(VALU_DEP_2) | instskip(NEXT) | instid1(VALU_DEP_2)
	v_fmac_f32_e32 v89, 0x32a5705f, v80
	v_sub_f32_e32 v81, v81, v90
	v_cvt_i32_f32_e32 v90, v90
	s_delay_alu instid0(VALU_DEP_2) | instskip(SKIP_1) | instid1(VALU_DEP_2)
	v_add_f32_e32 v81, v81, v89
	v_sub_f32_e32 v89, v104, v213
	v_exp_f32_e32 v81, v81
	s_delay_alu instid0(VALU_DEP_1) | instskip(SKIP_1) | instid1(VALU_DEP_2)
	v_mul_f32_e32 v91, 0x3fb8aa3b, v89
	v_cmp_ngt_f32_e64 s0, 0xc2ce8ed0, v89
	v_fma_f32 v92, 0x3fb8aa3b, v89, -v91
	v_rndne_f32_e32 v93, v91
	s_waitcnt_depctr 0xfff
	v_ldexp_f32 v81, v81, v90
	v_fmac_f32_e32 v92, 0x32a5705f, v89
	v_sub_f32_e32 v91, v91, v93
	v_cvt_i32_f32_e32 v90, v93
	s_delay_alu instid0(VALU_DEP_4) | instskip(SKIP_1) | instid1(VALU_DEP_2)
	v_cndmask_b32_e32 v81, 0, v81, vcc_lo
	v_cmp_nlt_f32_e32 vcc_lo, 0x42b17218, v80
	v_dual_add_f32 v91, v91, v92 :: v_dual_cndmask_b32 v222, 0x7f800000, v81
	s_delay_alu instid0(VALU_DEP_1) | instskip(SKIP_3) | instid1(VALU_DEP_1)
	v_exp_f32_e32 v91, v91
	v_cmp_eq_u32_e32 vcc_lo, 1, v175
	s_waitcnt_depctr 0xfff
	v_ldexp_f32 v90, v91, v90
	v_cndmask_b32_e64 v80, 0, v90, s0
	v_cmp_nlt_f32_e64 s0, 0x42b17218, v89
	ds_bpermute_b32 v89, v238, v222
	v_cndmask_b32_e64 v221, 0x7f800000, v80, s0
	v_cmp_eq_u32_e64 s0, 0, v175
	v_dual_mov_b32 v175, v215 :: v_dual_mov_b32 v176, v216
	v_mov_b32_e32 v216, v188
	ds_bpermute_b32 v80, v238, v221
	v_mov_b32_e32 v215, v187
	s_waitcnt lgkmcnt(0)
	v_cndmask_b32_e32 v81, v221, v80, vcc_lo
	v_cndmask_b32_e64 v80, v221, v80, s0
	s_delay_alu instid0(VALU_DEP_2) | instskip(NEXT) | instid1(VALU_DEP_2)
	v_cndmask_b32_e64 v91, v81, v222, s1
	v_cndmask_b32_e64 v90, v80, v222, s2
	v_cvt_f16_f32_e32 v80, v80
	v_cvt_f16_f32_e32 v81, v81
	s_delay_alu instid0(VALU_DEP_3) | instskip(SKIP_1) | instid1(VALU_DEP_3)
	v_cndmask_b32_e64 v90, v90, v89, s0
	v_cndmask_b32_e32 v89, v91, v89, vcc_lo
	v_pack_b32_f16 v80, v80, v81
	s_delay_alu instid0(VALU_DEP_3) | instskip(NEXT) | instid1(VALU_DEP_3)
	v_cvt_f16_f32_e32 v91, v90
	v_cvt_f16_f32_e32 v92, v89
	s_delay_alu instid0(VALU_DEP_1) | instskip(SKIP_1) | instid1(VALU_DEP_1)
	v_pack_b32_f16 v81, v91, v92
	v_mul_f32_e32 v91, 0x3fb8aa3b, v82
	v_fma_f32 v92, 0x3fb8aa3b, v82, -v91
	v_rndne_f32_e32 v93, v91
	s_delay_alu instid0(VALU_DEP_1) | instskip(NEXT) | instid1(VALU_DEP_1)
	v_dual_fmac_f32 v92, 0x32a5705f, v82 :: v_dual_sub_f32 v91, v91, v93
	v_add_f32_e32 v91, v91, v92
	v_cvt_i32_f32_e32 v92, v93
	s_delay_alu instid0(VALU_DEP_2) | instskip(SKIP_2) | instid1(VALU_DEP_1)
	v_exp_f32_e32 v91, v91
	s_waitcnt_depctr 0xfff
	v_ldexp_f32 v91, v91, v92
	v_cndmask_b32_e64 v91, 0, v91, s3
	v_cmp_nlt_f32_e64 s3, 0x42b17218, v82
	s_delay_alu instid0(VALU_DEP_1) | instskip(SKIP_1) | instid1(VALU_DEP_2)
	v_cndmask_b32_e64 v225, 0x7f800000, v91, s3
	v_cmp_ngt_f32_e64 s3, 0xc2ce8ed0, v83
	v_cndmask_b32_e64 v82, v90, v225, s2
	ds_bpermute_b32 v90, v238, v225
	v_cndmask_b32_e64 v89, v89, v225, s1
	s_waitcnt lgkmcnt(0)
	v_cndmask_b32_e64 v91, v82, v90, s0
	s_delay_alu instid0(VALU_DEP_2) | instskip(NEXT) | instid1(VALU_DEP_2)
	v_cndmask_b32_e32 v89, v89, v90, vcc_lo
	v_cvt_f16_f32_e32 v82, v91
	s_delay_alu instid0(VALU_DEP_2) | instskip(NEXT) | instid1(VALU_DEP_1)
	v_cvt_f16_f32_e32 v90, v89
	v_pack_b32_f16 v82, v82, v90
	v_mul_f32_e32 v90, 0x3fb8aa3b, v83
	v_sub_f32_e32 v84, v84, v213
	v_sub_f32_e32 v85, v85, v213
	;; [unrolled: 1-line block ×4, first 2 shown]
	v_fma_f32 v92, 0x3fb8aa3b, v83, -v90
	v_rndne_f32_e32 v93, v90
	v_dual_sub_f32 v88, v88, v213 :: v_dual_mov_b32 v197, v178
	v_mov_b32_e32 v196, v177
	s_delay_alu instid0(VALU_DEP_4) | instskip(NEXT) | instid1(VALU_DEP_4)
	v_fmac_f32_e32 v92, 0x32a5705f, v83
	v_dual_sub_f32 v90, v90, v93 :: v_dual_mov_b32 v177, v189
	v_mov_b32_e32 v178, v190
	s_delay_alu instid0(VALU_DEP_2) | instskip(SKIP_1) | instid1(VALU_DEP_2)
	v_add_f32_e32 v90, v90, v92
	v_cvt_i32_f32_e32 v92, v93
	v_exp_f32_e32 v90, v90
	s_waitcnt_depctr 0xfff
	v_ldexp_f32 v90, v90, v92
	s_delay_alu instid0(VALU_DEP_1) | instskip(SKIP_1) | instid1(VALU_DEP_1)
	v_cndmask_b32_e64 v90, 0, v90, s3
	v_cmp_nlt_f32_e64 s3, 0x42b17218, v83
	v_cndmask_b32_e64 v228, 0x7f800000, v90, s3
	v_cmp_ngt_f32_e64 s3, 0xc2ce8ed0, v84
	ds_bpermute_b32 v90, v238, v228
	v_cndmask_b32_e64 v83, v91, v228, s2
	v_cndmask_b32_e64 v89, v89, v228, s1
	s_waitcnt lgkmcnt(0)
	s_delay_alu instid0(VALU_DEP_2) | instskip(NEXT) | instid1(VALU_DEP_2)
	v_cndmask_b32_e64 v91, v83, v90, s0
	v_cndmask_b32_e32 v89, v89, v90, vcc_lo
	s_delay_alu instid0(VALU_DEP_2) | instskip(NEXT) | instid1(VALU_DEP_2)
	v_cvt_f16_f32_e32 v83, v91
	v_cvt_f16_f32_e32 v90, v89
	s_delay_alu instid0(VALU_DEP_1) | instskip(SKIP_1) | instid1(VALU_DEP_1)
	v_pack_b32_f16 v83, v83, v90
	v_mul_f32_e32 v90, 0x3fb8aa3b, v84
	v_fma_f32 v92, 0x3fb8aa3b, v84, -v90
	v_rndne_f32_e32 v93, v90
	s_delay_alu instid0(VALU_DEP_2) | instskip(NEXT) | instid1(VALU_DEP_2)
	v_fmac_f32_e32 v92, 0x32a5705f, v84
	v_sub_f32_e32 v90, v90, v93
	s_delay_alu instid0(VALU_DEP_1) | instskip(SKIP_1) | instid1(VALU_DEP_2)
	v_add_f32_e32 v90, v90, v92
	v_cvt_i32_f32_e32 v92, v93
	v_exp_f32_e32 v90, v90
	s_waitcnt_depctr 0xfff
	v_ldexp_f32 v90, v90, v92
	s_delay_alu instid0(VALU_DEP_1) | instskip(SKIP_1) | instid1(VALU_DEP_1)
	v_cndmask_b32_e64 v90, 0, v90, s3
	v_cmp_nlt_f32_e64 s3, 0x42b17218, v84
	v_cndmask_b32_e64 v195, 0x7f800000, v90, s3
	v_cmp_ngt_f32_e64 s3, 0xc2ce8ed0, v85
	ds_bpermute_b32 v90, v238, v195
	v_cndmask_b32_e64 v84, v91, v195, s2
	v_cndmask_b32_e64 v89, v89, v195, s1
	s_waitcnt lgkmcnt(0)
	s_delay_alu instid0(VALU_DEP_2) | instskip(NEXT) | instid1(VALU_DEP_2)
	v_cndmask_b32_e64 v91, v84, v90, s0
	v_cndmask_b32_e32 v89, v89, v90, vcc_lo
	s_delay_alu instid0(VALU_DEP_2) | instskip(NEXT) | instid1(VALU_DEP_2)
	v_cvt_f16_f32_e32 v84, v91
	v_cvt_f16_f32_e32 v90, v89
	s_delay_alu instid0(VALU_DEP_1) | instskip(SKIP_1) | instid1(VALU_DEP_1)
	v_pack_b32_f16 v84, v84, v90
	v_mul_f32_e32 v90, 0x3fb8aa3b, v85
	v_fma_f32 v92, 0x3fb8aa3b, v85, -v90
	v_rndne_f32_e32 v93, v90
	s_delay_alu instid0(VALU_DEP_2) | instskip(NEXT) | instid1(VALU_DEP_2)
	v_fmac_f32_e32 v92, 0x32a5705f, v85
	v_sub_f32_e32 v90, v90, v93
	s_delay_alu instid0(VALU_DEP_1) | instskip(SKIP_1) | instid1(VALU_DEP_2)
	;; [unrolled: 29-line block ×4, first 2 shown]
	v_add_f32_e32 v90, v90, v92
	v_cvt_i32_f32_e32 v92, v93
	v_exp_f32_e32 v90, v90
	s_waitcnt_depctr 0xfff
	v_ldexp_f32 v90, v90, v92
	s_delay_alu instid0(VALU_DEP_1) | instskip(SKIP_1) | instid1(VALU_DEP_1)
	v_cndmask_b32_e64 v90, 0, v90, s3
	v_cmp_nlt_f32_e64 s3, 0x42b17218, v87
	v_cndmask_b32_e64 v224, 0x7f800000, v90, s3
	v_cmp_ngt_f32_e64 s3, 0xc2ce8ed0, v88
	ds_bpermute_b32 v90, v238, v224
	v_cndmask_b32_e64 v87, v91, v224, s2
	v_cndmask_b32_e64 v89, v89, v224, s1
	s_waitcnt lgkmcnt(0)
	s_delay_alu instid0(VALU_DEP_2) | instskip(NEXT) | instid1(VALU_DEP_2)
	v_cndmask_b32_e64 v87, v87, v90, s0
	v_cndmask_b32_e32 v89, v89, v90, vcc_lo
	s_delay_alu instid0(VALU_DEP_2) | instskip(NEXT) | instid1(VALU_DEP_2)
	v_cvt_f16_f32_e32 v87, v87
	v_cvt_f16_f32_e32 v89, v89
	s_delay_alu instid0(VALU_DEP_1) | instskip(SKIP_1) | instid1(VALU_DEP_1)
	v_pack_b32_f16 v87, v87, v89
	v_mul_f32_e32 v89, 0x3fb8aa3b, v88
	v_fma_f32 v90, 0x3fb8aa3b, v88, -v89
	v_rndne_f32_e32 v91, v89
	s_delay_alu instid0(VALU_DEP_1) | instskip(NEXT) | instid1(VALU_DEP_1)
	v_dual_fmac_f32 v90, 0x32a5705f, v88 :: v_dual_sub_f32 v89, v89, v91
	v_add_f32_e32 v89, v89, v90
	v_cvt_i32_f32_e32 v90, v91
	s_delay_alu instid0(VALU_DEP_2) | instskip(SKIP_2) | instid1(VALU_DEP_1)
	v_exp_f32_e32 v89, v89
	s_waitcnt_depctr 0xfff
	v_ldexp_f32 v89, v89, v90
	v_cndmask_b32_e64 v89, 0, v89, s3
	v_cmp_nlt_f32_e64 s3, 0x42b17218, v88
	s_delay_alu instid0(VALU_DEP_1) | instskip(SKIP_1) | instid1(VALU_DEP_1)
	v_cndmask_b32_e64 v89, 0x7f800000, v89, s3
	v_cmp_le_f32_e64 s3, 0xc1a00000, v88
	v_cndmask_b32_e64 v203, 0, v89, s3
	ds_load_u16 v88, v239
	ds_load_u16 v89, v239 offset:352
	ds_load_u16 v90, v239 offset:704
	;; [unrolled: 1-line block ×48, first 2 shown]
	s_waitcnt lgkmcnt(40)
	ds_load_u16_d16_hi v97, v239 offset:560
	s_waitcnt lgkmcnt(23)
	ds_load_u16_d16_hi v123, v239 offset:624
	ds_load_u16 v130, v239 offset:128
	ds_load_u16_d16_hi v88, v239 offset:176
	ds_load_u16_d16_hi v89, v239 offset:528
	;; [unrolled: 1-line block ×5, first 2 shown]
	s_waitcnt lgkmcnt(29)
	ds_load_u16_d16_hi v128, v239 offset:2384
	s_waitcnt lgkmcnt(27)
	ds_load_u16_d16_hi v127, v239 offset:2032
	ds_load_u16_d16_hi v94, v239 offset:2288
	;; [unrolled: 1-line block ×3, first 2 shown]
	s_waitcnt lgkmcnt(19)
	ds_load_u16_d16_hi v136, v239 offset:2416
	ds_load_u16_d16_hi v95, v239 offset:2640
	;; [unrolled: 1-line block ×16, first 2 shown]
	ds_load_u16 v153, v246 offset:2464
	ds_load_u16_d16_hi v105, v239 offset:592
	ds_load_u16_d16_hi v96, v239 offset:208
	;; [unrolled: 1-line block ×4, first 2 shown]
	ds_load_u16 v160, v254 offset:2464
	ds_load_u16_d16_hi v131, v239 offset:656
	ds_load_u16_d16_hi v133, v239 offset:1360
	;; [unrolled: 1-line block ×3, first 2 shown]
	s_waitcnt lgkmcnt(38)
	ds_load_u16_d16_hi v135, v239 offset:2064
	ds_load_u16_d16_hi v111, v239 offset:2704
	;; [unrolled: 1-line block ×4, first 2 shown]
	ds_load_u16 v145, v239 offset:2848
	ds_load_u16 v112, v239 offset:2880
	;; [unrolled: 1-line block ×3, first 2 shown]
	s_waitcnt lgkmcnt(41)
	ds_load_u16_d16_hi v130, v239 offset:304
	ds_load_u16 v163, v239 offset:2816
	ds_load_u16_d16_hi v126, v239 offset:1680
	v_mul_f32_e32 v32, v32, v203
	v_mul_f32_e32 v33, v33, v203
	;; [unrolled: 1-line block ×40, first 2 shown]
	s_waitcnt lgkmcnt(20)
	v_wmma_f32_16x16x16_f16 v[32:39], v[88:95], v[80:87], v[32:39]
	s_waitcnt lgkmcnt(16)
	v_wmma_f32_16x16x16_f16 v[24:31], v[96:103], v[80:87], v[24:31]
	;; [unrolled: 2-line block ×4, first 2 shown]
	v_wmma_f32_16x16x16_f16 v[0:7], v[130:137], v[80:87], v[0:7]
	v_sub_f32_e32 v80, v148, v213
	s_delay_alu instid0(VALU_DEP_1) | instskip(SKIP_1) | instid1(VALU_DEP_2)
	v_mul_f32_e32 v81, 0x3fb8aa3b, v80
	v_cmp_ngt_f32_e64 s3, 0xc2ce8ed0, v80
	v_fma_f32 v82, 0x3fb8aa3b, v80, -v81
	v_rndne_f32_e32 v83, v81
	s_delay_alu instid0(VALU_DEP_1) | instskip(SKIP_1) | instid1(VALU_DEP_2)
	v_dual_fmac_f32 v82, 0x32a5705f, v80 :: v_dual_sub_f32 v81, v81, v83
	v_cvt_i32_f32_e32 v83, v83
	v_dual_add_f32 v81, v81, v82 :: v_dual_sub_f32 v82, v147, v213
	s_delay_alu instid0(VALU_DEP_1) | instskip(NEXT) | instid1(VALU_DEP_1)
	v_exp_f32_e32 v81, v81
	v_mul_f32_e32 v84, 0x3fb8aa3b, v82
	v_cmp_ngt_f32_e64 s4, 0xc2ce8ed0, v82
	s_delay_alu instid0(VALU_DEP_2)
	v_fma_f32 v85, 0x3fb8aa3b, v82, -v84
	v_rndne_f32_e32 v86, v84
	s_waitcnt_depctr 0xfff
	v_ldexp_f32 v81, v81, v83
	v_fmac_f32_e32 v85, 0x32a5705f, v82
	v_sub_f32_e32 v84, v84, v86
	v_cvt_i32_f32_e32 v83, v86
	s_delay_alu instid0(VALU_DEP_4) | instskip(SKIP_1) | instid1(VALU_DEP_4)
	v_cndmask_b32_e64 v81, 0, v81, s3
	v_cmp_nlt_f32_e64 s3, 0x42b17218, v80
	v_add_f32_e32 v84, v84, v85
	s_delay_alu instid0(VALU_DEP_2) | instskip(NEXT) | instid1(VALU_DEP_2)
	v_cndmask_b32_e64 v89, 0x7f800000, v81, s3
	v_exp_f32_e32 v84, v84
	s_waitcnt_depctr 0xfff
	v_ldexp_f32 v83, v84, v83
	s_delay_alu instid0(VALU_DEP_1)
	v_cndmask_b32_e64 v80, 0, v83, s4
	v_cmp_nlt_f32_e64 s4, 0x42b17218, v82
	ds_bpermute_b32 v82, v238, v89
	v_cndmask_b32_e64 v88, 0x7f800000, v80, s4
	ds_bpermute_b32 v80, v238, v88
	s_waitcnt lgkmcnt(0)
	v_cndmask_b32_e64 v81, v88, v80, s0
	v_cndmask_b32_e32 v80, v88, v80, vcc_lo
	s_delay_alu instid0(VALU_DEP_2) | instskip(NEXT) | instid1(VALU_DEP_2)
	v_cndmask_b32_e64 v83, v81, v89, s2
	v_cndmask_b32_e64 v84, v80, v89, s1
	v_cvt_f16_f32_e32 v81, v81
	v_cvt_f16_f32_e32 v80, v80
	s_delay_alu instid0(VALU_DEP_4) | instskip(NEXT) | instid1(VALU_DEP_4)
	v_cndmask_b32_e64 v83, v83, v82, s0
	v_cndmask_b32_e32 v82, v84, v82, vcc_lo
	s_delay_alu instid0(VALU_DEP_3) | instskip(SKIP_1) | instid1(VALU_DEP_4)
	v_pack_b32_f16 v96, v81, v80
	v_sub_f32_e32 v80, v144, v213
	v_cvt_f16_f32_e32 v84, v83
	s_delay_alu instid0(VALU_DEP_4) | instskip(NEXT) | instid1(VALU_DEP_3)
	v_cvt_f16_f32_e32 v85, v82
	v_mul_f32_e32 v81, 0x3fb8aa3b, v80
	v_cmp_ngt_f32_e64 s3, 0xc2ce8ed0, v80
	s_delay_alu instid0(VALU_DEP_3) | instskip(NEXT) | instid1(VALU_DEP_3)
	v_pack_b32_f16 v97, v84, v85
	v_fma_f32 v84, 0x3fb8aa3b, v80, -v81
	v_rndne_f32_e32 v85, v81
	s_delay_alu instid0(VALU_DEP_1) | instskip(NEXT) | instid1(VALU_DEP_1)
	v_dual_fmac_f32 v84, 0x32a5705f, v80 :: v_dual_sub_f32 v81, v81, v85
	v_add_f32_e32 v81, v81, v84
	v_cvt_i32_f32_e32 v84, v85
	s_delay_alu instid0(VALU_DEP_2) | instskip(SKIP_2) | instid1(VALU_DEP_1)
	v_exp_f32_e32 v81, v81
	s_waitcnt_depctr 0xfff
	v_ldexp_f32 v81, v81, v84
	v_cndmask_b32_e64 v81, 0, v81, s3
	v_cmp_nlt_f32_e64 s3, 0x42b17218, v80
	s_delay_alu instid0(VALU_DEP_1) | instskip(NEXT) | instid1(VALU_DEP_1)
	v_cndmask_b32_e64 v90, 0x7f800000, v81, s3
	v_cndmask_b32_e64 v81, v82, v90, s1
	ds_bpermute_b32 v82, v238, v90
	v_cndmask_b32_e64 v80, v83, v90, s2
	s_waitcnt lgkmcnt(0)
	s_delay_alu instid0(VALU_DEP_1) | instskip(SKIP_1) | instid1(VALU_DEP_2)
	v_cndmask_b32_e64 v80, v80, v82, s0
	v_cndmask_b32_e32 v81, v81, v82, vcc_lo
	v_cvt_f16_f32_e32 v82, v80
	s_delay_alu instid0(VALU_DEP_2) | instskip(NEXT) | instid1(VALU_DEP_1)
	v_cvt_f16_f32_e32 v83, v81
	v_pack_b32_f16 v98, v82, v83
	v_sub_f32_e32 v82, v143, v213
	s_delay_alu instid0(VALU_DEP_1) | instskip(SKIP_1) | instid1(VALU_DEP_2)
	v_mul_f32_e32 v83, 0x3fb8aa3b, v82
	v_cmp_ngt_f32_e64 s3, 0xc2ce8ed0, v82
	v_fma_f32 v84, 0x3fb8aa3b, v82, -v83
	v_rndne_f32_e32 v85, v83
	s_delay_alu instid0(VALU_DEP_1) | instskip(NEXT) | instid1(VALU_DEP_1)
	v_dual_fmac_f32 v84, 0x32a5705f, v82 :: v_dual_sub_f32 v83, v83, v85
	v_add_f32_e32 v83, v83, v84
	v_cvt_i32_f32_e32 v84, v85
	s_delay_alu instid0(VALU_DEP_2) | instskip(SKIP_2) | instid1(VALU_DEP_1)
	v_exp_f32_e32 v83, v83
	s_waitcnt_depctr 0xfff
	v_ldexp_f32 v83, v83, v84
	v_cndmask_b32_e64 v83, 0, v83, s3
	v_cmp_nlt_f32_e64 s3, 0x42b17218, v82
	s_delay_alu instid0(VALU_DEP_1) | instskip(SKIP_4) | instid1(VALU_DEP_2)
	v_cndmask_b32_e64 v91, 0x7f800000, v83, s3
	ds_bpermute_b32 v82, v238, v91
	v_cndmask_b32_e64 v80, v80, v91, s2
	v_cndmask_b32_e64 v81, v81, v91, s1
	s_waitcnt lgkmcnt(0)
	v_cndmask_b32_e64 v80, v80, v82, s0
	s_delay_alu instid0(VALU_DEP_2) | instskip(NEXT) | instid1(VALU_DEP_2)
	v_cndmask_b32_e32 v81, v81, v82, vcc_lo
	v_cvt_f16_f32_e32 v82, v80
	s_delay_alu instid0(VALU_DEP_2) | instskip(NEXT) | instid1(VALU_DEP_1)
	v_cvt_f16_f32_e32 v83, v81
	v_pack_b32_f16 v99, v82, v83
	v_sub_f32_e32 v82, v142, v213
	s_delay_alu instid0(VALU_DEP_1) | instskip(SKIP_1) | instid1(VALU_DEP_2)
	v_mul_f32_e32 v83, 0x3fb8aa3b, v82
	v_cmp_ngt_f32_e64 s3, 0xc2ce8ed0, v82
	v_fma_f32 v84, 0x3fb8aa3b, v82, -v83
	v_rndne_f32_e32 v85, v83
	s_delay_alu instid0(VALU_DEP_1) | instskip(NEXT) | instid1(VALU_DEP_1)
	v_dual_fmac_f32 v84, 0x32a5705f, v82 :: v_dual_sub_f32 v83, v83, v85
	v_add_f32_e32 v83, v83, v84
	v_cvt_i32_f32_e32 v84, v85
	s_delay_alu instid0(VALU_DEP_2) | instskip(SKIP_2) | instid1(VALU_DEP_1)
	v_exp_f32_e32 v83, v83
	s_waitcnt_depctr 0xfff
	v_ldexp_f32 v83, v83, v84
	v_cndmask_b32_e64 v83, 0, v83, s3
	v_cmp_nlt_f32_e64 s3, 0x42b17218, v82
	s_delay_alu instid0(VALU_DEP_1) | instskip(SKIP_4) | instid1(VALU_DEP_2)
	v_cndmask_b32_e64 v92, 0x7f800000, v83, s3
	ds_bpermute_b32 v82, v238, v92
	v_cndmask_b32_e64 v80, v80, v92, s2
	v_cndmask_b32_e64 v81, v81, v92, s1
	s_waitcnt lgkmcnt(0)
	v_cndmask_b32_e64 v80, v80, v82, s0
	s_delay_alu instid0(VALU_DEP_2) | instskip(NEXT) | instid1(VALU_DEP_2)
	;; [unrolled: 29-line block ×4, first 2 shown]
	v_cndmask_b32_e32 v81, v81, v82, vcc_lo
	v_cvt_f16_f32_e32 v82, v80
	s_delay_alu instid0(VALU_DEP_2) | instskip(NEXT) | instid1(VALU_DEP_1)
	v_cvt_f16_f32_e32 v83, v81
	v_pack_b32_f16 v102, v82, v83
	v_sub_f32_e32 v82, v116, v213
	ds_load_u16 v116, v248 offset:1408
	ds_load_u16 v142, v202 offset:1760
	;; [unrolled: 1-line block ×28, first 2 shown]
	v_mul_f32_e32 v83, 0x3fb8aa3b, v82
	v_cmp_ngt_f32_e64 s3, 0xc2ce8ed0, v82
	s_delay_alu instid0(VALU_DEP_2) | instskip(SKIP_1) | instid1(VALU_DEP_1)
	v_fma_f32 v84, 0x3fb8aa3b, v82, -v83
	v_rndne_f32_e32 v85, v83
	v_dual_fmac_f32 v84, 0x32a5705f, v82 :: v_dual_sub_f32 v83, v83, v85
	s_delay_alu instid0(VALU_DEP_1) | instskip(SKIP_1) | instid1(VALU_DEP_2)
	v_add_f32_e32 v83, v83, v84
	v_cvt_i32_f32_e32 v84, v85
	v_exp_f32_e32 v83, v83
	s_waitcnt_depctr 0xfff
	v_ldexp_f32 v83, v83, v84
	s_delay_alu instid0(VALU_DEP_1) | instskip(SKIP_1) | instid1(VALU_DEP_1)
	v_cndmask_b32_e64 v83, 0, v83, s3
	v_cmp_nlt_f32_e64 s3, 0x42b17218, v82
	v_cndmask_b32_e64 v95, 0x7f800000, v83, s3
	ds_bpermute_b32 v82, v238, v95
	v_cndmask_b32_e64 v80, v80, v95, s2
	v_cndmask_b32_e64 v81, v81, v95, s1
	s_waitcnt lgkmcnt(0)
	s_delay_alu instid0(VALU_DEP_2) | instskip(NEXT) | instid1(VALU_DEP_2)
	v_cndmask_b32_e64 v80, v80, v82, s0
	v_cndmask_b32_e32 v81, v81, v82, vcc_lo
	s_delay_alu instid0(VALU_DEP_2) | instskip(NEXT) | instid1(VALU_DEP_2)
	v_cvt_f16_f32_e32 v80, v80
	v_cvt_f16_f32_e32 v81, v81
	s_delay_alu instid0(VALU_DEP_1)
	v_pack_b32_f16 v103, v80, v81
	v_dual_mov_b32 v80, v169 :: v_dual_mov_b32 v81, v170
	ds_load_u16 v169, v240 offset:2112
	ds_load_u16 v170, v240 offset:2464
	;; [unrolled: 1-line block ×16, first 2 shown]
	ds_load_u16_d16_hi v149, v239 offset:4432
	ds_load_u16_d16_hi v116, v239 offset:4464
	;; [unrolled: 1-line block ×18, first 2 shown]
	s_waitcnt lgkmcnt(19)
	ds_load_u16_d16_hi v87, v239 offset:11216
	ds_load_u16_d16_hi v164, v239 offset:3344
	;; [unrolled: 1-line block ×16, first 2 shown]
	ds_load_u16 v137, v239 offset:2944
	ds_load_u16_d16_hi v146, v239 offset:3376
	ds_load_u16_d16_hi v151, v239 offset:5136
	;; [unrolled: 1-line block ×4, first 2 shown]
	s_waitcnt lgkmcnt(4)
	ds_load_u16_d16_hi v137, v239 offset:3120
	ds_load_u16_d16_hi v124, v239 offset:4496
	v_wmma_f32_16x16x16_f16 v[32:39], v[163:170], v[96:103], v[32:39]
	v_dual_mov_b32 v170, v81 :: v_dual_mov_b32 v169, v80
	v_sub_f32_e32 v80, v194, v213
	s_delay_alu instid0(VALU_DEP_1) | instskip(SKIP_1) | instid1(VALU_DEP_2)
	v_mul_f32_e32 v81, 0x3fb8aa3b, v80
	v_cmp_ngt_f32_e64 s3, 0xc2ce8ed0, v80
	v_fma_f32 v82, 0x3fb8aa3b, v80, -v81
	v_rndne_f32_e32 v83, v81
	s_waitcnt lgkmcnt(4)
	v_wmma_f32_16x16x16_f16 v[24:31], v[145:152], v[96:103], v[24:31]
	s_waitcnt lgkmcnt(3)
	v_wmma_f32_16x16x16_f16 v[16:23], v[112:119], v[96:103], v[16:23]
	v_dual_fmac_f32 v82, 0x32a5705f, v80 :: v_dual_sub_f32 v81, v81, v83
	s_waitcnt lgkmcnt(0)
	v_wmma_f32_16x16x16_f16 v[8:15], v[120:127], v[96:103], v[8:15]
	ds_load_u16_d16_hi v144, v239 offset:5584
	ds_load_u16_d16_hi v128, v239 offset:6224
	ds_load_u16 v187, v239 offset:5632
	ds_load_u16 v104, v239 offset:5664
	;; [unrolled: 1-line block ×5, first 2 shown]
	v_cvt_i32_f32_e32 v83, v83
	v_dual_add_f32 v81, v81, v82 :: v_dual_sub_f32 v82, v192, v213
	s_delay_alu instid0(VALU_DEP_1) | instskip(NEXT) | instid1(VALU_DEP_1)
	v_exp_f32_e32 v81, v81
	v_mul_f32_e32 v84, 0x3fb8aa3b, v82
	v_cmp_ngt_f32_e64 s4, 0xc2ce8ed0, v82
	s_waitcnt lgkmcnt(6)
	v_wmma_f32_16x16x16_f16 v[0:7], v[137:144], v[96:103], v[0:7]
	s_delay_alu instid0(VALU_DEP_3)
	v_fma_f32 v85, 0x3fb8aa3b, v82, -v84
	v_rndne_f32_e32 v96, v84
	s_waitcnt_depctr 0xfff
	v_ldexp_f32 v81, v81, v83
	v_dual_fmac_f32 v85, 0x32a5705f, v82 :: v_dual_sub_f32 v84, v84, v96
	v_cvt_i32_f32_e32 v83, v96
	s_delay_alu instid0(VALU_DEP_3) | instskip(SKIP_1) | instid1(VALU_DEP_4)
	v_cndmask_b32_e64 v81, 0, v81, s3
	v_cmp_nlt_f32_e64 s3, 0x42b17218, v80
	v_add_f32_e32 v84, v84, v85
	s_delay_alu instid0(VALU_DEP_2) | instskip(NEXT) | instid1(VALU_DEP_2)
	v_cndmask_b32_e64 v144, 0x7f800000, v81, s3
	v_exp_f32_e32 v84, v84
	s_waitcnt_depctr 0xfff
	v_ldexp_f32 v83, v84, v83
	s_delay_alu instid0(VALU_DEP_1)
	v_cndmask_b32_e64 v80, 0, v83, s4
	v_cmp_nlt_f32_e64 s4, 0x42b17218, v82
	ds_bpermute_b32 v82, v238, v144
	v_cndmask_b32_e64 v143, 0x7f800000, v80, s4
	ds_bpermute_b32 v80, v238, v143
	s_waitcnt lgkmcnt(0)
	v_cndmask_b32_e32 v81, v143, v80, vcc_lo
	v_cndmask_b32_e64 v80, v143, v80, s0
	s_delay_alu instid0(VALU_DEP_2) | instskip(NEXT) | instid1(VALU_DEP_2)
	v_cndmask_b32_e64 v84, v81, v144, s1
	v_cndmask_b32_e64 v83, v80, v144, s2
	v_cvt_f16_f32_e32 v80, v80
	v_cvt_f16_f32_e32 v81, v81
	s_delay_alu instid0(VALU_DEP_3) | instskip(SKIP_1) | instid1(VALU_DEP_3)
	v_cndmask_b32_e64 v83, v83, v82, s0
	v_cndmask_b32_e32 v82, v84, v82, vcc_lo
	v_pack_b32_f16 v96, v80, v81
	v_sub_f32_e32 v80, v223, v213
	s_delay_alu instid0(VALU_DEP_4) | instskip(NEXT) | instid1(VALU_DEP_4)
	v_cvt_f16_f32_e32 v84, v83
	v_cvt_f16_f32_e32 v85, v82
	s_delay_alu instid0(VALU_DEP_3) | instskip(SKIP_1) | instid1(VALU_DEP_3)
	v_mul_f32_e32 v81, 0x3fb8aa3b, v80
	v_cmp_ngt_f32_e64 s3, 0xc2ce8ed0, v80
	v_pack_b32_f16 v97, v84, v85
	s_delay_alu instid0(VALU_DEP_3) | instskip(SKIP_1) | instid1(VALU_DEP_1)
	v_fma_f32 v84, 0x3fb8aa3b, v80, -v81
	v_rndne_f32_e32 v85, v81
	v_dual_fmac_f32 v84, 0x32a5705f, v80 :: v_dual_sub_f32 v81, v81, v85
	s_delay_alu instid0(VALU_DEP_1) | instskip(SKIP_1) | instid1(VALU_DEP_2)
	v_add_f32_e32 v81, v81, v84
	v_cvt_i32_f32_e32 v84, v85
	v_exp_f32_e32 v81, v81
	s_waitcnt_depctr 0xfff
	v_ldexp_f32 v81, v81, v84
	s_delay_alu instid0(VALU_DEP_1) | instskip(SKIP_1) | instid1(VALU_DEP_1)
	v_cndmask_b32_e64 v81, 0, v81, s3
	v_cmp_nlt_f32_e64 s3, 0x42b17218, v80
	v_cndmask_b32_e64 v145, 0x7f800000, v81, s3
	s_delay_alu instid0(VALU_DEP_1) | instskip(SKIP_3) | instid1(VALU_DEP_1)
	v_cndmask_b32_e64 v81, v82, v145, s1
	ds_bpermute_b32 v82, v238, v145
	v_cndmask_b32_e64 v80, v83, v145, s2
	s_waitcnt lgkmcnt(0)
	v_cndmask_b32_e64 v80, v80, v82, s0
	v_cndmask_b32_e32 v81, v81, v82, vcc_lo
	s_delay_alu instid0(VALU_DEP_2) | instskip(NEXT) | instid1(VALU_DEP_2)
	v_cvt_f16_f32_e32 v82, v80
	v_cvt_f16_f32_e32 v83, v81
	s_delay_alu instid0(VALU_DEP_1) | instskip(SKIP_1) | instid1(VALU_DEP_1)
	v_pack_b32_f16 v98, v82, v83
	v_sub_f32_e32 v82, v220, v213
	v_mul_f32_e32 v83, 0x3fb8aa3b, v82
	v_cmp_ngt_f32_e64 s3, 0xc2ce8ed0, v82
	s_delay_alu instid0(VALU_DEP_2) | instskip(SKIP_1) | instid1(VALU_DEP_1)
	v_fma_f32 v84, 0x3fb8aa3b, v82, -v83
	v_rndne_f32_e32 v85, v83
	v_dual_fmac_f32 v84, 0x32a5705f, v82 :: v_dual_sub_f32 v83, v83, v85
	s_delay_alu instid0(VALU_DEP_1) | instskip(SKIP_1) | instid1(VALU_DEP_2)
	v_add_f32_e32 v83, v83, v84
	v_cvt_i32_f32_e32 v84, v85
	v_exp_f32_e32 v83, v83
	s_waitcnt_depctr 0xfff
	v_ldexp_f32 v83, v83, v84
	s_delay_alu instid0(VALU_DEP_1) | instskip(SKIP_1) | instid1(VALU_DEP_1)
	v_cndmask_b32_e64 v83, 0, v83, s3
	v_cmp_nlt_f32_e64 s3, 0x42b17218, v82
	v_cndmask_b32_e64 v163, 0x7f800000, v83, s3
	ds_bpermute_b32 v82, v238, v163
	v_cndmask_b32_e64 v80, v80, v163, s2
	v_cndmask_b32_e64 v81, v81, v163, s1
	s_waitcnt lgkmcnt(0)
	s_delay_alu instid0(VALU_DEP_2) | instskip(NEXT) | instid1(VALU_DEP_2)
	v_cndmask_b32_e64 v80, v80, v82, s0
	v_cndmask_b32_e32 v81, v81, v82, vcc_lo
	s_delay_alu instid0(VALU_DEP_2) | instskip(NEXT) | instid1(VALU_DEP_2)
	v_cvt_f16_f32_e32 v82, v80
	v_cvt_f16_f32_e32 v83, v81
	s_delay_alu instid0(VALU_DEP_1) | instskip(SKIP_1) | instid1(VALU_DEP_1)
	v_pack_b32_f16 v99, v82, v83
	v_sub_f32_e32 v82, v233, v213
	v_mul_f32_e32 v83, 0x3fb8aa3b, v82
	v_cmp_ngt_f32_e64 s3, 0xc2ce8ed0, v82
	s_delay_alu instid0(VALU_DEP_2) | instskip(SKIP_1) | instid1(VALU_DEP_1)
	v_fma_f32 v84, 0x3fb8aa3b, v82, -v83
	v_rndne_f32_e32 v85, v83
	v_dual_fmac_f32 v84, 0x32a5705f, v82 :: v_dual_sub_f32 v83, v83, v85
	s_delay_alu instid0(VALU_DEP_1) | instskip(SKIP_1) | instid1(VALU_DEP_2)
	v_add_f32_e32 v83, v83, v84
	v_cvt_i32_f32_e32 v84, v85
	v_exp_f32_e32 v83, v83
	s_waitcnt_depctr 0xfff
	v_ldexp_f32 v83, v83, v84
	s_delay_alu instid0(VALU_DEP_1) | instskip(SKIP_1) | instid1(VALU_DEP_1)
	v_cndmask_b32_e64 v83, 0, v83, s3
	v_cmp_nlt_f32_e64 s3, 0x42b17218, v82
	v_cndmask_b32_e64 v164, 0x7f800000, v83, s3
	ds_bpermute_b32 v82, v238, v164
	v_cndmask_b32_e64 v80, v80, v164, s2
	v_cndmask_b32_e64 v81, v81, v164, s1
	s_waitcnt lgkmcnt(0)
	s_delay_alu instid0(VALU_DEP_2) | instskip(NEXT) | instid1(VALU_DEP_2)
	;; [unrolled: 29-line block ×5, first 2 shown]
	v_cndmask_b32_e64 v80, v80, v82, s0
	v_cndmask_b32_e32 v81, v81, v82, vcc_lo
	s_delay_alu instid0(VALU_DEP_2) | instskip(NEXT) | instid1(VALU_DEP_2)
	v_cvt_f16_f32_e32 v80, v80
	v_cvt_f16_f32_e32 v81, v81
	s_delay_alu instid0(VALU_DEP_1)
	v_pack_b32_f16 v103, v80, v81
	ds_load_u16 v192, v241 offset:1760
	ds_load_u16 v130, v249 offset:1056
	;; [unrolled: 1-line block ×38, first 2 shown]
	ds_load_u16_d16_hi v188, v239 offset:6160
	s_waitcnt lgkmcnt(27)
	ds_load_u16_d16_hi v107, v239 offset:6896
	ds_load_u16_d16_hi v130, v239 offset:6928
	;; [unrolled: 1-line block ×6, first 2 shown]
	s_waitcnt lgkmcnt(32)
	ds_load_u16_d16_hi v108, v239 offset:7248
	ds_load_u16_d16_hi v131, v239 offset:7280
	s_waitcnt lgkmcnt(20)
	ds_load_u16_d16_hi v139, v239 offset:7312
	ds_load_u16_d16_hi v110, v239 offset:7952
	;; [unrolled: 1-line block ×3, first 2 shown]
	s_waitcnt lgkmcnt(21)
	ds_load_u16_d16_hi v141, v239 offset:8016
	ds_load_u16_d16_hi v136, v239 offset:6256
	ds_load_u16_d16_hi v230, v239 offset:6288
	ds_load_u16_d16_hi v190, v239 offset:6864
	ds_load_u16_d16_hi v231, v239 offset:6640
	ds_load_u16_d16_hi v192, v239 offset:7568
	ds_load_u16_d16_hi v233, v239 offset:7344
	ds_load_u16_d16_hi v191, v239 offset:7216
	ds_load_u16_d16_hi v232, v239 offset:6992
	ds_load_u16_d16_hi v193, v239 offset:7920
	ds_load_u16_d16_hi v234, v239 offset:7696
	ds_load_u16_d16_hi v111, v239 offset:8304
	ds_load_u16_d16_hi v134, v239 offset:8336
	s_waitcnt lgkmcnt(33)
	ds_load_u16_d16_hi v142, v239 offset:8368
	s_waitcnt lgkmcnt(30)
	ds_load_u16_d16_hi v236, v239 offset:8400
	ds_load_u16 v112, v239 offset:8448
	ds_load_u16 v146, v239 offset:8480
	ds_load_u16_d16_hi v194, v239 offset:8272
	ds_load_u16_d16_hi v235, v239 offset:8048
	ds_load_u16_d16_hi v187, v239 offset:5808
	ds_load_u16_d16_hi v104, v239 offset:5840
	ds_load_u16_d16_hi v127, v239 offset:5872
	ds_load_u16_d16_hi v135, v239 offset:5904
	ds_load_u16_d16_hi v229, v239 offset:5936
	ds_load_u16_d16_hi v105, v239 offset:6192
	ds_load_u16_d16_hi v109, v239 offset:7600
	ds_load_u16_d16_hi v132, v239 offset:7632
	ds_load_u16_d16_hi v140, v239 offset:7664
	ds_load_u16 v138, v253 offset:1056
	v_sub_f32_e32 v80, v157, v213
	s_delay_alu instid0(VALU_DEP_1)
	v_mul_f32_e32 v83, 0x3fb8aa3b, v80
	v_cmp_ngt_f32_e64 s3, 0xc2ce8ed0, v80
	s_waitcnt lgkmcnt(9)
	v_wmma_f32_16x16x16_f16 v[32:39], v[187:194], v[96:103], v[32:39]
	s_waitcnt lgkmcnt(3)
	v_wmma_f32_16x16x16_f16 v[24:31], v[104:111], v[96:103], v[24:31]
	;; [unrolled: 2-line block ×3, first 2 shown]
	v_wmma_f32_16x16x16_f16 v[0:7], v[229:236], v[96:103], v[0:7]
	s_waitcnt lgkmcnt(0)
	ds_load_u16_d16_hi v138, v239 offset:6960
	s_waitcnt lgkmcnt(0)
	v_wmma_f32_16x16x16_f16 v[8:15], v[135:142], v[96:103], v[8:15]
	v_fma_f32 v96, 0x3fb8aa3b, v80, -v83
	v_rndne_f32_e32 v97, v83
	s_delay_alu instid0(VALU_DEP_1) | instskip(SKIP_1) | instid1(VALU_DEP_2)
	v_dual_fmac_f32 v96, 0x32a5705f, v80 :: v_dual_sub_f32 v83, v83, v97
	v_cvt_i32_f32_e32 v97, v97
	v_dual_add_f32 v83, v83, v96 :: v_dual_sub_f32 v96, v205, v213
	s_delay_alu instid0(VALU_DEP_1) | instskip(NEXT) | instid1(VALU_DEP_1)
	v_exp_f32_e32 v83, v83
	v_mul_f32_e32 v98, 0x3fb8aa3b, v96
	v_cmp_ngt_f32_e64 s4, 0xc2ce8ed0, v96
	s_delay_alu instid0(VALU_DEP_2)
	v_fma_f32 v99, 0x3fb8aa3b, v96, -v98
	v_rndne_f32_e32 v100, v98
	s_waitcnt_depctr 0xfff
	v_ldexp_f32 v83, v83, v97
	v_fmac_f32_e32 v99, 0x32a5705f, v96
	v_sub_f32_e32 v98, v98, v100
	v_cvt_i32_f32_e32 v97, v100
	s_delay_alu instid0(VALU_DEP_4) | instskip(SKIP_1) | instid1(VALU_DEP_4)
	v_cndmask_b32_e64 v83, 0, v83, s3
	v_cmp_nlt_f32_e64 s3, 0x42b17218, v80
	v_add_f32_e32 v98, v98, v99
	s_delay_alu instid0(VALU_DEP_2) | instskip(NEXT) | instid1(VALU_DEP_2)
	v_cndmask_b32_e64 v105, 0x7f800000, v83, s3
	v_exp_f32_e32 v98, v98
	s_waitcnt_depctr 0xfff
	v_ldexp_f32 v97, v98, v97
	s_delay_alu instid0(VALU_DEP_1)
	v_cndmask_b32_e64 v80, 0, v97, s4
	v_cmp_nlt_f32_e64 s4, 0x42b17218, v96
	ds_bpermute_b32 v96, v238, v105
	v_cndmask_b32_e64 v104, 0x7f800000, v80, s4
	ds_bpermute_b32 v80, v238, v104
	s_waitcnt lgkmcnt(0)
	v_cndmask_b32_e32 v83, v104, v80, vcc_lo
	v_cndmask_b32_e64 v80, v104, v80, s0
	s_delay_alu instid0(VALU_DEP_1) | instskip(SKIP_1) | instid1(VALU_DEP_2)
	v_cndmask_b32_e64 v97, v80, v105, s2
	v_cvt_f16_f32_e32 v80, v80
	v_cndmask_b32_e64 v98, v97, v96, s0
	v_cndmask_b32_e64 v97, v83, v105, s1
	v_cvt_f16_f32_e32 v83, v83
	s_delay_alu instid0(VALU_DEP_2) | instskip(NEXT) | instid1(VALU_DEP_2)
	v_cndmask_b32_e32 v99, v97, v96, vcc_lo
	v_pack_b32_f16 v96, v80, v83
	v_sub_f32_e32 v80, v201, v213
	v_cvt_f16_f32_e32 v97, v98
	s_delay_alu instid0(VALU_DEP_4) | instskip(NEXT) | instid1(VALU_DEP_3)
	v_cvt_f16_f32_e32 v100, v99
	v_mul_f32_e32 v83, 0x3fb8aa3b, v80
	v_cmp_ngt_f32_e64 s3, 0xc2ce8ed0, v80
	s_delay_alu instid0(VALU_DEP_3) | instskip(NEXT) | instid1(VALU_DEP_3)
	v_pack_b32_f16 v97, v97, v100
	v_fma_f32 v100, 0x3fb8aa3b, v80, -v83
	v_rndne_f32_e32 v101, v83
	s_delay_alu instid0(VALU_DEP_1) | instskip(NEXT) | instid1(VALU_DEP_1)
	v_dual_fmac_f32 v100, 0x32a5705f, v80 :: v_dual_sub_f32 v83, v83, v101
	v_dual_mov_b32 v190, v178 :: v_dual_add_f32 v83, v83, v100
	v_cvt_i32_f32_e32 v100, v101
	s_delay_alu instid0(VALU_DEP_2) | instskip(SKIP_2) | instid1(VALU_DEP_1)
	v_exp_f32_e32 v83, v83
	s_waitcnt_depctr 0xfff
	v_ldexp_f32 v83, v83, v100
	v_cndmask_b32_e64 v83, 0, v83, s3
	v_cmp_nlt_f32_e64 s3, 0x42b17218, v80
	s_delay_alu instid0(VALU_DEP_1) | instskip(NEXT) | instid1(VALU_DEP_1)
	v_cndmask_b32_e64 v106, 0x7f800000, v83, s3
	v_cndmask_b32_e64 v80, v98, v106, s2
	ds_bpermute_b32 v98, v238, v106
	v_cndmask_b32_e64 v83, v99, v106, s1
	s_waitcnt lgkmcnt(0)
	v_cndmask_b32_e64 v80, v80, v98, s0
	s_delay_alu instid0(VALU_DEP_2) | instskip(NEXT) | instid1(VALU_DEP_2)
	v_cndmask_b32_e32 v83, v83, v98, vcc_lo
	v_cvt_f16_f32_e32 v98, v80
	s_delay_alu instid0(VALU_DEP_2) | instskip(NEXT) | instid1(VALU_DEP_1)
	v_cvt_f16_f32_e32 v99, v83
	v_pack_b32_f16 v98, v98, v99
	v_sub_f32_e32 v99, v217, v213
	s_delay_alu instid0(VALU_DEP_1) | instskip(SKIP_1) | instid1(VALU_DEP_2)
	v_mul_f32_e32 v100, 0x3fb8aa3b, v99
	v_cmp_ngt_f32_e64 s3, 0xc2ce8ed0, v99
	v_fma_f32 v101, 0x3fb8aa3b, v99, -v100
	v_rndne_f32_e32 v102, v100
	s_delay_alu instid0(VALU_DEP_1) | instskip(NEXT) | instid1(VALU_DEP_1)
	v_dual_fmac_f32 v101, 0x32a5705f, v99 :: v_dual_sub_f32 v100, v100, v102
	v_add_f32_e32 v100, v100, v101
	v_cvt_i32_f32_e32 v101, v102
	s_delay_alu instid0(VALU_DEP_2) | instskip(SKIP_2) | instid1(VALU_DEP_1)
	v_exp_f32_e32 v100, v100
	s_waitcnt_depctr 0xfff
	v_ldexp_f32 v100, v100, v101
	v_cndmask_b32_e64 v100, 0, v100, s3
	v_cmp_nlt_f32_e64 s3, 0x42b17218, v99
	s_delay_alu instid0(VALU_DEP_1) | instskip(SKIP_4) | instid1(VALU_DEP_2)
	v_cndmask_b32_e64 v107, 0x7f800000, v100, s3
	ds_bpermute_b32 v99, v238, v107
	v_cndmask_b32_e64 v80, v80, v107, s2
	v_cndmask_b32_e64 v83, v83, v107, s1
	s_waitcnt lgkmcnt(0)
	v_cndmask_b32_e64 v80, v80, v99, s0
	s_delay_alu instid0(VALU_DEP_2) | instskip(NEXT) | instid1(VALU_DEP_2)
	v_cndmask_b32_e32 v83, v83, v99, vcc_lo
	v_cvt_f16_f32_e32 v99, v80
	s_delay_alu instid0(VALU_DEP_2) | instskip(NEXT) | instid1(VALU_DEP_1)
	v_cvt_f16_f32_e32 v100, v83
	v_pack_b32_f16 v99, v99, v100
	v_sub_f32_e32 v100, v227, v213
	s_delay_alu instid0(VALU_DEP_1) | instskip(SKIP_1) | instid1(VALU_DEP_2)
	v_mul_f32_e32 v101, 0x3fb8aa3b, v100
	v_cmp_ngt_f32_e64 s3, 0xc2ce8ed0, v100
	v_fma_f32 v102, 0x3fb8aa3b, v100, -v101
	v_rndne_f32_e32 v103, v101
	s_delay_alu instid0(VALU_DEP_1) | instskip(NEXT) | instid1(VALU_DEP_1)
	v_dual_fmac_f32 v102, 0x32a5705f, v100 :: v_dual_sub_f32 v101, v101, v103
	v_add_f32_e32 v101, v101, v102
	v_cvt_i32_f32_e32 v102, v103
	s_delay_alu instid0(VALU_DEP_2) | instskip(SKIP_2) | instid1(VALU_DEP_1)
	v_exp_f32_e32 v101, v101
	s_waitcnt_depctr 0xfff
	v_ldexp_f32 v101, v101, v102
	v_cndmask_b32_e64 v101, 0, v101, s3
	v_cmp_nlt_f32_e64 s3, 0x42b17218, v100
	s_delay_alu instid0(VALU_DEP_1) | instskip(SKIP_4) | instid1(VALU_DEP_2)
	v_cndmask_b32_e64 v108, 0x7f800000, v101, s3
	ds_bpermute_b32 v100, v238, v108
	v_cndmask_b32_e64 v80, v80, v108, s2
	v_cndmask_b32_e64 v83, v83, v108, s1
	s_waitcnt lgkmcnt(0)
	v_cndmask_b32_e64 v80, v80, v100, s0
	s_delay_alu instid0(VALU_DEP_2) | instskip(NEXT) | instid1(VALU_DEP_2)
	v_cndmask_b32_e32 v83, v83, v100, vcc_lo
	v_cvt_f16_f32_e32 v100, v80
	s_delay_alu instid0(VALU_DEP_2) | instskip(NEXT) | instid1(VALU_DEP_1)
	v_cvt_f16_f32_e32 v101, v83
	v_pack_b32_f16 v100, v100, v101
	v_sub_f32_e32 v101, v159, v213
	s_delay_alu instid0(VALU_DEP_1) | instskip(SKIP_1) | instid1(VALU_DEP_2)
	v_mul_f32_e32 v102, 0x3fb8aa3b, v101
	v_cmp_ngt_f32_e64 s3, 0xc2ce8ed0, v101
	v_fma_f32 v103, 0x3fb8aa3b, v101, -v102
	v_rndne_f32_e32 v109, v102
	s_delay_alu instid0(VALU_DEP_2) | instskip(NEXT) | instid1(VALU_DEP_2)
	v_fmac_f32_e32 v103, 0x32a5705f, v101
	v_sub_f32_e32 v102, v102, v109
	s_delay_alu instid0(VALU_DEP_1) | instskip(SKIP_1) | instid1(VALU_DEP_2)
	v_add_f32_e32 v102, v102, v103
	v_cvt_i32_f32_e32 v103, v109
	v_exp_f32_e32 v102, v102
	s_waitcnt_depctr 0xfff
	v_ldexp_f32 v102, v102, v103
	s_delay_alu instid0(VALU_DEP_1) | instskip(SKIP_1) | instid1(VALU_DEP_1)
	v_cndmask_b32_e64 v102, 0, v102, s3
	v_cmp_nlt_f32_e64 s3, 0x42b17218, v101
	v_cndmask_b32_e64 v109, 0x7f800000, v102, s3
	ds_bpermute_b32 v101, v238, v109
	v_cndmask_b32_e64 v80, v80, v109, s2
	v_cndmask_b32_e64 v83, v83, v109, s1
	s_waitcnt lgkmcnt(0)
	s_delay_alu instid0(VALU_DEP_2) | instskip(NEXT) | instid1(VALU_DEP_2)
	v_cndmask_b32_e64 v80, v80, v101, s0
	v_cndmask_b32_e32 v83, v83, v101, vcc_lo
	s_delay_alu instid0(VALU_DEP_2) | instskip(NEXT) | instid1(VALU_DEP_2)
	v_cvt_f16_f32_e32 v101, v80
	v_cvt_f16_f32_e32 v102, v83
	s_delay_alu instid0(VALU_DEP_1) | instskip(SKIP_1) | instid1(VALU_DEP_1)
	v_pack_b32_f16 v101, v101, v102
	v_sub_f32_e32 v102, v158, v213
	v_mul_f32_e32 v103, 0x3fb8aa3b, v102
	v_cmp_ngt_f32_e64 s3, 0xc2ce8ed0, v102
	s_delay_alu instid0(VALU_DEP_2) | instskip(SKIP_1) | instid1(VALU_DEP_1)
	v_fma_f32 v110, 0x3fb8aa3b, v102, -v103
	v_rndne_f32_e32 v111, v103
	v_dual_fmac_f32 v110, 0x32a5705f, v102 :: v_dual_sub_f32 v103, v103, v111
	s_delay_alu instid0(VALU_DEP_1) | instskip(SKIP_1) | instid1(VALU_DEP_2)
	v_add_f32_e32 v103, v103, v110
	v_cvt_i32_f32_e32 v110, v111
	v_exp_f32_e32 v103, v103
	s_waitcnt_depctr 0xfff
	v_ldexp_f32 v103, v103, v110
	s_delay_alu instid0(VALU_DEP_1) | instskip(SKIP_1) | instid1(VALU_DEP_1)
	v_cndmask_b32_e64 v103, 0, v103, s3
	v_cmp_nlt_f32_e64 s3, 0x42b17218, v102
	v_cndmask_b32_e64 v110, 0x7f800000, v103, s3
	ds_bpermute_b32 v102, v238, v110
	v_cndmask_b32_e64 v80, v80, v110, s2
	v_cndmask_b32_e64 v83, v83, v110, s1
	s_waitcnt lgkmcnt(0)
	s_delay_alu instid0(VALU_DEP_2) | instskip(NEXT) | instid1(VALU_DEP_2)
	v_cndmask_b32_e64 v80, v80, v102, s0
	v_cndmask_b32_e32 v83, v83, v102, vcc_lo
	s_delay_alu instid0(VALU_DEP_2) | instskip(NEXT) | instid1(VALU_DEP_2)
	v_cvt_f16_f32_e32 v102, v80
	v_cvt_f16_f32_e32 v103, v83
	s_delay_alu instid0(VALU_DEP_1) | instskip(SKIP_3) | instid1(VALU_DEP_1)
	v_pack_b32_f16 v102, v102, v103
	scratch_load_b32 v103, off, off         ; 4-byte Folded Reload
	s_waitcnt vmcnt(0)
	v_sub_f32_e32 v103, v103, v213
	v_mul_f32_e32 v111, 0x3fb8aa3b, v103
	v_cmp_ngt_f32_e64 s3, 0xc2ce8ed0, v103
	s_delay_alu instid0(VALU_DEP_2) | instskip(SKIP_1) | instid1(VALU_DEP_2)
	v_fma_f32 v116, 0x3fb8aa3b, v103, -v111
	v_rndne_f32_e32 v119, v111
	v_fmac_f32_e32 v116, 0x32a5705f, v103
	s_delay_alu instid0(VALU_DEP_2) | instskip(NEXT) | instid1(VALU_DEP_1)
	v_sub_f32_e32 v111, v111, v119
	v_add_f32_e32 v111, v111, v116
	v_cvt_i32_f32_e32 v116, v119
	s_delay_alu instid0(VALU_DEP_2) | instskip(SKIP_2) | instid1(VALU_DEP_1)
	v_exp_f32_e32 v111, v111
	s_waitcnt_depctr 0xfff
	v_ldexp_f32 v111, v111, v116
	v_cndmask_b32_e64 v111, 0, v111, s3
	v_cmp_nlt_f32_e64 s3, 0x42b17218, v103
	s_delay_alu instid0(VALU_DEP_1) | instskip(SKIP_4) | instid1(VALU_DEP_2)
	v_cndmask_b32_e64 v111, 0x7f800000, v111, s3
	ds_bpermute_b32 v103, v238, v111
	v_cndmask_b32_e64 v80, v80, v111, s2
	v_cndmask_b32_e64 v83, v83, v111, s1
	s_waitcnt lgkmcnt(0)
	v_cndmask_b32_e64 v80, v80, v103, s0
	s_delay_alu instid0(VALU_DEP_2) | instskip(SKIP_1) | instid1(VALU_DEP_3)
	v_cndmask_b32_e32 v83, v83, v103, vcc_lo
	v_cmp_lt_i32_e32 vcc_lo, s10, v171
	v_cvt_f16_f32_e32 v80, v80
	s_delay_alu instid0(VALU_DEP_3) | instskip(SKIP_1) | instid1(VALU_DEP_1)
	v_cvt_f16_f32_e32 v83, v83
	s_and_b32 vcc_lo, exec_lo, vcc_lo
	v_pack_b32_f16 v103, v80, v83
	ds_load_u16 v151, v246 offset:1760
	ds_load_u16 v158, v254 offset:1760
	ds_load_u16 v152, v246 offset:2112
	ds_load_u16 v159, v254 offset:2112
	ds_load_u16 v116, v242 offset:1408
	ds_load_u16 v83, v200 offset:1056
	ds_load_u16 v119, v242 offset:2464
	ds_load_u16_d16_hi v153, v239 offset:11120
	ds_load_u16_d16_hi v148, v239 offset:9360
	;; [unrolled: 1-line block ×8, first 2 shown]
	s_waitcnt lgkmcnt(14)
	ds_load_u16_d16_hi v151, v239 offset:10416
	ds_load_u16_d16_hi v124, v239 offset:10448
	s_waitcnt lgkmcnt(15)
	ds_load_u16_d16_hi v158, v239 offset:10480
	s_waitcnt lgkmcnt(15)
	ds_load_u16_d16_hi v152, v239 offset:10768
	ds_load_u16_d16_hi v125, v239 offset:10800
	s_waitcnt lgkmcnt(16)
	ds_load_u16_d16_hi v159, v239 offset:10832
	ds_load_u16_d16_hi v120, v239 offset:9040
	;; [unrolled: 1-line block ×3, first 2 shown]
	s_waitcnt lgkmcnt(18)
	ds_load_u16_d16_hi v116, v239 offset:10032
	s_waitcnt lgkmcnt(18)
	ds_load_u16_d16_hi v83, v239 offset:9808
	ds_load_u16_d16_hi v115, v239 offset:9680
	;; [unrolled: 1-line block ×5, first 2 shown]
	s_waitcnt lgkmcnt(22)
	ds_load_u16_d16_hi v119, v239 offset:11088
	ds_load_u16_d16_hi v86, v239 offset:10864
	;; [unrolled: 1-line block ×7, first 2 shown]
	ds_load_u16 v80, v239 offset:8576
	ds_load_u16 v150, v246 offset:1408
	;; [unrolled: 1-line block ×3, first 2 shown]
	ds_load_u16_d16_hi v147, v239 offset:9008
	s_waitcnt lgkmcnt(2)
	ds_load_u16_d16_hi v150, v239 offset:10064
	ds_load_u16_d16_hi v123, v239 offset:10096
	s_waitcnt lgkmcnt(3)
	ds_load_u16_d16_hi v157, v239 offset:10128
	ds_load_u16_d16_hi v80, v239 offset:8752
	v_wmma_f32_16x16x16_f16 v[32:39], v[112:119], v[96:103], v[32:39]
	s_waitcnt lgkmcnt(3)
	v_wmma_f32_16x16x16_f16 v[24:31], v[146:153], v[96:103], v[24:31]
	ds_load_u16 v126, v250 offset:2464
	ds_load_u16 v119, v239 offset:8512
	;; [unrolled: 1-line block ×3, first 2 shown]
	s_waitcnt lgkmcnt(2)
	ds_load_u16_d16_hi v126, v239 offset:11152
	ds_load_u16_d16_hi v160, v239 offset:11184
	s_waitcnt lgkmcnt(3)
	ds_load_u16_d16_hi v119, v239 offset:8688
	s_waitcnt lgkmcnt(3)
	ds_load_u16_d16_hi v153, v239 offset:8720
	v_wmma_f32_16x16x16_f16 v[0:7], v[80:87], v[96:103], v[0:7]
	v_add_f32_e32 v80, v221, v222
	ds_load_u16_d16_hi v155, v239 offset:9424
	v_dual_mov_b32 v84, v207 :: v_dual_mov_b32 v81, v204
	s_waitcnt lgkmcnt(0)
	v_add_f32_e32 v80, v225, v80
	s_barrier
	buffer_gl0_inv
	v_add_f32_e32 v80, v228, v80
	s_delay_alu instid0(VALU_DEP_1) | instskip(SKIP_1) | instid1(VALU_DEP_2)
	v_add_f32_e32 v80, v195, v80
	v_wmma_f32_16x16x16_f16 v[16:23], v[119:126], v[96:103], v[16:23]
	v_add_f32_e32 v80, v218, v80
	v_wmma_f32_16x16x16_f16 v[8:15], v[153:160], v[96:103], v[8:15]
	s_delay_alu instid0(VALU_DEP_2) | instskip(NEXT) | instid1(VALU_DEP_1)
	v_add_f32_e32 v80, v219, v80
	v_add_f32_e32 v80, v224, v80
	v_dual_mov_b32 v224, v186 :: v_dual_mov_b32 v223, v185
	v_dual_mov_b32 v222, v184 :: v_dual_mov_b32 v221, v183
	s_delay_alu instid0(VALU_DEP_3) | instskip(SKIP_2) | instid1(VALU_DEP_3)
	v_add_f32_e32 v80, v88, v80
	v_dual_mov_b32 v220, v182 :: v_dual_mov_b32 v219, v181
	v_dual_mov_b32 v218, v180 :: v_dual_mov_b32 v217, v179
	v_add_f32_e32 v80, v89, v80
	v_mov_b32_e32 v186, v162
	v_dual_mov_b32 v180, v43 :: v_dual_mov_b32 v185, v161
	v_mov_b32_e32 v179, v42
	s_delay_alu instid0(VALU_DEP_4) | instskip(NEXT) | instid1(VALU_DEP_1)
	v_add_f32_e32 v80, v90, v80
	v_add_f32_e32 v80, v91, v80
	s_delay_alu instid0(VALU_DEP_1) | instskip(SKIP_2) | instid1(VALU_DEP_3)
	v_dual_add_f32 v80, v92, v80 :: v_dual_mov_b32 v187, v215
	v_mov_b32_e32 v188, v216
	v_mov_b32_e32 v216, v176
	v_add_f32_e32 v80, v93, v80
	s_delay_alu instid0(VALU_DEP_1) | instskip(SKIP_1) | instid1(VALU_DEP_2)
	v_dual_mov_b32 v189, v177 :: v_dual_add_f32 v80, v94, v80
	v_dual_mov_b32 v177, v196 :: v_dual_mov_b32 v178, v197
	v_add_f32_e32 v80, v95, v80
	s_delay_alu instid0(VALU_DEP_1) | instskip(NEXT) | instid1(VALU_DEP_1)
	v_add_f32_e32 v80, v143, v80
	v_dual_mov_b32 v215, v175 :: v_dual_add_f32 v80, v144, v80
	s_delay_alu instid0(VALU_DEP_1) | instskip(NEXT) | instid1(VALU_DEP_1)
	v_dual_mov_b32 v175, v226 :: v_dual_add_f32 v80, v145, v80
	v_add_f32_e32 v80, v163, v80
	s_delay_alu instid0(VALU_DEP_1) | instskip(NEXT) | instid1(VALU_DEP_1)
	v_add_f32_e32 v80, v164, v80
	v_add_f32_e32 v80, v165, v80
	s_delay_alu instid0(VALU_DEP_1) | instskip(NEXT) | instid1(VALU_DEP_1)
	v_add_f32_e32 v80, v166, v80
	;; [unrolled: 3-line block ×5, first 2 shown]
	v_add_f32_e32 v80, v109, v80
	v_dual_mov_b32 v108, v209 :: v_dual_mov_b32 v109, v210
	s_delay_alu instid0(VALU_DEP_2) | instskip(NEXT) | instid1(VALU_DEP_1)
	v_dual_add_f32 v80, v110, v80 :: v_dual_mov_b32 v85, v208
	v_add_f32_e32 v204, v111, v80
	s_delay_alu instid0(VALU_DEP_1)
	v_fmac_f32_e32 v204, v81, v203
	s_cbranch_vccnz .LBB9_487
; %bb.488:
	s_clause 0x1f
	scratch_load_b32 v201, off, off offset:272
	scratch_load_b32 v202, off, off offset:276
	;; [unrolled: 1-line block ×26, first 2 shown]
	scratch_load_b64 v[95:96], off, off offset:164
	scratch_load_b32 v97, off, off offset:172
	scratch_load_b32 v98, off, off offset:180
	;; [unrolled: 1-line block ×4, first 2 shown]
	scratch_load_b64 v[106:107], off, off offset:200
	scratch_load_b32 v104, off, off offset:208 ; 4-byte Folded Reload
	v_mbcnt_lo_u32_b32 v103, -1, 0
	v_mov_b32_e32 v102, 32
	s_waitcnt vmcnt(32)
	v_add_nc_u32_e32 v192, 48, v201
	v_and_b32_e32 v193, 15, v201
	v_add_nc_u32_e32 v194, 32, v201
	v_add_nc_u32_e32 v196, 12, v201
	;; [unrolled: 1-line block ×3, first 2 shown]
.LBB9_489:
	s_lshl_b32 s0, s10, 6
	v_lshlrev_b64 v[80:81], 1, v[211:212]
	s_ashr_i32 s1, s0, 31
	v_lshlrev_b64 v[82:83], 1, v[84:85]
	s_lshl_b64 s[2:3], s[0:1], 1
	v_lshlrev_b64 v[84:85], 1, v[108:109]
	s_add_u32 s2, s15, s2
	s_addc_u32 s3, s24, s3
	s_waitcnt vmcnt(0)
	v_add_co_u32 v88, s2, s2, v104
	s_delay_alu instid0(VALU_DEP_1) | instskip(SKIP_1) | instid1(VALU_DEP_2)
	v_add_co_ci_u32_e64 v89, null, s3, 0, s2
	s_mov_b32 s16, 0
	v_add_co_u32 v86, vcc_lo, v88, v80
	s_delay_alu instid0(VALU_DEP_2)
	v_add_co_ci_u32_e32 v87, vcc_lo, v89, v81, vcc_lo
	v_lshlrev_b64 v[80:81], 1, v[40:41]
	s_mov_b32 s17, s16
	s_mov_b32 s18, s16
	;; [unrolled: 1-line block ×5, first 2 shown]
	v_add_co_u32 v80, vcc_lo, v88, v80
	v_add_co_ci_u32_e32 v81, vcc_lo, v89, v81, vcc_lo
	v_add_co_u32 v82, vcc_lo, v88, v82
	v_add_co_ci_u32_e32 v83, vcc_lo, v89, v83, vcc_lo
	;; [unrolled: 2-line block ×3, first 2 shown]
	s_clause 0x3
	global_load_b32 v86, v[86:87], off
	global_load_b32 v80, v[80:81], off
	;; [unrolled: 1-line block ×4, first 2 shown]
	s_mov_b32 s22, s16
	s_mov_b32 s23, s16
	v_add_nc_u32_e32 v104, 0, v104
	v_dual_mov_b32 v136, s23 :: v_dual_mov_b32 v135, s22
	v_mov_b32_e32 v134, s21
	s_mul_hi_u32 s2, s52, s0
	s_delay_alu instid0(VALU_DEP_3)
	v_add_nc_u32_e32 v83, v104, v90
	s_mul_i32 s3, s52, s1
	s_mul_i32 s4, s7, s0
	s_add_i32 s3, s2, s3
	s_mul_i32 s2, s52, s0
	s_add_i32 s3, s3, s4
	v_mov_b32_e32 v130, s17
	s_lshl_b64 s[2:3], s[2:3], 2
	s_mul_i32 s1, s46, s1
	s_add_u32 s2, s13, s2
	s_addc_u32 s3, s14, s3
	v_dual_mov_b32 v132, s19 :: v_dual_mov_b32 v133, s20
	v_mov_b32_e32 v131, s18
	v_mov_b32_e32 v129, s16
	s_waitcnt vmcnt(3)
	ds_store_b32 v83, v86 offset:11264
	v_add_nc_u32_e32 v83, v104, v91
	s_waitcnt vmcnt(2)
	ds_store_b32 v83, v80 offset:11264
	v_add_nc_u32_e32 v80, v104, v92
	;; [unrolled: 3-line block ×3, first 2 shown]
	s_waitcnt vmcnt(0)
	ds_store_b32 v80, v82 offset:11264
	v_lshlrev_b32_e32 v80, 2, v106
	v_lshlrev_b64 v[82:83], 2, v[106:107]
	s_delay_alu instid0(VALU_DEP_2) | instskip(SKIP_1) | instid1(VALU_DEP_1)
	v_add3_u32 v85, 0, v94, v80
	v_lshlrev_b64 v[80:81], 2, v[185:186]
	v_add_co_u32 v84, vcc_lo, s2, v80
	s_delay_alu instid0(VALU_DEP_2) | instskip(SKIP_1) | instid1(VALU_DEP_1)
	v_add_co_ci_u32_e32 v87, vcc_lo, s3, v81, vcc_lo
	v_lshlrev_b64 v[80:81], 2, v[44:45]
	v_add_co_u32 v88, vcc_lo, s2, v80
	s_delay_alu instid0(VALU_DEP_2) | instskip(SKIP_4) | instid1(VALU_DEP_4)
	v_add_co_ci_u32_e32 v89, vcc_lo, s3, v81, vcc_lo
	v_lshlrev_b64 v[80:81], 2, v[95:96]
	v_add_co_u32 v86, vcc_lo, v84, v82
	v_add_co_ci_u32_e32 v87, vcc_lo, v87, v83, vcc_lo
	v_lshlrev_b32_e32 v84, 2, v95
	v_add_co_u32 v90, vcc_lo, v88, v80
	v_add_co_ci_u32_e32 v91, vcc_lo, v89, v81, vcc_lo
	s_clause 0x1
	global_load_b128 v[86:89], v[86:87], off
	global_load_b128 v[90:93], v[90:91], off
	s_waitcnt vmcnt(1)
	ds_store_b128 v85, v[86:89]
	v_lshlrev_b64 v[88:89], 2, v[46:47]
	v_add3_u32 v87, 0, v97, v84
	s_delay_alu instid0(VALU_DEP_2) | instskip(SKIP_4) | instid1(VALU_DEP_1)
	v_add_co_u32 v86, vcc_lo, s2, v88
	s_waitcnt vmcnt(0)
	ds_store_b128 v87, v[90:93]
	v_add_co_ci_u32_e32 v91, vcc_lo, s3, v89, vcc_lo
	v_lshlrev_b64 v[88:89], 2, v[173:174]
	v_add_co_u32 v88, vcc_lo, s2, v88
	s_delay_alu instid0(VALU_DEP_2) | instskip(SKIP_2) | instid1(VALU_DEP_4)
	v_add_co_ci_u32_e32 v89, vcc_lo, s3, v89, vcc_lo
	v_add_co_u32 v90, vcc_lo, v86, v80
	v_add_co_ci_u32_e32 v91, vcc_lo, v91, v81, vcc_lo
	v_add_co_u32 v94, vcc_lo, v88, v80
	s_delay_alu instid0(VALU_DEP_4)
	v_add_co_ci_u32_e32 v95, vcc_lo, v89, v81, vcc_lo
	s_clause 0x1
	global_load_b128 v[90:93], v[90:91], off
	global_load_b128 v[94:97], v[94:95], off
	v_add3_u32 v89, 0, v98, v84
	s_waitcnt vmcnt(1)
	ds_store_b128 v89, v[90:93]
	v_lshlrev_b64 v[92:93], 2, v[179:180]
	v_add3_u32 v91, 0, v99, v84
	v_add3_u32 v84, 0, v105, v84
	s_delay_alu instid0(VALU_DEP_3) | instskip(NEXT) | instid1(VALU_DEP_4)
	v_add_co_u32 v86, vcc_lo, s2, v92
	v_add_co_ci_u32_e32 v88, vcc_lo, s3, v93, vcc_lo
	s_waitcnt vmcnt(0)
	ds_store_b128 v91, v[94:97]
	v_add_co_u32 v92, vcc_lo, v86, v80
	v_add_co_ci_u32_e32 v93, vcc_lo, v88, v81, vcc_lo
	v_add_nc_u32_e32 v86, 0, v172
	v_cmp_lt_i32_e32 vcc_lo, v161, v102
	s_mul_hi_u32 s2, s46, s0
	global_load_b128 v[92:95], v[92:93], off
	s_mul_i32 s3, s5, s0
	s_add_i32 s1, s2, s1
	s_mul_i32 s0, s46, s0
	s_add_i32 s1, s1, s3
	v_cmp_eq_u32_e64 s2, 0, v214
	s_lshl_b64 s[0:1], s[0:1], 2
	s_delay_alu instid0(SALU_CYCLE_1)
	s_add_u32 s0, s11, s0
	s_addc_u32 s1, s12, s1
	s_waitcnt vmcnt(0)
	ds_store_b128 v84, v[92:95]
	s_waitcnt lgkmcnt(0)
	s_barrier
	buffer_gl0_inv
	ds_load_b128 v[92:95], v86
	ds_load_b128 v[96:99], v86 offset:16
	ds_load_b128 v[105:108], v86 offset:2816
	;; [unrolled: 1-line block ×7, first 2 shown]
	s_waitcnt lgkmcnt(4)
	v_wmma_f32_16x16x16_f16 v[145:152], v[105:112], v[72:79], v[129:136]
	v_lshlrev_b32_e32 v105, 1, v214
	v_wmma_f32_16x16x16_f16 v[137:144], v[92:99], v[72:79], v[129:136]
	s_waitcnt lgkmcnt(2)
	v_wmma_f32_16x16x16_f16 v[153:160], v[113:120], v[72:79], v[129:136]
	s_waitcnt lgkmcnt(0)
	v_wmma_f32_16x16x16_f16 v[129:136], v[121:128], v[72:79], v[129:136]
	ds_load_b128 v[72:75], v86 offset:32
	ds_load_b128 v[76:79], v86 offset:48
	s_waitcnt lgkmcnt(0)
	v_wmma_f32_16x16x16_f16 v[137:144], v[72:79], v[64:71], v[137:144]
	ds_load_b128 v[72:75], v86 offset:2848
	ds_load_b128 v[76:79], v86 offset:2864
	;; [unrolled: 4-line block ×8, first 2 shown]
	ds_load_b128 v[40:43], v86 offset:96
	ds_load_b128 v[44:47], v86 offset:112
	s_waitcnt lgkmcnt(2)
	v_wmma_f32_16x16x16_f16 v[129:136], v[64:71], v[217:224], v[129:136]
	s_waitcnt lgkmcnt(0)
	v_wmma_f32_16x16x16_f16 v[137:144], v[40:47], v[48:55], v[137:144]
	ds_load_b128 v[40:43], v86 offset:2912
	ds_load_b128 v[44:47], v86 offset:2928
	s_waitcnt lgkmcnt(0)
	v_wmma_f32_16x16x16_f16 v[145:152], v[40:47], v[48:55], v[145:152]
	ds_load_b128 v[40:43], v86 offset:5728
	ds_load_b128 v[44:47], v86 offset:5744
	;; [unrolled: 4-line block ×4, first 2 shown]
	v_add3_u32 v48, 0, v100, v105
	s_waitcnt lgkmcnt(0)
	v_wmma_f32_16x16x16_f16 v[137:144], v[40:47], v[56:63], v[137:144]
	ds_load_b128 v[40:43], v86 offset:2944
	ds_load_b128 v[44:47], v86 offset:2960
	s_waitcnt lgkmcnt(0)
	v_wmma_f32_16x16x16_f16 v[145:152], v[40:47], v[56:63], v[145:152]
	ds_load_b128 v[40:43], v86 offset:5760
	ds_load_b128 v[44:47], v86 offset:5776
	;; [unrolled: 4-line block ×3, first 2 shown]
	s_waitcnt lgkmcnt(0)
	s_barrier
	buffer_gl0_inv
	v_wmma_f32_16x16x16_f16 v[129:136], v[40:47], v[56:63], v[129:136]
	ds_load_u16 v40, v48 offset:11264
	ds_load_u16 v41, v48 offset:11268
	;; [unrolled: 1-line block ×8, first 2 shown]
	s_waitcnt lgkmcnt(7)
	v_cvt_f32_f16_e32 v40, v40
	s_waitcnt lgkmcnt(6)
	v_cvt_f32_f16_e32 v49, v41
	;; [unrolled: 2-line block ×5, first 2 shown]
	v_add_f32_e32 v41, v137, v40
	s_waitcnt lgkmcnt(2)
	v_cvt_f32_f16_e32 v45, v45
	s_waitcnt lgkmcnt(0)
	v_cvt_f32_f16_e32 v47, v47
	v_dual_add_f32 v43, v140, v43 :: v_dual_add_f32 v40, v138, v49
	ds_load_u16 v49, v48 offset:11296
	ds_load_u16 v50, v48 offset:11300
	;; [unrolled: 1-line block ×8, first 2 shown]
	v_cvt_f32_f16_e32 v46, v46
	v_add_f32_e32 v47, v144, v47
	v_add_f32_e32 v45, v142, v45
	s_waitcnt lgkmcnt(7)
	v_cvt_f32_f16_e32 v49, v49
	s_waitcnt lgkmcnt(6)
	v_cvt_f32_f16_e32 v50, v50
	;; [unrolled: 2-line block ×8, first 2 shown]
	v_add_f32_e32 v98, v145, v49
	v_add_f32_e32 v100, v146, v50
	;; [unrolled: 1-line block ×8, first 2 shown]
	ds_load_u16 v49, v48 offset:11328
	ds_load_u16 v50, v48 offset:11332
	;; [unrolled: 1-line block ×8, first 2 shown]
	s_waitcnt lgkmcnt(7)
	v_cvt_f32_f16_e32 v49, v49
	s_waitcnt lgkmcnt(6)
	v_cvt_f32_f16_e32 v50, v50
	;; [unrolled: 2-line block ×7, first 2 shown]
	v_add_f32_e32 v42, v139, v42
	v_dual_add_f32 v44, v141, v44 :: v_dual_add_f32 v121, v154, v50
	v_dual_add_f32 v120, v153, v49 :: v_dual_add_f32 v119, v155, v51
	;; [unrolled: 1-line block ×4, first 2 shown]
	ds_load_u16 v49, v48 offset:11360
	ds_load_u16 v50, v48 offset:11364
	;; [unrolled: 1-line block ×8, first 2 shown]
	s_waitcnt lgkmcnt(8)
	v_cvt_f32_f16_e32 v56, v56
	s_delay_alu instid0(VALU_DEP_1)
	v_add_f32_e32 v114, v160, v56
	s_waitcnt lgkmcnt(7)
	v_cvt_f32_f16_e32 v49, v49
	s_waitcnt lgkmcnt(6)
	v_cvt_f32_f16_e32 v50, v50
	;; [unrolled: 2-line block ×5, first 2 shown]
	v_add_f32_e32 v46, v143, v46
	s_waitcnt lgkmcnt(1)
	v_cvt_f32_f16_e32 v55, v55
	s_waitcnt lgkmcnt(0)
	v_cvt_f32_f16_e32 v48, v48
	v_add_f32_e32 v113, v130, v50
	v_add_f32_e32 v109, v133, v53
	;; [unrolled: 1-line block ×3, first 2 shown]
	v_dual_add_f32 v107, v135, v55 :: v_dual_add_f32 v112, v129, v49
	v_add_f32_e32 v106, v136, v48
	v_dual_add_f32 v48, 0x40051340, v41 :: v_dual_add_f32 v49, 0x40051340, v40
	v_add_f32_e32 v50, 0x40051340, v43
	v_cvt_f32_f16_e32 v54, v54
	v_add_f32_e32 v110, v132, v52
	v_lshl_add_u32 v136, v208, 1, 0
	v_max3_f32 v48, v213, v48, v49
	v_add_f32_e32 v49, 0x40051340, v42
	v_add_f32_e32 v108, v134, v54
	v_lshl_add_u32 v132, v163, 1, 0
	v_lshl_add_u32 v135, v166, 1, 0
	;; [unrolled: 1-line block ×3, first 2 shown]
	v_max3_f32 v48, v48, v49, v50
	v_dual_add_f32 v49, 0x40051340, v44 :: v_dual_add_f32 v50, 0x40051340, v45
	v_lshl_add_u32 v134, v164, 1, 0
	v_lshl_add_u32 v133, v165, 1, 0
	s_delay_alu instid0(VALU_DEP_3) | instskip(SKIP_1) | instid1(VALU_DEP_1)
	v_max3_f32 v48, v48, v49, v50
	v_dual_add_f32 v49, 0x40051340, v46 :: v_dual_add_f32 v50, 0x40051340, v47
	v_max3_f32 v48, v48, v49, v50
	v_dual_add_f32 v49, 0x40051340, v98 :: v_dual_add_f32 v50, 0x40051340, v100
	s_delay_alu instid0(VALU_DEP_1) | instskip(SKIP_1) | instid1(VALU_DEP_1)
	v_max3_f32 v48, v48, v49, v50
	v_dual_add_f32 v49, 0x40051340, v96 :: v_dual_add_f32 v50, 0x40051340, v94
	v_max3_f32 v48, v48, v49, v50
	v_dual_add_f32 v49, 0x40051340, v92 :: v_dual_add_f32 v50, 0x40051340, v90
	s_delay_alu instid0(VALU_DEP_1) | instskip(SKIP_1) | instid1(VALU_DEP_1)
	;; [unrolled: 5-line block ×6, first 2 shown]
	v_max3_f32 v48, v48, v49, v50
	v_dual_add_f32 v49, 0x40051340, v107 :: v_dual_add_f32 v50, 0x40051340, v106
	v_max3_f32 v48, v48, v49, v50
	v_cndmask_b32_e32 v49, v103, v161, vcc_lo
	s_delay_alu instid0(VALU_DEP_1) | instskip(SKIP_3) | instid1(VALU_DEP_1)
	v_lshlrev_b32_e32 v103, 2, v49
	ds_bpermute_b32 v49, v103, v48
	s_waitcnt lgkmcnt(0)
	v_max_f32_e32 v49, v49, v49
	v_max_f32_e32 v102, v48, v49
	s_delay_alu instid0(VALU_DEP_1) | instskip(NEXT) | instid1(VALU_DEP_1)
	v_sub_f32_e32 v48, v213, v102
	v_mul_f32_e32 v49, 0x3fb8aa3b, v48
	v_sub_f32_e32 v41, v41, v102
	v_cmp_ngt_f32_e32 vcc_lo, 0xc2ce8ed0, v48
	v_sub_f32_e32 v40, v40, v102
	v_sub_f32_e32 v42, v42, v102
	v_fma_f32 v50, 0x3fb8aa3b, v48, -v49
	v_rndne_f32_e32 v51, v49
	v_sub_f32_e32 v44, v44, v102
	v_sub_f32_e32 v46, v46, v102
	v_cmp_ngt_f32_e64 s3, 0xc2ce8ed0, v42
	s_delay_alu instid0(VALU_DEP_4) | instskip(SKIP_1) | instid1(VALU_DEP_2)
	v_dual_fmac_f32 v50, 0x32a5705f, v48 :: v_dual_sub_f32 v49, v49, v51
	v_sub_f32_e32 v43, v43, v102
	v_add_f32_e32 v49, v49, v50
	v_cvt_i32_f32_e32 v50, v51
	s_delay_alu instid0(VALU_DEP_2) | instskip(SKIP_3) | instid1(VALU_DEP_2)
	v_exp_f32_e32 v49, v49
	s_waitcnt_depctr 0xfff
	v_ldexp_f32 v49, v49, v50
	v_lshlrev_b64 v[50:51], 2, v[169:170]
	v_cndmask_b32_e32 v49, 0, v49, vcc_lo
	v_cmp_nlt_f32_e32 vcc_lo, 0x42b17218, v48
	s_delay_alu instid0(VALU_DEP_2) | instskip(SKIP_1) | instid1(VALU_DEP_2)
	v_cndmask_b32_e32 v49, 0x7f800000, v49, vcc_lo
	v_cmp_le_f32_e32 vcc_lo, 0xc1a00000, v48
	v_cndmask_b32_e32 v122, 0, v49, vcc_lo
	v_lshlrev_b64 v[48:49], 2, v[215:216]
	s_delay_alu instid0(VALU_DEP_1) | instskip(NEXT) | instid1(VALU_DEP_2)
	v_add_co_u32 v48, vcc_lo, s0, v48
	v_add_co_ci_u32_e32 v49, vcc_lo, s1, v49, vcc_lo
	s_delay_alu instid0(VALU_DEP_2) | instskip(NEXT) | instid1(VALU_DEP_2)
	v_add_co_u32 v48, vcc_lo, v48, v82
	v_add_co_ci_u32_e32 v49, vcc_lo, v49, v83, vcc_lo
	v_add_co_u32 v50, vcc_lo, s0, v50
	v_add_co_ci_u32_e32 v51, vcc_lo, s1, v51, vcc_lo
	v_lshl_add_u32 v83, v167, 1, 0
	s_delay_alu instid0(VALU_DEP_3) | instskip(NEXT) | instid1(VALU_DEP_3)
	v_add_co_u32 v52, vcc_lo, v50, v80
	v_add_co_ci_u32_e32 v53, vcc_lo, v51, v81, vcc_lo
	s_clause 0x1
	global_load_b128 v[48:51], v[48:49], off
	global_load_b128 v[52:55], v[52:53], off
	s_waitcnt vmcnt(1)
	ds_store_b128 v85, v[48:51]
	s_waitcnt vmcnt(0)
	ds_store_b128 v87, v[52:55]
	v_lshlrev_b64 v[48:49], 2, v[187:188]
	s_delay_alu instid0(VALU_DEP_1) | instskip(NEXT) | instid1(VALU_DEP_2)
	v_add_co_u32 v50, vcc_lo, s0, v48
	v_add_co_ci_u32_e32 v51, vcc_lo, s1, v49, vcc_lo
	v_lshlrev_b64 v[48:49], 2, v[189:190]
	s_delay_alu instid0(VALU_DEP_1) | instskip(NEXT) | instid1(VALU_DEP_2)
	v_add_co_u32 v52, vcc_lo, s0, v48
	v_add_co_ci_u32_e32 v53, vcc_lo, s1, v49, vcc_lo
	v_add_co_u32 v48, vcc_lo, v50, v80
	v_add_co_ci_u32_e32 v49, vcc_lo, v51, v81, vcc_lo
	s_delay_alu instid0(VALU_DEP_4) | instskip(NEXT) | instid1(VALU_DEP_4)
	v_add_co_u32 v52, vcc_lo, v52, v80
	v_add_co_ci_u32_e32 v53, vcc_lo, v53, v81, vcc_lo
	s_clause 0x1
	global_load_b128 v[48:51], v[48:49], off
	global_load_b128 v[52:55], v[52:53], off
	s_waitcnt vmcnt(1)
	ds_store_b128 v89, v[48:51]
	s_waitcnt vmcnt(0)
	ds_store_b128 v91, v[52:55]
	v_lshlrev_b64 v[48:49], 2, v[177:178]
	s_delay_alu instid0(VALU_DEP_1) | instskip(NEXT) | instid1(VALU_DEP_2)
	v_add_co_u32 v48, vcc_lo, s0, v48
	v_add_co_ci_u32_e32 v49, vcc_lo, s1, v49, vcc_lo
	v_cmp_ngt_f32_e64 s1, 0xc2ce8ed0, v40
	s_delay_alu instid0(VALU_DEP_3) | instskip(NEXT) | instid1(VALU_DEP_3)
	v_add_co_u32 v48, vcc_lo, v48, v80
	v_add_co_ci_u32_e32 v49, vcc_lo, v49, v81, vcc_lo
	v_cmp_eq_u32_e64 s0, 0, v175
	v_lshl_add_u32 v81, v101, 1, 0
	global_load_b128 v[48:51], v[48:49], off
	s_waitcnt vmcnt(0)
	ds_store_b128 v84, v[48:51]
	v_mul_f32_e32 v48, 0x3fb8aa3b, v41
	s_waitcnt lgkmcnt(0)
	s_barrier
	buffer_gl0_inv
	v_fma_f32 v49, 0x3fb8aa3b, v41, -v48
	v_rndne_f32_e32 v50, v48
	s_delay_alu instid0(VALU_DEP_1) | instskip(NEXT) | instid1(VALU_DEP_1)
	v_dual_fmac_f32 v49, 0x32a5705f, v41 :: v_dual_sub_f32 v48, v48, v50
	v_add_f32_e32 v48, v48, v49
	v_cvt_i32_f32_e32 v49, v50
	v_cmp_ngt_f32_e32 vcc_lo, 0xc2ce8ed0, v41
	s_delay_alu instid0(VALU_DEP_3) | instskip(SKIP_2) | instid1(VALU_DEP_1)
	v_exp_f32_e32 v48, v48
	s_waitcnt_depctr 0xfff
	v_ldexp_f32 v48, v48, v49
	v_cndmask_b32_e32 v48, 0, v48, vcc_lo
	v_cmp_nlt_f32_e32 vcc_lo, 0x42b17218, v41
	s_delay_alu instid0(VALU_DEP_2) | instskip(SKIP_4) | instid1(VALU_DEP_4)
	v_cndmask_b32_e32 v123, 0x7f800000, v48, vcc_lo
	v_mul_f32_e32 v48, 0x3fb8aa3b, v40
	v_cmp_eq_u32_e32 vcc_lo, 1, v175
	v_sub_f32_e32 v45, v45, v102
	v_sub_f32_e32 v47, v47, v102
	v_fma_f32 v49, 0x3fb8aa3b, v40, -v48
	v_rndne_f32_e32 v50, v48
	s_delay_alu instid0(VALU_DEP_1)
	v_dual_fmac_f32 v49, 0x32a5705f, v40 :: v_dual_sub_f32 v48, v48, v50
	v_mul_f32_e32 v25, v25, v122
	ds_bpermute_b32 v41, v103, v123
	v_mul_f32_e32 v29, v29, v122
	v_mul_f32_e32 v32, v32, v122
	v_add_f32_e32 v48, v48, v49
	v_cvt_i32_f32_e32 v49, v50
	v_mul_f32_e32 v36, v36, v122
	v_mul_f32_e32 v26, v26, v122
	;; [unrolled: 1-line block ×3, first 2 shown]
	v_exp_f32_e32 v48, v48
	v_mul_f32_e32 v33, v33, v122
	v_mul_f32_e32 v35, v35, v122
	v_mul_f32_e32 v37, v37, v122
	v_mul_f32_e32 v39, v39, v122
	v_mul_f32_e32 v14, v14, v122
	v_mul_f32_e32 v15, v15, v122
	v_mul_f32_e32 v0, v0, v122
	v_mul_f32_e32 v1, v1, v122
	v_mul_f32_e32 v2, v2, v122
	v_ldexp_f32 v48, v48, v49
	v_mul_f32_e32 v3, v3, v122
	v_mul_f32_e32 v4, v4, v122
	;; [unrolled: 1-line block ×4, first 2 shown]
	v_cndmask_b32_e64 v48, 0, v48, s1
	v_cmp_nlt_f32_e64 s1, 0x42b17218, v40
	s_waitcnt lgkmcnt(0)
	v_cndmask_b32_e32 v40, v123, v41, vcc_lo
	v_cndmask_b32_e64 v41, v123, v41, s0
	v_mul_f32_e32 v7, v7, v122
	v_cndmask_b32_e64 v124, 0x7f800000, v48, s1
	v_cmp_eq_u32_e64 s1, 1, v214
	ds_bpermute_b32 v48, v103, v124
	v_cndmask_b32_e64 v49, v41, v124, s2
	v_cndmask_b32_e64 v50, v40, v124, s1
	v_mul_f32_e32 v27, v27, v122
	v_cvt_f16_f32_e32 v41, v41
	v_cvt_f16_f32_e32 v40, v40
	s_delay_alu instid0(VALU_DEP_1) | instskip(SKIP_3) | instid1(VALU_DEP_2)
	v_pack_b32_f16 v40, v41, v40
	s_waitcnt lgkmcnt(0)
	v_cndmask_b32_e64 v49, v49, v48, s0
	v_cndmask_b32_e32 v48, v50, v48, vcc_lo
	v_cvt_f16_f32_e32 v50, v49
	s_delay_alu instid0(VALU_DEP_2) | instskip(NEXT) | instid1(VALU_DEP_1)
	v_cvt_f16_f32_e32 v51, v48
	v_pack_b32_f16 v41, v50, v51
	v_mul_f32_e32 v50, 0x3fb8aa3b, v42
	s_delay_alu instid0(VALU_DEP_1) | instskip(SKIP_2) | instid1(VALU_DEP_2)
	v_fma_f32 v51, 0x3fb8aa3b, v42, -v50
	v_rndne_f32_e32 v52, v50
	v_mul_f32_e32 v31, v31, v122
	v_dual_fmac_f32 v51, 0x32a5705f, v42 :: v_dual_sub_f32 v50, v50, v52
	s_delay_alu instid0(VALU_DEP_1) | instskip(SKIP_1) | instid1(VALU_DEP_2)
	v_dual_mul_f32 v17, v17, v122 :: v_dual_add_f32 v50, v50, v51
	v_cvt_i32_f32_e32 v51, v52
	v_exp_f32_e32 v50, v50
	s_waitcnt_depctr 0xfff
	v_ldexp_f32 v50, v50, v51
	s_delay_alu instid0(VALU_DEP_1) | instskip(SKIP_1) | instid1(VALU_DEP_1)
	v_cndmask_b32_e64 v50, 0, v50, s3
	v_cmp_nlt_f32_e64 s3, 0x42b17218, v42
	v_cndmask_b32_e64 v125, 0x7f800000, v50, s3
	v_cmp_ngt_f32_e64 s3, 0xc2ce8ed0, v43
	s_delay_alu instid0(VALU_DEP_2) | instskip(SKIP_3) | instid1(VALU_DEP_1)
	v_cndmask_b32_e64 v42, v49, v125, s2
	ds_bpermute_b32 v49, v103, v125
	v_cndmask_b32_e64 v48, v48, v125, s1
	s_waitcnt lgkmcnt(0)
	v_dual_mul_f32 v19, v19, v122 :: v_dual_cndmask_b32 v48, v48, v49
	v_cndmask_b32_e64 v50, v42, v49, s0
	s_delay_alu instid0(VALU_DEP_2) | instskip(NEXT) | instid1(VALU_DEP_2)
	v_cvt_f16_f32_e32 v49, v48
	v_cvt_f16_f32_e32 v42, v50
	s_delay_alu instid0(VALU_DEP_1) | instskip(SKIP_1) | instid1(VALU_DEP_1)
	v_pack_b32_f16 v42, v42, v49
	v_mul_f32_e32 v49, 0x3fb8aa3b, v43
	v_fma_f32 v51, 0x3fb8aa3b, v43, -v49
	v_rndne_f32_e32 v52, v49
	s_delay_alu instid0(VALU_DEP_2) | instskip(NEXT) | instid1(VALU_DEP_2)
	v_dual_mul_f32 v34, v34, v122 :: v_dual_fmac_f32 v51, 0x32a5705f, v43
	v_sub_f32_e32 v49, v49, v52
	s_delay_alu instid0(VALU_DEP_1) | instskip(SKIP_1) | instid1(VALU_DEP_2)
	v_add_f32_e32 v49, v49, v51
	v_cvt_i32_f32_e32 v51, v52
	v_exp_f32_e32 v49, v49
	s_waitcnt_depctr 0xfff
	v_ldexp_f32 v49, v49, v51
	s_delay_alu instid0(VALU_DEP_1) | instskip(SKIP_1) | instid1(VALU_DEP_1)
	v_cndmask_b32_e64 v49, 0, v49, s3
	v_cmp_nlt_f32_e64 s3, 0x42b17218, v43
	v_cndmask_b32_e64 v126, 0x7f800000, v49, s3
	v_cmp_ngt_f32_e64 s3, 0xc2ce8ed0, v44
	ds_bpermute_b32 v49, v103, v126
	v_cndmask_b32_e64 v43, v50, v126, s2
	v_cndmask_b32_e64 v48, v48, v126, s1
	s_waitcnt lgkmcnt(0)
	s_delay_alu instid0(VALU_DEP_1) | instskip(NEXT) | instid1(VALU_DEP_3)
	v_dual_mul_f32 v21, v21, v122 :: v_dual_cndmask_b32 v48, v48, v49
	v_cndmask_b32_e64 v50, v43, v49, s0
	s_delay_alu instid0(VALU_DEP_2) | instskip(NEXT) | instid1(VALU_DEP_2)
	v_cvt_f16_f32_e32 v49, v48
	v_cvt_f16_f32_e32 v43, v50
	s_delay_alu instid0(VALU_DEP_1) | instskip(SKIP_1) | instid1(VALU_DEP_1)
	v_pack_b32_f16 v43, v43, v49
	v_mul_f32_e32 v49, 0x3fb8aa3b, v44
	v_fma_f32 v51, 0x3fb8aa3b, v44, -v49
	v_rndne_f32_e32 v52, v49
	s_delay_alu instid0(VALU_DEP_2) | instskip(NEXT) | instid1(VALU_DEP_2)
	v_dual_mul_f32 v38, v38, v122 :: v_dual_fmac_f32 v51, 0x32a5705f, v44
	v_dual_sub_f32 v49, v49, v52 :: v_dual_mul_f32 v24, v24, v122
	s_delay_alu instid0(VALU_DEP_1) | instskip(SKIP_1) | instid1(VALU_DEP_2)
	v_add_f32_e32 v49, v49, v51
	v_cvt_i32_f32_e32 v51, v52
	v_exp_f32_e32 v49, v49
	s_waitcnt_depctr 0xfff
	v_ldexp_f32 v49, v49, v51
	s_delay_alu instid0(VALU_DEP_1) | instskip(SKIP_1) | instid1(VALU_DEP_1)
	v_cndmask_b32_e64 v49, 0, v49, s3
	v_cmp_nlt_f32_e64 s3, 0x42b17218, v44
	v_cndmask_b32_e64 v127, 0x7f800000, v49, s3
	v_cmp_ngt_f32_e64 s3, 0xc2ce8ed0, v45
	ds_bpermute_b32 v49, v103, v127
	v_cndmask_b32_e64 v44, v50, v127, s2
	v_cndmask_b32_e64 v48, v48, v127, s1
	s_waitcnt lgkmcnt(0)
	s_delay_alu instid0(VALU_DEP_1) | instskip(NEXT) | instid1(VALU_DEP_3)
	v_dual_mul_f32 v23, v23, v122 :: v_dual_cndmask_b32 v48, v48, v49
	v_cndmask_b32_e64 v50, v44, v49, s0
	s_delay_alu instid0(VALU_DEP_2) | instskip(NEXT) | instid1(VALU_DEP_2)
	v_cvt_f16_f32_e32 v49, v48
	v_cvt_f16_f32_e32 v44, v50
	s_delay_alu instid0(VALU_DEP_1) | instskip(SKIP_1) | instid1(VALU_DEP_1)
	v_pack_b32_f16 v44, v44, v49
	v_mul_f32_e32 v49, 0x3fb8aa3b, v45
	v_fma_f32 v51, 0x3fb8aa3b, v45, -v49
	v_rndne_f32_e32 v52, v49
	v_mul_f32_e32 v28, v28, v122
	s_delay_alu instid0(VALU_DEP_3) | instskip(NEXT) | instid1(VALU_DEP_3)
	v_dual_mul_f32 v30, v30, v122 :: v_dual_fmac_f32 v51, 0x32a5705f, v45
	v_dual_sub_f32 v49, v49, v52 :: v_dual_mul_f32 v16, v16, v122
	s_delay_alu instid0(VALU_DEP_1) | instskip(SKIP_1) | instid1(VALU_DEP_2)
	v_add_f32_e32 v49, v49, v51
	v_cvt_i32_f32_e32 v51, v52
	v_exp_f32_e32 v49, v49
	s_waitcnt_depctr 0xfff
	v_ldexp_f32 v49, v49, v51
	s_delay_alu instid0(VALU_DEP_1) | instskip(SKIP_1) | instid1(VALU_DEP_1)
	v_cndmask_b32_e64 v49, 0, v49, s3
	v_cmp_nlt_f32_e64 s3, 0x42b17218, v45
	v_cndmask_b32_e64 v128, 0x7f800000, v49, s3
	v_cmp_ngt_f32_e64 s3, 0xc2ce8ed0, v46
	ds_bpermute_b32 v49, v103, v128
	v_cndmask_b32_e64 v45, v50, v128, s2
	v_cndmask_b32_e64 v48, v48, v128, s1
	s_waitcnt lgkmcnt(0)
	s_delay_alu instid0(VALU_DEP_1) | instskip(NEXT) | instid1(VALU_DEP_3)
	v_dual_mul_f32 v9, v9, v122 :: v_dual_cndmask_b32 v48, v48, v49
	v_cndmask_b32_e64 v50, v45, v49, s0
	s_delay_alu instid0(VALU_DEP_2) | instskip(NEXT) | instid1(VALU_DEP_2)
	v_cvt_f16_f32_e32 v49, v48
	v_cvt_f16_f32_e32 v45, v50
	s_delay_alu instid0(VALU_DEP_1) | instskip(SKIP_1) | instid1(VALU_DEP_1)
	v_pack_b32_f16 v45, v45, v49
	v_mul_f32_e32 v49, 0x3fb8aa3b, v46
	v_fma_f32 v51, 0x3fb8aa3b, v46, -v49
	v_rndne_f32_e32 v52, v49
	v_mul_f32_e32 v18, v18, v122
	s_delay_alu instid0(VALU_DEP_3) | instskip(NEXT) | instid1(VALU_DEP_3)
	v_fmac_f32_e32 v51, 0x32a5705f, v46
	v_dual_sub_f32 v49, v49, v52 :: v_dual_mul_f32 v20, v20, v122
	s_delay_alu instid0(VALU_DEP_1) | instskip(SKIP_1) | instid1(VALU_DEP_2)
	v_add_f32_e32 v49, v49, v51
	v_cvt_i32_f32_e32 v51, v52
	v_exp_f32_e32 v49, v49
	s_waitcnt_depctr 0xfff
	v_ldexp_f32 v49, v49, v51
	s_delay_alu instid0(VALU_DEP_1) | instskip(SKIP_1) | instid1(VALU_DEP_1)
	v_cndmask_b32_e64 v49, 0, v49, s3
	v_cmp_nlt_f32_e64 s3, 0x42b17218, v46
	v_cndmask_b32_e64 v129, 0x7f800000, v49, s3
	v_cmp_ngt_f32_e64 s3, 0xc2ce8ed0, v47
	ds_bpermute_b32 v49, v103, v129
	v_cndmask_b32_e64 v46, v50, v129, s2
	v_cndmask_b32_e64 v48, v48, v129, s1
	s_waitcnt lgkmcnt(0)
	s_delay_alu instid0(VALU_DEP_1) | instskip(NEXT) | instid1(VALU_DEP_3)
	v_dual_mul_f32 v11, v11, v122 :: v_dual_cndmask_b32 v48, v48, v49
	v_cndmask_b32_e64 v50, v46, v49, s0
	s_delay_alu instid0(VALU_DEP_2) | instskip(NEXT) | instid1(VALU_DEP_2)
	v_cvt_f16_f32_e32 v49, v48
	v_cvt_f16_f32_e32 v46, v50
	s_delay_alu instid0(VALU_DEP_1) | instskip(SKIP_1) | instid1(VALU_DEP_1)
	v_pack_b32_f16 v46, v46, v49
	v_mul_f32_e32 v49, 0x3fb8aa3b, v47
	v_fma_f32 v51, 0x3fb8aa3b, v47, -v49
	v_rndne_f32_e32 v52, v49
	v_mul_f32_e32 v8, v8, v122
	s_delay_alu instid0(VALU_DEP_3) | instskip(NEXT) | instid1(VALU_DEP_3)
	v_dual_mul_f32 v10, v10, v122 :: v_dual_fmac_f32 v51, 0x32a5705f, v47
	v_dual_sub_f32 v49, v49, v52 :: v_dual_mul_f32 v12, v12, v122
	s_delay_alu instid0(VALU_DEP_1) | instskip(SKIP_1) | instid1(VALU_DEP_2)
	v_add_f32_e32 v49, v49, v51
	v_cvt_i32_f32_e32 v51, v52
	v_exp_f32_e32 v49, v49
	s_waitcnt_depctr 0xfff
	v_ldexp_f32 v49, v49, v51
	s_delay_alu instid0(VALU_DEP_1) | instskip(SKIP_1) | instid1(VALU_DEP_1)
	v_cndmask_b32_e64 v49, 0, v49, s3
	v_cmp_nlt_f32_e64 s3, 0x42b17218, v47
	v_cndmask_b32_e64 v130, 0x7f800000, v49, s3
	ds_bpermute_b32 v49, v103, v130
	v_cndmask_b32_e64 v47, v50, v130, s2
	v_cndmask_b32_e64 v48, v48, v130, s1
	s_waitcnt lgkmcnt(0)
	s_delay_alu instid0(VALU_DEP_1) | instskip(NEXT) | instid1(VALU_DEP_3)
	v_dual_mul_f32 v13, v13, v122 :: v_dual_cndmask_b32 v48, v48, v49
	v_cndmask_b32_e64 v47, v47, v49, s0
	s_delay_alu instid0(VALU_DEP_2) | instskip(NEXT) | instid1(VALU_DEP_2)
	v_cvt_f16_f32_e32 v48, v48
	v_cvt_f16_f32_e32 v47, v47
	s_delay_alu instid0(VALU_DEP_1)
	v_pack_b32_f16 v47, v47, v48
	ds_load_u16 v55, v83
	ds_load_u16 v48, v136
	;; [unrolled: 1-line block ×4, first 2 shown]
	ds_load_u16 v61, v135 offset:32
	ds_load_u16 v56, v136 offset:32
	ds_load_u16 v49, v81
	ds_load_u16 v57, v81 offset:32
	ds_load_u16 v65, v81 offset:64
	;; [unrolled: 1-line block ×5, first 2 shown]
	ds_load_u16 v51, v134
	ds_load_u16 v59, v134 offset:32
	ds_load_u16 v67, v134 offset:64
	;; [unrolled: 1-line block ×3, first 2 shown]
	ds_load_u16 v52, v133
	ds_load_u16 v60, v133 offset:32
	ds_load_u16 v68, v133 offset:64
	;; [unrolled: 1-line block ×10, first 2 shown]
	s_waitcnt lgkmcnt(26)
	ds_load_u16_d16_hi v55, v136 offset:2640
	s_waitcnt lgkmcnt(23)
	ds_load_u16_d16_hi v61, v136 offset:1968
	s_waitcnt lgkmcnt(20)
	ds_load_u16_d16_hi v65, v136 offset:592
	ds_load_u16 v138, v81 offset:128
	ds_load_u16 v146, v81 offset:2816
	;; [unrolled: 1-line block ×8, first 2 shown]
	s_waitcnt lgkmcnt(7)
	ds_load_u16_d16_hi v138, v136 offset:656
	ds_load_u16_d16_hi v85, v136 offset:11216
	;; [unrolled: 1-line block ×3, first 2 shown]
	ds_load_u16 v137, v136 offset:128
	ds_load_u16_d16_hi v48, v136 offset:176
	ds_load_u16_d16_hi v56, v136 offset:208
	;; [unrolled: 1-line block ×4, first 2 shown]
	ds_load_u16 v58, v132 offset:32
	ds_load_u16 v66, v132 offset:64
	;; [unrolled: 1-line block ×7, first 2 shown]
	ds_load_u16_d16_hi v50, v136 offset:880
	ds_load_u16_d16_hi v73, v136 offset:624
	;; [unrolled: 1-line block ×5, first 2 shown]
	ds_load_u16 v141, v133 offset:128
	ds_load_u16 v149, v133 offset:2816
	;; [unrolled: 1-line block ×4, first 2 shown]
	ds_load_u16_d16_hi v60, v136 offset:1616
	ds_load_u16_d16_hi v68, v136 offset:1648
	;; [unrolled: 1-line block ×3, first 2 shown]
	ds_load_u16 v140, v134 offset:128
	ds_load_u16 v54, v131
	ds_load_u16 v62, v131 offset:32
	ds_load_u16 v70, v131 offset:64
	;; [unrolled: 1-line block ×6, first 2 shown]
	s_waitcnt lgkmcnt(31)
	ds_load_u16_d16_hi v137, v136 offset:304
	ds_load_u16 v80, v132 offset:8576
	ds_load_u16_d16_hi v51, v136 offset:1232
	s_waitcnt lgkmcnt(26)
	ds_load_u16_d16_hi v139, v136 offset:1008
	ds_load_u16 v82, v133 offset:8576
	ds_load_u16_d16_hi v53, v136 offset:1936
	s_waitcnt lgkmcnt(20)
	ds_load_u16_d16_hi v141, v136 offset:1712
	ds_load_u16 v148, v134 offset:2816
	ds_load_u16 v156, v134 offset:2848
	;; [unrolled: 1-line block ×7, first 2 shown]
	ds_load_u16_d16_hi v52, v136 offset:1584
	s_waitcnt lgkmcnt(22)
	ds_load_u16_d16_hi v140, v136 offset:1360
	ds_load_u16 v151, v131 offset:2816
	ds_load_u16 v159, v131 offset:2848
	;; [unrolled: 1-line block ×3, first 2 shown]
	s_waitcnt lgkmcnt(25)
	ds_load_u16_d16_hi v54, v136 offset:2288
	s_waitcnt lgkmcnt(25)
	ds_load_u16_d16_hi v62, v136 offset:2320
	s_waitcnt lgkmcnt(25)
	ds_load_u16_d16_hi v70, v136 offset:2352
	s_waitcnt lgkmcnt(25)
	ds_load_u16_d16_hi v78, v136 offset:2384
	s_waitcnt lgkmcnt(25)
	ds_load_u16_d16_hi v143, v136 offset:2416
	ds_load_u16 v150, v135 offset:2816
	ds_load_u16 v158, v135 offset:2848
	;; [unrolled: 1-line block ×7, first 2 shown]
	s_waitcnt lgkmcnt(32)
	ds_load_u16_d16_hi v142, v136 offset:2064
	ds_load_u16 v152, v83 offset:2816
	ds_load_u16 v160, v83 offset:2848
	;; [unrolled: 1-line block ×7, first 2 shown]
	ds_load_u16_d16_hi v63, v136 offset:2672
	ds_load_u16_d16_hi v71, v136 offset:2704
	;; [unrolled: 1-line block ×3, first 2 shown]
	s_waitcnt lgkmcnt(42)
	ds_load_u16_d16_hi v144, v136 offset:2768
	ds_load_u16 v145, v136 offset:2816
	ds_load_u16 v153, v136 offset:2848
	;; [unrolled: 1-line block ×3, first 2 shown]
	ds_load_u16_d16_hi v57, v136 offset:560
	ds_load_u16_d16_hi v58, v136 offset:912
	;; [unrolled: 1-line block ×6, first 2 shown]
	s_waitcnt lgkmcnt(32)
	v_wmma_f32_16x16x16_f16 v[32:39], v[48:55], v[40:47], v[32:39]
	s_waitcnt lgkmcnt(9)
	v_wmma_f32_16x16x16_f16 v[0:7], v[137:144], v[40:47], v[0:7]
	;; [unrolled: 2-line block ×5, first 2 shown]
	v_sub_f32_e32 v40, v100, v102
	s_delay_alu instid0(VALU_DEP_1) | instskip(SKIP_1) | instid1(VALU_DEP_2)
	v_mul_f32_e32 v41, 0x3fb8aa3b, v40
	v_cmp_ngt_f32_e64 s3, 0xc2ce8ed0, v40
	v_fma_f32 v42, 0x3fb8aa3b, v40, -v41
	v_rndne_f32_e32 v43, v41
	s_delay_alu instid0(VALU_DEP_1) | instskip(SKIP_1) | instid1(VALU_DEP_2)
	v_dual_fmac_f32 v42, 0x32a5705f, v40 :: v_dual_sub_f32 v41, v41, v43
	v_cvt_i32_f32_e32 v43, v43
	v_add_f32_e32 v41, v41, v42
	v_sub_f32_e32 v42, v98, v102
	s_delay_alu instid0(VALU_DEP_2) | instskip(NEXT) | instid1(VALU_DEP_1)
	v_exp_f32_e32 v41, v41
	v_mul_f32_e32 v44, 0x3fb8aa3b, v42
	v_cmp_ngt_f32_e64 s4, 0xc2ce8ed0, v42
	s_delay_alu instid0(VALU_DEP_2)
	v_fma_f32 v45, 0x3fb8aa3b, v42, -v44
	v_rndne_f32_e32 v46, v44
	s_waitcnt_depctr 0xfff
	v_ldexp_f32 v41, v41, v43
	v_fmac_f32_e32 v45, 0x32a5705f, v42
	v_sub_f32_e32 v44, v44, v46
	s_delay_alu instid0(VALU_DEP_3) | instskip(SKIP_1) | instid1(VALU_DEP_3)
	v_cndmask_b32_e64 v41, 0, v41, s3
	v_cmp_nlt_f32_e64 s3, 0x42b17218, v40
	v_add_f32_e32 v44, v44, v45
	s_delay_alu instid0(VALU_DEP_2) | instskip(NEXT) | instid1(VALU_DEP_2)
	v_cndmask_b32_e64 v49, 0x7f800000, v41, s3
	v_exp_f32_e32 v43, v44
	v_cvt_i32_f32_e32 v44, v46
	s_waitcnt_depctr 0xfff
	v_ldexp_f32 v43, v43, v44
	s_delay_alu instid0(VALU_DEP_1)
	v_cndmask_b32_e64 v40, 0, v43, s4
	v_cmp_nlt_f32_e64 s4, 0x42b17218, v42
	ds_bpermute_b32 v42, v103, v49
	v_cndmask_b32_e64 v48, 0x7f800000, v40, s4
	ds_bpermute_b32 v40, v103, v48
	s_waitcnt lgkmcnt(0)
	v_cndmask_b32_e64 v41, v48, v40, s0
	v_cndmask_b32_e32 v40, v48, v40, vcc_lo
	s_delay_alu instid0(VALU_DEP_2) | instskip(NEXT) | instid1(VALU_DEP_2)
	v_cndmask_b32_e64 v43, v41, v49, s2
	v_cndmask_b32_e64 v44, v40, v49, s1
	v_cvt_f16_f32_e32 v41, v41
	v_cvt_f16_f32_e32 v40, v40
	s_delay_alu instid0(VALU_DEP_4) | instskip(NEXT) | instid1(VALU_DEP_4)
	v_cndmask_b32_e64 v43, v43, v42, s0
	v_cndmask_b32_e32 v42, v44, v42, vcc_lo
	s_delay_alu instid0(VALU_DEP_3) | instskip(SKIP_1) | instid1(VALU_DEP_4)
	v_pack_b32_f16 v56, v41, v40
	v_sub_f32_e32 v40, v96, v102
	v_cvt_f16_f32_e32 v44, v43
	s_delay_alu instid0(VALU_DEP_4) | instskip(NEXT) | instid1(VALU_DEP_3)
	v_cvt_f16_f32_e32 v45, v42
	v_mul_f32_e32 v41, 0x3fb8aa3b, v40
	v_cmp_ngt_f32_e64 s3, 0xc2ce8ed0, v40
	s_delay_alu instid0(VALU_DEP_3) | instskip(NEXT) | instid1(VALU_DEP_3)
	v_pack_b32_f16 v57, v44, v45
	v_fma_f32 v44, 0x3fb8aa3b, v40, -v41
	v_rndne_f32_e32 v45, v41
	s_delay_alu instid0(VALU_DEP_1) | instskip(NEXT) | instid1(VALU_DEP_1)
	v_dual_fmac_f32 v44, 0x32a5705f, v40 :: v_dual_sub_f32 v41, v41, v45
	v_add_f32_e32 v41, v41, v44
	v_cvt_i32_f32_e32 v44, v45
	s_delay_alu instid0(VALU_DEP_2) | instskip(SKIP_2) | instid1(VALU_DEP_1)
	v_exp_f32_e32 v41, v41
	s_waitcnt_depctr 0xfff
	v_ldexp_f32 v41, v41, v44
	v_cndmask_b32_e64 v41, 0, v41, s3
	v_cmp_nlt_f32_e64 s3, 0x42b17218, v40
	s_delay_alu instid0(VALU_DEP_1) | instskip(NEXT) | instid1(VALU_DEP_1)
	v_cndmask_b32_e64 v50, 0x7f800000, v41, s3
	v_cndmask_b32_e64 v41, v42, v50, s1
	ds_bpermute_b32 v42, v103, v50
	v_cndmask_b32_e64 v40, v43, v50, s2
	s_waitcnt lgkmcnt(0)
	s_delay_alu instid0(VALU_DEP_1) | instskip(SKIP_1) | instid1(VALU_DEP_2)
	v_cndmask_b32_e64 v40, v40, v42, s0
	v_cndmask_b32_e32 v41, v41, v42, vcc_lo
	v_cvt_f16_f32_e32 v42, v40
	s_delay_alu instid0(VALU_DEP_2) | instskip(NEXT) | instid1(VALU_DEP_1)
	v_cvt_f16_f32_e32 v43, v41
	v_pack_b32_f16 v58, v42, v43
	v_sub_f32_e32 v42, v94, v102
	s_delay_alu instid0(VALU_DEP_1) | instskip(SKIP_1) | instid1(VALU_DEP_2)
	v_mul_f32_e32 v43, 0x3fb8aa3b, v42
	v_cmp_ngt_f32_e64 s3, 0xc2ce8ed0, v42
	v_fma_f32 v44, 0x3fb8aa3b, v42, -v43
	v_rndne_f32_e32 v45, v43
	s_delay_alu instid0(VALU_DEP_1) | instskip(NEXT) | instid1(VALU_DEP_1)
	v_dual_fmac_f32 v44, 0x32a5705f, v42 :: v_dual_sub_f32 v43, v43, v45
	v_add_f32_e32 v43, v43, v44
	v_cvt_i32_f32_e32 v44, v45
	s_delay_alu instid0(VALU_DEP_2) | instskip(SKIP_2) | instid1(VALU_DEP_1)
	v_exp_f32_e32 v43, v43
	s_waitcnt_depctr 0xfff
	v_ldexp_f32 v43, v43, v44
	v_cndmask_b32_e64 v43, 0, v43, s3
	v_cmp_nlt_f32_e64 s3, 0x42b17218, v42
	s_delay_alu instid0(VALU_DEP_1) | instskip(SKIP_4) | instid1(VALU_DEP_2)
	v_cndmask_b32_e64 v51, 0x7f800000, v43, s3
	ds_bpermute_b32 v42, v103, v51
	v_cndmask_b32_e64 v40, v40, v51, s2
	v_cndmask_b32_e64 v41, v41, v51, s1
	s_waitcnt lgkmcnt(0)
	v_cndmask_b32_e64 v40, v40, v42, s0
	s_delay_alu instid0(VALU_DEP_2) | instskip(NEXT) | instid1(VALU_DEP_2)
	v_cndmask_b32_e32 v41, v41, v42, vcc_lo
	v_cvt_f16_f32_e32 v42, v40
	s_delay_alu instid0(VALU_DEP_2) | instskip(NEXT) | instid1(VALU_DEP_1)
	v_cvt_f16_f32_e32 v43, v41
	v_pack_b32_f16 v59, v42, v43
	v_sub_f32_e32 v42, v92, v102
	s_delay_alu instid0(VALU_DEP_1) | instskip(SKIP_1) | instid1(VALU_DEP_2)
	v_mul_f32_e32 v43, 0x3fb8aa3b, v42
	v_cmp_ngt_f32_e64 s3, 0xc2ce8ed0, v42
	v_fma_f32 v44, 0x3fb8aa3b, v42, -v43
	v_rndne_f32_e32 v45, v43
	s_delay_alu instid0(VALU_DEP_1) | instskip(NEXT) | instid1(VALU_DEP_1)
	v_dual_fmac_f32 v44, 0x32a5705f, v42 :: v_dual_sub_f32 v43, v43, v45
	v_add_f32_e32 v43, v43, v44
	v_cvt_i32_f32_e32 v44, v45
	s_delay_alu instid0(VALU_DEP_2) | instskip(SKIP_2) | instid1(VALU_DEP_1)
	v_exp_f32_e32 v43, v43
	s_waitcnt_depctr 0xfff
	v_ldexp_f32 v43, v43, v44
	v_cndmask_b32_e64 v43, 0, v43, s3
	v_cmp_nlt_f32_e64 s3, 0x42b17218, v42
	s_delay_alu instid0(VALU_DEP_1) | instskip(SKIP_4) | instid1(VALU_DEP_2)
	v_cndmask_b32_e64 v52, 0x7f800000, v43, s3
	ds_bpermute_b32 v42, v103, v52
	v_cndmask_b32_e64 v40, v40, v52, s2
	v_cndmask_b32_e64 v41, v41, v52, s1
	s_waitcnt lgkmcnt(0)
	v_cndmask_b32_e64 v40, v40, v42, s0
	s_delay_alu instid0(VALU_DEP_2) | instskip(NEXT) | instid1(VALU_DEP_2)
	;; [unrolled: 29-line block ×4, first 2 shown]
	v_cndmask_b32_e32 v41, v41, v42, vcc_lo
	v_cvt_f16_f32_e32 v42, v40
	s_delay_alu instid0(VALU_DEP_2) | instskip(NEXT) | instid1(VALU_DEP_1)
	v_cvt_f16_f32_e32 v43, v41
	v_pack_b32_f16 v62, v42, v43
	v_sub_f32_e32 v42, v86, v102
	s_delay_alu instid0(VALU_DEP_1) | instskip(SKIP_1) | instid1(VALU_DEP_2)
	v_mul_f32_e32 v43, 0x3fb8aa3b, v42
	v_cmp_ngt_f32_e64 s3, 0xc2ce8ed0, v42
	v_fma_f32 v44, 0x3fb8aa3b, v42, -v43
	v_rndne_f32_e32 v45, v43
	s_delay_alu instid0(VALU_DEP_1) | instskip(NEXT) | instid1(VALU_DEP_1)
	v_dual_fmac_f32 v44, 0x32a5705f, v42 :: v_dual_sub_f32 v43, v43, v45
	v_add_f32_e32 v43, v43, v44
	v_cvt_i32_f32_e32 v44, v45
	s_delay_alu instid0(VALU_DEP_2) | instskip(SKIP_2) | instid1(VALU_DEP_1)
	v_exp_f32_e32 v43, v43
	s_waitcnt_depctr 0xfff
	v_ldexp_f32 v43, v43, v44
	v_cndmask_b32_e64 v43, 0, v43, s3
	v_cmp_nlt_f32_e64 s3, 0x42b17218, v42
	s_delay_alu instid0(VALU_DEP_1) | instskip(SKIP_4) | instid1(VALU_DEP_2)
	v_cndmask_b32_e64 v55, 0x7f800000, v43, s3
	ds_bpermute_b32 v42, v103, v55
	v_cndmask_b32_e64 v40, v40, v55, s2
	v_cndmask_b32_e64 v41, v41, v55, s1
	s_waitcnt lgkmcnt(0)
	v_cndmask_b32_e64 v40, v40, v42, s0
	s_delay_alu instid0(VALU_DEP_2)
	v_cndmask_b32_e32 v41, v41, v42, vcc_lo
	ds_load_u16_d16_hi v151, v136 offset:5104
	ds_load_u16_d16_hi v150, v136 offset:4752
	;; [unrolled: 1-line block ×4, first 2 shown]
	ds_load_u16 v170, v132 offset:2912
	ds_load_u16_d16_hi v149, v136 offset:4400
	ds_load_u16_d16_hi v157, v136 offset:4432
	;; [unrolled: 1-line block ×11, first 2 shown]
	ds_load_u16 v174, v131 offset:2912
	ds_load_u16 v178, v132 offset:2944
	ds_load_u16 v96, v132 offset:5632
	ds_load_u16 v88, v132 offset:5664
	ds_load_u16 v66, v132 offset:5696
	ds_load_u16 v139, v132 offset:5728
	ds_load_u16 v186, v132 offset:5760
	ds_load_u16 v42, v132 offset:8448
	s_waitcnt lgkmcnt(19)
	ds_load_u16_d16_hi v170, v136 offset:3792
	ds_load_u16_d16_hi v147, v136 offset:3696
	ds_load_u16_d16_hi v169, v136 offset:3440
	ds_load_u16_d16_hi v148, v136 offset:4048
	ds_load_u16_d16_hi v156, v136 offset:4080
	ds_load_u16_d16_hi v164, v136 offset:4112
	ds_load_u16_d16_hi v171, v136 offset:4144
	ds_load_u16 v180, v133 offset:2944
	ds_load_u16 v182, v131 offset:2944
	ds_load_u16 v100, v131 offset:5632
	ds_load_u16 v92, v131 offset:5664
	ds_load_u16 v70, v131 offset:5696
	ds_load_u16 v143, v131 offset:5728
	ds_load_u16 v190, v131 offset:5760
	ds_load_u16 v46, v131 offset:8448
	ds_load_u16_d16_hi v159, v136 offset:5136
	ds_load_u16_d16_hi v167, v136 offset:5168
	s_waitcnt lgkmcnt(24)
	ds_load_u16_d16_hi v174, v136 offset:5200
	ds_load_u16 v176, v136 offset:2944
	ds_load_u16_d16_hi v179, v136 offset:4176
	s_waitcnt lgkmcnt(26)
	ds_load_u16_d16_hi v178, v136 offset:3824
	ds_load_u16_d16_hi v158, v136 offset:4784
	;; [unrolled: 1-line block ×5, first 2 shown]
	ds_load_u16 v98, v133 offset:5632
	ds_load_u16 v90, v133 offset:5664
	;; [unrolled: 1-line block ×6, first 2 shown]
	s_waitcnt lgkmcnt(23)
	ds_load_u16_d16_hi v180, v136 offset:4528
	s_waitcnt lgkmcnt(23)
	ds_load_u16_d16_hi v182, v136 offset:5232
	ds_load_u16_d16_hi v154, v136 offset:3376
	s_waitcnt lgkmcnt(15)
	ds_load_u16_d16_hi v176, v136 offset:3120
	ds_load_u16 v172, v133 offset:2912
	ds_load_u16_d16_hi v165, v136 offset:4464
	v_cvt_f16_f32_e32 v40, v40
	v_cvt_f16_f32_e32 v41, v41
	s_delay_alu instid0(VALU_DEP_1) | instskip(SKIP_1) | instid1(VALU_DEP_2)
	v_pack_b32_f16 v63, v40, v41
	v_sub_f32_e32 v40, v121, v102
	v_wmma_f32_16x16x16_f16 v[32:39], v[145:152], v[56:63], v[32:39]
	s_delay_alu instid0(VALU_DEP_2) | instskip(SKIP_1) | instid1(VALU_DEP_2)
	v_mul_f32_e32 v41, 0x3fb8aa3b, v40
	v_cmp_ngt_f32_e64 s3, 0xc2ce8ed0, v40
	v_fma_f32 v43, 0x3fb8aa3b, v40, -v41
	s_waitcnt lgkmcnt(1)
	ds_load_u16_d16_hi v172, v136 offset:4496
	s_waitcnt lgkmcnt(1)
	v_wmma_f32_16x16x16_f16 v[16:23], v[161:168], v[56:63], v[16:23]
	ds_load_u16 v168, v136 offset:2912
	v_rndne_f32_e32 v45, v41
	s_waitcnt lgkmcnt(0)
	ds_load_u16_d16_hi v168, v136 offset:3088
	ds_load_u16_d16_hi v175, v136 offset:5552
	;; [unrolled: 1-line block ×3, first 2 shown]
	ds_load_u16 v94, v136 offset:5632
	ds_load_u16 v86, v136 offset:5664
	;; [unrolled: 1-line block ×5, first 2 shown]
	v_fmac_f32_e32 v43, 0x32a5705f, v40
	v_sub_f32_e32 v41, v41, v45
	v_wmma_f32_16x16x16_f16 v[24:31], v[153:160], v[56:63], v[24:31]
	v_cvt_i32_f32_e32 v45, v45
	s_delay_alu instid0(VALU_DEP_3) | instskip(SKIP_1) | instid1(VALU_DEP_2)
	v_add_f32_e32 v41, v41, v43
	v_sub_f32_e32 v43, v120, v102
	v_exp_f32_e32 v41, v41
	s_delay_alu instid0(VALU_DEP_1)
	v_mul_f32_e32 v47, 0x3fb8aa3b, v43
	s_waitcnt lgkmcnt(6)
	v_wmma_f32_16x16x16_f16 v[8:15], v[168:175], v[56:63], v[8:15]
	s_waitcnt lgkmcnt(5)
	v_wmma_f32_16x16x16_f16 v[0:7], v[176:183], v[56:63], v[0:7]
	v_cmp_ngt_f32_e64 s4, 0xc2ce8ed0, v43
	v_fma_f32 v56, 0x3fb8aa3b, v43, -v47
	v_rndne_f32_e32 v57, v47
	s_delay_alu instid0(TRANS32_DEP_1) | instskip(NEXT) | instid1(VALU_DEP_2)
	v_ldexp_f32 v41, v41, v45
	v_dual_fmac_f32 v56, 0x32a5705f, v43 :: v_dual_sub_f32 v47, v47, v57
	s_delay_alu instid0(VALU_DEP_2) | instskip(SKIP_1) | instid1(VALU_DEP_3)
	v_cndmask_b32_e64 v41, 0, v41, s3
	v_cmp_nlt_f32_e64 s3, 0x42b17218, v40
	v_add_f32_e32 v47, v47, v56
	s_delay_alu instid0(VALU_DEP_2) | instskip(NEXT) | instid1(VALU_DEP_2)
	v_cndmask_b32_e64 v73, 0x7f800000, v41, s3
	v_exp_f32_e32 v45, v47
	v_cvt_i32_f32_e32 v47, v57
	s_waitcnt_depctr 0xfff
	v_ldexp_f32 v45, v45, v47
	s_delay_alu instid0(VALU_DEP_1)
	v_cndmask_b32_e64 v40, 0, v45, s4
	v_cmp_nlt_f32_e64 s4, 0x42b17218, v43
	ds_bpermute_b32 v43, v103, v73
	v_cndmask_b32_e64 v72, 0x7f800000, v40, s4
	ds_bpermute_b32 v40, v103, v72
	s_waitcnt lgkmcnt(0)
	v_cndmask_b32_e64 v41, v72, v40, s0
	v_cndmask_b32_e32 v40, v72, v40, vcc_lo
	s_delay_alu instid0(VALU_DEP_2) | instskip(NEXT) | instid1(VALU_DEP_2)
	v_cndmask_b32_e64 v45, v41, v73, s2
	v_cndmask_b32_e64 v47, v40, v73, s1
	v_cvt_f16_f32_e32 v41, v41
	v_cvt_f16_f32_e32 v40, v40
	s_delay_alu instid0(VALU_DEP_4) | instskip(NEXT) | instid1(VALU_DEP_4)
	v_cndmask_b32_e64 v45, v45, v43, s0
	v_cndmask_b32_e32 v43, v47, v43, vcc_lo
	s_delay_alu instid0(VALU_DEP_3) | instskip(SKIP_1) | instid1(VALU_DEP_4)
	v_pack_b32_f16 v56, v41, v40
	v_sub_f32_e32 v40, v119, v102
	v_cvt_f16_f32_e32 v47, v45
	s_delay_alu instid0(VALU_DEP_4) | instskip(NEXT) | instid1(VALU_DEP_3)
	v_cvt_f16_f32_e32 v57, v43
	v_mul_f32_e32 v41, 0x3fb8aa3b, v40
	v_cmp_ngt_f32_e64 s3, 0xc2ce8ed0, v40
	s_delay_alu instid0(VALU_DEP_3) | instskip(NEXT) | instid1(VALU_DEP_3)
	v_pack_b32_f16 v57, v47, v57
	v_fma_f32 v47, 0x3fb8aa3b, v40, -v41
	v_rndne_f32_e32 v58, v41
	s_delay_alu instid0(VALU_DEP_2) | instskip(NEXT) | instid1(VALU_DEP_2)
	v_fmac_f32_e32 v47, 0x32a5705f, v40
	v_sub_f32_e32 v41, v41, v58
	s_delay_alu instid0(VALU_DEP_1) | instskip(SKIP_1) | instid1(VALU_DEP_2)
	v_add_f32_e32 v41, v41, v47
	v_cvt_i32_f32_e32 v47, v58
	v_exp_f32_e32 v41, v41
	s_waitcnt_depctr 0xfff
	v_ldexp_f32 v41, v41, v47
	s_delay_alu instid0(VALU_DEP_1) | instskip(SKIP_1) | instid1(VALU_DEP_1)
	v_cndmask_b32_e64 v41, 0, v41, s3
	v_cmp_nlt_f32_e64 s3, 0x42b17218, v40
	v_cndmask_b32_e64 v74, 0x7f800000, v41, s3
	s_delay_alu instid0(VALU_DEP_1) | instskip(SKIP_3) | instid1(VALU_DEP_1)
	v_cndmask_b32_e64 v41, v43, v74, s1
	ds_bpermute_b32 v43, v103, v74
	v_cndmask_b32_e64 v40, v45, v74, s2
	s_waitcnt lgkmcnt(0)
	v_cndmask_b32_e64 v40, v40, v43, s0
	v_cndmask_b32_e32 v41, v41, v43, vcc_lo
	s_delay_alu instid0(VALU_DEP_2) | instskip(NEXT) | instid1(VALU_DEP_2)
	v_cvt_f16_f32_e32 v43, v40
	v_cvt_f16_f32_e32 v45, v41
	s_delay_alu instid0(VALU_DEP_1) | instskip(SKIP_1) | instid1(VALU_DEP_1)
	v_pack_b32_f16 v58, v43, v45
	v_sub_f32_e32 v43, v118, v102
	v_mul_f32_e32 v45, 0x3fb8aa3b, v43
	v_cmp_ngt_f32_e64 s3, 0xc2ce8ed0, v43
	s_delay_alu instid0(VALU_DEP_2) | instskip(SKIP_1) | instid1(VALU_DEP_2)
	v_fma_f32 v47, 0x3fb8aa3b, v43, -v45
	v_rndne_f32_e32 v59, v45
	v_fmac_f32_e32 v47, 0x32a5705f, v43
	s_delay_alu instid0(VALU_DEP_2) | instskip(NEXT) | instid1(VALU_DEP_1)
	v_sub_f32_e32 v45, v45, v59
	v_add_f32_e32 v45, v45, v47
	v_cvt_i32_f32_e32 v47, v59
	s_delay_alu instid0(VALU_DEP_2) | instskip(SKIP_2) | instid1(VALU_DEP_1)
	v_exp_f32_e32 v45, v45
	s_waitcnt_depctr 0xfff
	v_ldexp_f32 v45, v45, v47
	v_cndmask_b32_e64 v45, 0, v45, s3
	v_cmp_nlt_f32_e64 s3, 0x42b17218, v43
	s_delay_alu instid0(VALU_DEP_1) | instskip(SKIP_4) | instid1(VALU_DEP_2)
	v_cndmask_b32_e64 v75, 0x7f800000, v45, s3
	ds_bpermute_b32 v43, v103, v75
	v_cndmask_b32_e64 v40, v40, v75, s2
	v_cndmask_b32_e64 v41, v41, v75, s1
	s_waitcnt lgkmcnt(0)
	v_cndmask_b32_e64 v40, v40, v43, s0
	s_delay_alu instid0(VALU_DEP_2) | instskip(NEXT) | instid1(VALU_DEP_2)
	v_cndmask_b32_e32 v41, v41, v43, vcc_lo
	v_cvt_f16_f32_e32 v43, v40
	s_delay_alu instid0(VALU_DEP_2) | instskip(NEXT) | instid1(VALU_DEP_1)
	v_cvt_f16_f32_e32 v45, v41
	v_pack_b32_f16 v59, v43, v45
	v_sub_f32_e32 v43, v117, v102
	s_delay_alu instid0(VALU_DEP_1) | instskip(SKIP_1) | instid1(VALU_DEP_2)
	v_mul_f32_e32 v45, 0x3fb8aa3b, v43
	v_cmp_ngt_f32_e64 s3, 0xc2ce8ed0, v43
	v_fma_f32 v47, 0x3fb8aa3b, v43, -v45
	v_rndne_f32_e32 v60, v45
	s_delay_alu instid0(VALU_DEP_2) | instskip(NEXT) | instid1(VALU_DEP_2)
	v_fmac_f32_e32 v47, 0x32a5705f, v43
	v_sub_f32_e32 v45, v45, v60
	s_delay_alu instid0(VALU_DEP_1) | instskip(SKIP_1) | instid1(VALU_DEP_2)
	v_add_f32_e32 v45, v45, v47
	v_cvt_i32_f32_e32 v47, v60
	v_exp_f32_e32 v45, v45
	s_waitcnt_depctr 0xfff
	v_ldexp_f32 v45, v45, v47
	s_delay_alu instid0(VALU_DEP_1) | instskip(SKIP_1) | instid1(VALU_DEP_1)
	v_cndmask_b32_e64 v45, 0, v45, s3
	v_cmp_nlt_f32_e64 s3, 0x42b17218, v43
	v_cndmask_b32_e64 v76, 0x7f800000, v45, s3
	ds_bpermute_b32 v43, v103, v76
	v_cndmask_b32_e64 v40, v40, v76, s2
	v_cndmask_b32_e64 v41, v41, v76, s1
	s_waitcnt lgkmcnt(0)
	s_delay_alu instid0(VALU_DEP_2) | instskip(NEXT) | instid1(VALU_DEP_2)
	v_cndmask_b32_e64 v40, v40, v43, s0
	v_cndmask_b32_e32 v41, v41, v43, vcc_lo
	s_delay_alu instid0(VALU_DEP_2) | instskip(NEXT) | instid1(VALU_DEP_2)
	v_cvt_f16_f32_e32 v43, v40
	v_cvt_f16_f32_e32 v45, v41
	s_delay_alu instid0(VALU_DEP_1) | instskip(SKIP_1) | instid1(VALU_DEP_1)
	v_pack_b32_f16 v60, v43, v45
	v_sub_f32_e32 v43, v116, v102
	v_mul_f32_e32 v45, 0x3fb8aa3b, v43
	v_cmp_ngt_f32_e64 s3, 0xc2ce8ed0, v43
	s_delay_alu instid0(VALU_DEP_2) | instskip(SKIP_1) | instid1(VALU_DEP_2)
	v_fma_f32 v47, 0x3fb8aa3b, v43, -v45
	v_rndne_f32_e32 v61, v45
	v_fmac_f32_e32 v47, 0x32a5705f, v43
	s_delay_alu instid0(VALU_DEP_2) | instskip(NEXT) | instid1(VALU_DEP_1)
	v_sub_f32_e32 v45, v45, v61
	v_add_f32_e32 v45, v45, v47
	v_cvt_i32_f32_e32 v47, v61
	s_delay_alu instid0(VALU_DEP_2) | instskip(SKIP_2) | instid1(VALU_DEP_1)
	v_exp_f32_e32 v45, v45
	s_waitcnt_depctr 0xfff
	v_ldexp_f32 v45, v45, v47
	v_cndmask_b32_e64 v45, 0, v45, s3
	v_cmp_nlt_f32_e64 s3, 0x42b17218, v43
	s_delay_alu instid0(VALU_DEP_1) | instskip(SKIP_4) | instid1(VALU_DEP_1)
	v_cndmask_b32_e64 v77, 0x7f800000, v45, s3
	ds_bpermute_b32 v43, v103, v77
	v_cndmask_b32_e64 v41, v41, v77, s1
	v_cndmask_b32_e64 v40, v40, v77, s2
	s_waitcnt lgkmcnt(0)
	v_cndmask_b32_e64 v40, v40, v43, s0
	s_delay_alu instid0(VALU_DEP_3) | instskip(NEXT) | instid1(VALU_DEP_2)
	v_cndmask_b32_e32 v41, v41, v43, vcc_lo
	v_cvt_f16_f32_e32 v43, v40
	s_delay_alu instid0(VALU_DEP_2) | instskip(NEXT) | instid1(VALU_DEP_1)
	v_cvt_f16_f32_e32 v45, v41
	v_pack_b32_f16 v61, v43, v45
	v_sub_f32_e32 v43, v115, v102
	s_delay_alu instid0(VALU_DEP_1) | instskip(SKIP_1) | instid1(VALU_DEP_2)
	v_mul_f32_e32 v45, 0x3fb8aa3b, v43
	v_cmp_ngt_f32_e64 s3, 0xc2ce8ed0, v43
	v_fma_f32 v47, 0x3fb8aa3b, v43, -v45
	v_rndne_f32_e32 v62, v45
	s_delay_alu instid0(VALU_DEP_2) | instskip(NEXT) | instid1(VALU_DEP_2)
	v_fmac_f32_e32 v47, 0x32a5705f, v43
	v_sub_f32_e32 v45, v45, v62
	s_delay_alu instid0(VALU_DEP_1) | instskip(SKIP_1) | instid1(VALU_DEP_2)
	v_add_f32_e32 v45, v45, v47
	v_cvt_i32_f32_e32 v47, v62
	v_exp_f32_e32 v45, v45
	s_waitcnt_depctr 0xfff
	v_ldexp_f32 v45, v45, v47
	s_delay_alu instid0(VALU_DEP_1) | instskip(SKIP_1) | instid1(VALU_DEP_1)
	v_cndmask_b32_e64 v45, 0, v45, s3
	v_cmp_nlt_f32_e64 s3, 0x42b17218, v43
	v_cndmask_b32_e64 v121, 0x7f800000, v45, s3
	ds_bpermute_b32 v43, v103, v121
	v_cndmask_b32_e64 v41, v41, v121, s1
	v_cndmask_b32_e64 v40, v40, v121, s2
	s_waitcnt lgkmcnt(0)
	s_delay_alu instid0(VALU_DEP_1) | instskip(NEXT) | instid1(VALU_DEP_3)
	v_cndmask_b32_e64 v40, v40, v43, s0
	v_cndmask_b32_e32 v41, v41, v43, vcc_lo
	s_delay_alu instid0(VALU_DEP_2) | instskip(NEXT) | instid1(VALU_DEP_2)
	v_cvt_f16_f32_e32 v43, v40
	v_cvt_f16_f32_e32 v45, v41
	s_delay_alu instid0(VALU_DEP_1) | instskip(SKIP_1) | instid1(VALU_DEP_1)
	v_pack_b32_f16 v62, v43, v45
	v_sub_f32_e32 v43, v114, v102
	v_mul_f32_e32 v45, 0x3fb8aa3b, v43
	v_cmp_ngt_f32_e64 s3, 0xc2ce8ed0, v43
	s_delay_alu instid0(VALU_DEP_2) | instskip(SKIP_1) | instid1(VALU_DEP_2)
	v_fma_f32 v47, 0x3fb8aa3b, v43, -v45
	v_rndne_f32_e32 v63, v45
	v_fmac_f32_e32 v47, 0x32a5705f, v43
	s_delay_alu instid0(VALU_DEP_2) | instskip(NEXT) | instid1(VALU_DEP_1)
	v_sub_f32_e32 v45, v45, v63
	v_add_f32_e32 v45, v45, v47
	v_cvt_i32_f32_e32 v47, v63
	s_delay_alu instid0(VALU_DEP_2) | instskip(SKIP_2) | instid1(VALU_DEP_1)
	v_exp_f32_e32 v45, v45
	s_waitcnt_depctr 0xfff
	v_ldexp_f32 v45, v45, v47
	v_cndmask_b32_e64 v45, 0, v45, s3
	v_cmp_nlt_f32_e64 s3, 0x42b17218, v43
	s_delay_alu instid0(VALU_DEP_1) | instskip(SKIP_4) | instid1(VALU_DEP_1)
	v_cndmask_b32_e64 v160, 0x7f800000, v45, s3
	ds_bpermute_b32 v43, v103, v160
	v_cndmask_b32_e64 v41, v41, v160, s1
	v_cndmask_b32_e64 v40, v40, v160, s2
	s_waitcnt lgkmcnt(0)
	v_cndmask_b32_e64 v40, v40, v43, s0
	s_delay_alu instid0(VALU_DEP_3) | instskip(NEXT) | instid1(VALU_DEP_2)
	v_cndmask_b32_e32 v41, v41, v43, vcc_lo
	v_cvt_f16_f32_e32 v40, v40
	s_delay_alu instid0(VALU_DEP_2) | instskip(NEXT) | instid1(VALU_DEP_1)
	v_cvt_f16_f32_e32 v41, v41
	v_pack_b32_f16 v63, v40, v41
	ds_load_u16 v69, v135 offset:5696
	ds_load_u16 v142, v135 offset:5728
	;; [unrolled: 1-line block ×23, first 2 shown]
	ds_load_u16_d16_hi v95, v136 offset:6160
	ds_load_u16_d16_hi v98, v136 offset:7216
	;; [unrolled: 1-line block ×11, first 2 shown]
	s_waitcnt lgkmcnt(18)
	ds_load_u16_d16_hi v65, v136 offset:6224
	s_waitcnt lgkmcnt(18)
	ds_load_u16_d16_hi v138, v136 offset:6256
	ds_load_u16 v187, v134 offset:5760
	ds_load_u16_d16_hi v96, v136 offset:6512
	ds_load_u16_d16_hi v88, v136 offset:6544
	;; [unrolled: 1-line block ×11, first 2 shown]
	s_waitcnt lgkmcnt(30)
	ds_load_u16_d16_hi v185, v136 offset:6288
	ds_load_u16_d16_hi v90, v136 offset:7248
	;; [unrolled: 1-line block ×5, first 2 shown]
	ds_load_u16 v43, v134 offset:8448
	ds_load_u16 v116, v134 offset:8480
	;; [unrolled: 1-line block ×5, first 2 shown]
	s_waitcnt lgkmcnt(21)
	ds_load_u16_d16_hi v187, v136 offset:6992
	ds_load_u16_d16_hi v189, v136 offset:7696
	;; [unrolled: 1-line block ×6, first 2 shown]
	ds_load_u16 v40, v136 offset:8448
	ds_load_u16_d16_hi v190, v136 offset:8048
	ds_load_u16_d16_hi v87, v136 offset:6192
	ds_load_u16 v67, v134 offset:5696
	ds_load_u16 v140, v134 offset:5728
	s_waitcnt lgkmcnt(1)
	ds_load_u16_d16_hi v67, v136 offset:6928
	s_waitcnt lgkmcnt(1)
	ds_load_u16_d16_hi v140, v136 offset:6960
	ds_load_u16_d16_hi v143, v136 offset:8016
	v_wmma_f32_16x16x16_f16 v[32:39], v[94:101], v[56:63], v[32:39]
	v_wmma_f32_16x16x16_f16 v[24:31], v[86:93], v[56:63], v[24:31]
	;; [unrolled: 1-line block ×3, first 2 shown]
	ds_load_u16 v115, v132 offset:8480
	ds_load_u16 v146, v132 offset:8512
	;; [unrolled: 1-line block ×9, first 2 shown]
	ds_load_u16_d16_hi v47, v136 offset:11088
	ds_load_u16_d16_hi v45, v136 offset:10384
	;; [unrolled: 1-line block ×10, first 2 shown]
	s_waitcnt lgkmcnt(21)
	v_wmma_f32_16x16x16_f16 v[16:23], v[64:71], v[56:63], v[16:23]
	s_waitcnt lgkmcnt(19)
	v_wmma_f32_16x16x16_f16 v[8:15], v[137:144], v[56:63], v[8:15]
	v_sub_f32_e32 v56, v113, v102
	s_delay_alu instid0(VALU_DEP_1) | instskip(SKIP_1) | instid1(VALU_DEP_2)
	v_mul_f32_e32 v57, 0x3fb8aa3b, v56
	v_cmp_ngt_f32_e64 s3, 0xc2ce8ed0, v56
	v_fma_f32 v58, 0x3fb8aa3b, v56, -v57
	v_rndne_f32_e32 v59, v57
	s_delay_alu instid0(VALU_DEP_1) | instskip(SKIP_1) | instid1(VALU_DEP_2)
	v_dual_fmac_f32 v58, 0x32a5705f, v56 :: v_dual_sub_f32 v57, v57, v59
	v_cvt_i32_f32_e32 v59, v59
	v_add_f32_e32 v57, v57, v58
	v_sub_f32_e32 v58, v112, v102
	s_delay_alu instid0(VALU_DEP_2) | instskip(NEXT) | instid1(VALU_DEP_1)
	v_exp_f32_e32 v57, v57
	v_mul_f32_e32 v60, 0x3fb8aa3b, v58
	v_cmp_ngt_f32_e64 s4, 0xc2ce8ed0, v58
	s_delay_alu instid0(VALU_DEP_2)
	v_fma_f32 v61, 0x3fb8aa3b, v58, -v60
	v_rndne_f32_e32 v62, v60
	s_waitcnt_depctr 0xfff
	v_ldexp_f32 v57, v57, v59
	v_fmac_f32_e32 v61, 0x32a5705f, v58
	v_sub_f32_e32 v60, v60, v62
	s_delay_alu instid0(VALU_DEP_3) | instskip(SKIP_1) | instid1(VALU_DEP_3)
	v_cndmask_b32_e64 v57, 0, v57, s3
	v_cmp_nlt_f32_e64 s3, 0x42b17218, v56
	v_add_f32_e32 v60, v60, v61
	s_delay_alu instid0(VALU_DEP_2) | instskip(NEXT) | instid1(VALU_DEP_2)
	v_cndmask_b32_e64 v65, 0x7f800000, v57, s3
	v_exp_f32_e32 v59, v60
	v_cvt_i32_f32_e32 v60, v62
	s_waitcnt_depctr 0xfff
	v_ldexp_f32 v59, v59, v60
	s_delay_alu instid0(VALU_DEP_1)
	v_cndmask_b32_e64 v56, 0, v59, s4
	v_cmp_nlt_f32_e64 s4, 0x42b17218, v58
	ds_bpermute_b32 v58, v103, v65
	v_cndmask_b32_e64 v64, 0x7f800000, v56, s4
	ds_bpermute_b32 v56, v103, v64
	s_waitcnt lgkmcnt(0)
	v_cndmask_b32_e64 v57, v64, v56, s0
	v_cndmask_b32_e32 v56, v64, v56, vcc_lo
	s_delay_alu instid0(VALU_DEP_2) | instskip(NEXT) | instid1(VALU_DEP_2)
	v_cndmask_b32_e64 v59, v57, v65, s2
	v_cndmask_b32_e64 v60, v56, v65, s1
	v_cvt_f16_f32_e32 v57, v57
	v_cvt_f16_f32_e32 v56, v56
	s_delay_alu instid0(VALU_DEP_4) | instskip(NEXT) | instid1(VALU_DEP_4)
	v_cndmask_b32_e64 v59, v59, v58, s0
	v_cndmask_b32_e32 v58, v60, v58, vcc_lo
	s_delay_alu instid0(VALU_DEP_3) | instskip(NEXT) | instid1(VALU_DEP_3)
	v_pack_b32_f16 v56, v57, v56
	v_cvt_f16_f32_e32 v60, v59
	s_delay_alu instid0(VALU_DEP_3) | instskip(NEXT) | instid1(VALU_DEP_1)
	v_cvt_f16_f32_e32 v61, v58
	v_pack_b32_f16 v57, v60, v61
	v_sub_f32_e32 v60, v111, v102
	s_delay_alu instid0(VALU_DEP_1) | instskip(SKIP_1) | instid1(VALU_DEP_2)
	v_mul_f32_e32 v61, 0x3fb8aa3b, v60
	v_cmp_ngt_f32_e64 s3, 0xc2ce8ed0, v60
	v_fma_f32 v62, 0x3fb8aa3b, v60, -v61
	v_rndne_f32_e32 v63, v61
	s_delay_alu instid0(VALU_DEP_1) | instskip(NEXT) | instid1(VALU_DEP_1)
	v_dual_fmac_f32 v62, 0x32a5705f, v60 :: v_dual_sub_f32 v61, v61, v63
	v_add_f32_e32 v61, v61, v62
	v_cvt_i32_f32_e32 v62, v63
	s_delay_alu instid0(VALU_DEP_2) | instskip(SKIP_2) | instid1(VALU_DEP_1)
	v_exp_f32_e32 v61, v61
	s_waitcnt_depctr 0xfff
	v_ldexp_f32 v61, v61, v62
	v_cndmask_b32_e64 v61, 0, v61, s3
	v_cmp_nlt_f32_e64 s3, 0x42b17218, v60
	s_delay_alu instid0(VALU_DEP_1) | instskip(SKIP_4) | instid1(VALU_DEP_2)
	v_cndmask_b32_e64 v66, 0x7f800000, v61, s3
	ds_bpermute_b32 v60, v103, v66
	v_cndmask_b32_e64 v59, v59, v66, s2
	v_cndmask_b32_e64 v58, v58, v66, s1
	s_waitcnt lgkmcnt(0)
	v_cndmask_b32_e64 v59, v59, v60, s0
	s_delay_alu instid0(VALU_DEP_2) | instskip(NEXT) | instid1(VALU_DEP_2)
	v_cndmask_b32_e32 v60, v58, v60, vcc_lo
	v_cvt_f16_f32_e32 v58, v59
	s_delay_alu instid0(VALU_DEP_2) | instskip(NEXT) | instid1(VALU_DEP_1)
	v_cvt_f16_f32_e32 v61, v60
	v_pack_b32_f16 v58, v58, v61
	v_sub_f32_e32 v61, v110, v102
	s_delay_alu instid0(VALU_DEP_1) | instskip(SKIP_1) | instid1(VALU_DEP_2)
	v_mul_f32_e32 v62, 0x3fb8aa3b, v61
	v_cmp_ngt_f32_e64 s3, 0xc2ce8ed0, v61
	v_fma_f32 v63, 0x3fb8aa3b, v61, -v62
	v_rndne_f32_e32 v67, v62
	s_delay_alu instid0(VALU_DEP_1) | instskip(NEXT) | instid1(VALU_DEP_1)
	v_dual_fmac_f32 v63, 0x32a5705f, v61 :: v_dual_sub_f32 v62, v62, v67
	v_add_f32_e32 v62, v62, v63
	v_cvt_i32_f32_e32 v63, v67
	s_delay_alu instid0(VALU_DEP_2) | instskip(SKIP_2) | instid1(VALU_DEP_1)
	v_exp_f32_e32 v62, v62
	s_waitcnt_depctr 0xfff
	v_ldexp_f32 v62, v62, v63
	v_cndmask_b32_e64 v62, 0, v62, s3
	v_cmp_nlt_f32_e64 s3, 0x42b17218, v61
	s_delay_alu instid0(VALU_DEP_1) | instskip(SKIP_4) | instid1(VALU_DEP_2)
	v_cndmask_b32_e64 v67, 0x7f800000, v62, s3
	ds_bpermute_b32 v61, v103, v67
	v_cndmask_b32_e64 v59, v59, v67, s2
	v_cndmask_b32_e64 v60, v60, v67, s1
	s_waitcnt lgkmcnt(0)
	v_cndmask_b32_e64 v62, v59, v61, s0
	s_delay_alu instid0(VALU_DEP_2) | instskip(NEXT) | instid1(VALU_DEP_2)
	v_cndmask_b32_e32 v60, v60, v61, vcc_lo
	v_cvt_f16_f32_e32 v59, v62
	s_delay_alu instid0(VALU_DEP_2) | instskip(NEXT) | instid1(VALU_DEP_1)
	v_cvt_f16_f32_e32 v61, v60
	v_pack_b32_f16 v59, v59, v61
	v_sub_f32_e32 v61, v109, v102
	s_delay_alu instid0(VALU_DEP_1) | instskip(SKIP_1) | instid1(VALU_DEP_2)
	v_mul_f32_e32 v63, 0x3fb8aa3b, v61
	v_cmp_ngt_f32_e64 s3, 0xc2ce8ed0, v61
	v_fma_f32 v68, 0x3fb8aa3b, v61, -v63
	v_rndne_f32_e32 v69, v63
	s_delay_alu instid0(VALU_DEP_2) | instskip(NEXT) | instid1(VALU_DEP_2)
	v_fmac_f32_e32 v68, 0x32a5705f, v61
	v_sub_f32_e32 v63, v63, v69
	s_delay_alu instid0(VALU_DEP_1) | instskip(SKIP_1) | instid1(VALU_DEP_2)
	v_add_f32_e32 v63, v63, v68
	v_cvt_i32_f32_e32 v68, v69
	v_exp_f32_e32 v63, v63
	s_waitcnt_depctr 0xfff
	v_ldexp_f32 v63, v63, v68
	s_delay_alu instid0(VALU_DEP_1) | instskip(SKIP_1) | instid1(VALU_DEP_1)
	v_cndmask_b32_e64 v63, 0, v63, s3
	v_cmp_nlt_f32_e64 s3, 0x42b17218, v61
	v_cndmask_b32_e64 v68, 0x7f800000, v63, s3
	s_delay_alu instid0(VALU_DEP_1) | instskip(SKIP_4) | instid1(VALU_DEP_2)
	v_cndmask_b32_e64 v61, v62, v68, s2
	ds_bpermute_b32 v62, v103, v68
	v_cndmask_b32_e64 v60, v60, v68, s1
	s_waitcnt lgkmcnt(0)
	v_cndmask_b32_e64 v61, v61, v62, s0
	v_cndmask_b32_e32 v62, v60, v62, vcc_lo
	s_delay_alu instid0(VALU_DEP_2) | instskip(NEXT) | instid1(VALU_DEP_2)
	v_cvt_f16_f32_e32 v60, v61
	v_cvt_f16_f32_e32 v63, v62
	s_delay_alu instid0(VALU_DEP_1) | instskip(SKIP_1) | instid1(VALU_DEP_1)
	v_pack_b32_f16 v60, v60, v63
	v_sub_f32_e32 v63, v108, v102
	v_mul_f32_e32 v69, 0x3fb8aa3b, v63
	v_cmp_ngt_f32_e64 s3, 0xc2ce8ed0, v63
	s_delay_alu instid0(VALU_DEP_2) | instskip(SKIP_1) | instid1(VALU_DEP_2)
	v_fma_f32 v70, 0x3fb8aa3b, v63, -v69
	v_rndne_f32_e32 v71, v69
	v_fmac_f32_e32 v70, 0x32a5705f, v63
	s_delay_alu instid0(VALU_DEP_2) | instskip(NEXT) | instid1(VALU_DEP_1)
	v_sub_f32_e32 v69, v69, v71
	v_add_f32_e32 v69, v69, v70
	v_cvt_i32_f32_e32 v70, v71
	s_delay_alu instid0(VALU_DEP_2) | instskip(SKIP_2) | instid1(VALU_DEP_1)
	v_exp_f32_e32 v69, v69
	s_waitcnt_depctr 0xfff
	v_ldexp_f32 v69, v69, v70
	v_cndmask_b32_e64 v69, 0, v69, s3
	v_cmp_nlt_f32_e64 s3, 0x42b17218, v63
	s_delay_alu instid0(VALU_DEP_1) | instskip(SKIP_4) | instid1(VALU_DEP_2)
	v_cndmask_b32_e64 v69, 0x7f800000, v69, s3
	ds_bpermute_b32 v63, v103, v69
	v_cndmask_b32_e64 v61, v61, v69, s2
	v_cndmask_b32_e64 v62, v62, v69, s1
	s_waitcnt lgkmcnt(0)
	v_cndmask_b32_e64 v70, v61, v63, s0
	s_delay_alu instid0(VALU_DEP_2) | instskip(NEXT) | instid1(VALU_DEP_2)
	v_cndmask_b32_e32 v62, v62, v63, vcc_lo
	v_cvt_f16_f32_e32 v61, v70
	s_delay_alu instid0(VALU_DEP_2) | instskip(NEXT) | instid1(VALU_DEP_1)
	v_cvt_f16_f32_e32 v63, v62
	v_pack_b32_f16 v61, v61, v63
	v_sub_f32_e32 v63, v107, v102
	s_delay_alu instid0(VALU_DEP_1) | instskip(SKIP_1) | instid1(VALU_DEP_2)
	v_mul_f32_e32 v71, 0x3fb8aa3b, v63
	v_cmp_ngt_f32_e64 s3, 0xc2ce8ed0, v63
	v_fma_f32 v78, 0x3fb8aa3b, v63, -v71
	v_rndne_f32_e32 v86, v71
	s_delay_alu instid0(VALU_DEP_1) | instskip(NEXT) | instid1(VALU_DEP_1)
	v_dual_fmac_f32 v78, 0x32a5705f, v63 :: v_dual_sub_f32 v71, v71, v86
	v_add_f32_e32 v71, v71, v78
	v_cvt_i32_f32_e32 v78, v86
	s_delay_alu instid0(VALU_DEP_2) | instskip(SKIP_2) | instid1(VALU_DEP_1)
	v_exp_f32_e32 v71, v71
	s_waitcnt_depctr 0xfff
	v_ldexp_f32 v71, v71, v78
	v_cndmask_b32_e64 v71, 0, v71, s3
	v_cmp_nlt_f32_e64 s3, 0x42b17218, v63
	s_delay_alu instid0(VALU_DEP_1) | instskip(NEXT) | instid1(VALU_DEP_1)
	v_cndmask_b32_e64 v71, 0x7f800000, v71, s3
	v_cndmask_b32_e64 v63, v70, v71, s2
	ds_bpermute_b32 v70, v103, v71
	v_cndmask_b32_e64 v62, v62, v71, s1
	s_waitcnt lgkmcnt(0)
	v_cndmask_b32_e64 v63, v63, v70, s0
	s_delay_alu instid0(VALU_DEP_2) | instskip(NEXT) | instid1(VALU_DEP_2)
	v_cndmask_b32_e32 v70, v62, v70, vcc_lo
	v_cvt_f16_f32_e32 v62, v63
	s_delay_alu instid0(VALU_DEP_2) | instskip(NEXT) | instid1(VALU_DEP_1)
	v_cvt_f16_f32_e32 v78, v70
	v_pack_b32_f16 v62, v62, v78
	v_sub_f32_e32 v78, v106, v102
	s_delay_alu instid0(VALU_DEP_1) | instskip(SKIP_1) | instid1(VALU_DEP_2)
	v_mul_f32_e32 v86, 0x3fb8aa3b, v78
	v_cmp_ngt_f32_e64 s3, 0xc2ce8ed0, v78
	v_fma_f32 v87, 0x3fb8aa3b, v78, -v86
	v_rndne_f32_e32 v88, v86
	s_delay_alu instid0(VALU_DEP_1) | instskip(NEXT) | instid1(VALU_DEP_1)
	v_dual_fmac_f32 v87, 0x32a5705f, v78 :: v_dual_sub_f32 v86, v86, v88
	v_add_f32_e32 v86, v86, v87
	v_cvt_i32_f32_e32 v87, v88
	s_delay_alu instid0(VALU_DEP_2) | instskip(SKIP_2) | instid1(VALU_DEP_1)
	v_exp_f32_e32 v86, v86
	s_waitcnt_depctr 0xfff
	v_ldexp_f32 v86, v86, v87
	v_cndmask_b32_e64 v86, 0, v86, s3
	v_cmp_nlt_f32_e64 s3, 0x42b17218, v78
	s_delay_alu instid0(VALU_DEP_1) | instskip(SKIP_4) | instid1(VALU_DEP_2)
	v_cndmask_b32_e64 v86, 0x7f800000, v86, s3
	ds_bpermute_b32 v78, v103, v86
	v_cndmask_b32_e64 v63, v63, v86, s2
	v_cndmask_b32_e64 v70, v70, v86, s1
	s_waitcnt lgkmcnt(0)
	v_cndmask_b32_e64 v63, v63, v78, s0
	s_delay_alu instid0(VALU_DEP_2)
	v_cndmask_b32_e32 v70, v70, v78, vcc_lo
	ds_load_u16_d16_hi v115, v136 offset:9360
	ds_load_u16_d16_hi v118, v136 offset:10416
	;; [unrolled: 1-line block ×10, first 2 shown]
	ds_load_u16 v78, v136 offset:8576
	ds_load_u16_d16_hi v116, v136 offset:9712
	ds_load_u16_d16_hi v147, v136 offset:9744
	;; [unrolled: 1-line block ×8, first 2 shown]
	ds_load_u16 v113, v136 offset:8480
	ds_load_u16_d16_hi v114, v136 offset:9008
	ds_load_u16 v144, v136 offset:8512
	ds_load_u16 v152, v136 offset:8544
	s_waitcnt lgkmcnt(3)
	ds_load_u16_d16_hi v113, v136 offset:8656
	ds_load_u16_d16_hi v120, v136 offset:11120
	;; [unrolled: 1-line block ×4, first 2 shown]
	s_waitcnt lgkmcnt(5)
	ds_load_u16_d16_hi v144, v136 offset:8688
	s_waitcnt lgkmcnt(5)
	ds_load_u16_d16_hi v152, v136 offset:8720
	ds_load_u16_d16_hi v78, v136 offset:8752
	v_cvt_f16_f32_e32 v63, v63
	v_cvt_f16_f32_e32 v70, v70
	ds_load_u16_d16_hi v146, v136 offset:9392
	ds_load_u16_d16_hi v154, v136 offset:9424
	;; [unrolled: 1-line block ×3, first 2 shown]
	s_waitcnt lgkmcnt(0)
	s_barrier
	v_pack_b32_f16 v63, v63, v70
	s_mov_b32 s0, exec_lo
	s_delay_alu instid0(VALU_DEP_1)
	v_wmma_f32_16x16x16_f16 v[32:39], v[40:47], v[56:63], v[32:39]
	scratch_load_b64 v[44:45], off, off offset:368 ; 8-byte Folded Reload
	v_add_f32_e32 v40, v123, v124
	v_wmma_f32_16x16x16_f16 v[24:31], v[113:120], v[56:63], v[24:31]
	s_waitcnt vmcnt(0)
	buffer_gl0_inv
	s_barrier
	v_add_f32_e32 v40, v125, v40
	v_wmma_f32_16x16x16_f16 v[0:7], v[78:85], v[56:63], v[0:7]
	buffer_gl0_inv
	v_wmma_f32_16x16x16_f16 v[16:23], v[144:151], v[56:63], v[16:23]
	v_add_f32_e32 v40, v126, v40
	v_wmma_f32_16x16x16_f16 v[8:15], v[152:159], v[56:63], v[8:15]
	s_delay_alu instid0(VALU_DEP_2) | instskip(NEXT) | instid1(VALU_DEP_1)
	v_add_f32_e32 v40, v127, v40
	v_add_f32_e32 v40, v128, v40
	s_delay_alu instid0(VALU_DEP_1) | instskip(NEXT) | instid1(VALU_DEP_1)
	v_add_f32_e32 v40, v129, v40
	v_add_f32_e32 v40, v130, v40
	s_delay_alu instid0(VALU_DEP_1) | instskip(NEXT) | instid1(VALU_DEP_1)
	;; [unrolled: 3-line block ×13, first 2 shown]
	v_add_f32_e32 v40, v71, v40
	v_add_f32_e32 v40, v86, v40
	s_delay_alu instid0(VALU_DEP_1)
	v_fmac_f32_e32 v40, v204, v122
	ds_bpermute_b32 v41, v103, v40
	v_cmpx_gt_u32_e32 16, v44
	v_readlane_b32 s5, v255, 8
	s_cbranch_execz .LBB9_491
; %bb.490:
	v_readlane_b32 s1, v255, 9
	v_or_b32_e32 v42, v209, v44
	v_mov_b32_e32 v43, 0
	s_mov_b32 s3, s16
	s_waitcnt lgkmcnt(0)
	v_add_f32_e32 v103, v40, v41
	s_add_i32 s1, s1, s5
	v_lshlrev_b64 v[42:43], 3, v[42:43]
	s_lshl_b32 s2, s1, 6
	s_delay_alu instid0(SALU_CYCLE_1) | instskip(NEXT) | instid1(SALU_CYCLE_1)
	s_lshl_b64 s[2:3], s[2:3], 3
	s_add_u32 s1, s30, s2
	s_addc_u32 s2, s31, s3
	s_delay_alu instid0(VALU_DEP_1)
	v_add_co_u32 v42, vcc_lo, s1, v42
	v_add_co_ci_u32_e32 v43, vcc_lo, s2, v43, vcc_lo
	global_store_b64 v[42:43], v[102:103], off
.LBB9_491:
	s_or_b32 exec_lo, exec_lo, s0
	v_or_b32_e32 v40, v209, v208
	v_readlane_b32 s2, v255, 4
	v_readlane_b32 s3, v255, 5
	v_cvt_f16_f32_e32 v32, v32
	v_cvt_f16_f32_e32 v24, v24
	v_mul_i32_i24_e32 v40, 0xb0, v40
	v_cvt_f16_f32_e32 v16, v16
	v_cvt_f16_f32_e32 v8, v8
	;; [unrolled: 1-line block ×4, first 2 shown]
	v_add3_u32 v40, 0, v40, v105
	v_cvt_f16_f32_e32 v17, v17
	v_cvt_f16_f32_e32 v9, v9
	;; [unrolled: 1-line block ×14, first 2 shown]
	s_clause 0x1
	s_load_b32 s0, s[2:3], 0x10
	s_load_b32 s1, s[2:3], 0x0
	v_cvt_f16_f32_e32 v37, v37
	v_cvt_f16_f32_e32 v38, v38
	;; [unrolled: 1-line block ×3, first 2 shown]
	ds_store_b16 v40, v32
	ds_store_b16 v40, v33 offset:4
	ds_store_b16 v40, v34 offset:8
	ds_store_b16 v40, v35 offset:12
	ds_store_b16 v40, v36 offset:16
	ds_store_b16 v40, v37 offset:20
	ds_store_b16 v40, v38 offset:24
	ds_store_b16 v40, v39 offset:28
	v_cvt_f16_f32_e32 v29, v29
	v_cvt_f16_f32_e32 v30, v30
	v_cvt_f16_f32_e32 v31, v31
	ds_store_b16 v40, v24 offset:32
	ds_store_b16 v40, v25 offset:36
	ds_store_b16 v40, v26 offset:40
	ds_store_b16 v40, v27 offset:44
	ds_store_b16 v40, v28 offset:48
	ds_store_b16 v40, v29 offset:52
	ds_store_b16 v40, v30 offset:56
	ds_store_b16 v40, v31 offset:60
	v_cvt_f16_f32_e32 v21, v21
	v_cvt_f16_f32_e32 v22, v22
	v_cvt_f16_f32_e32 v23, v23
	ds_store_b16 v40, v16 offset:64
	;; [unrolled: 11-line block ×3, first 2 shown]
	ds_store_b16 v40, v9 offset:100
	ds_store_b16 v40, v10 offset:104
	;; [unrolled: 1-line block ×7, first 2 shown]
	scratch_load_b32 v8, off, off offset:540 ; 4-byte Folded Reload
	v_cvt_f16_f32_e32 v0, v0
	v_cvt_f16_f32_e32 v1, v1
	;; [unrolled: 1-line block ×8, first 2 shown]
	ds_store_b16 v40, v0 offset:128
	ds_store_b16 v40, v1 offset:132
	;; [unrolled: 1-line block ×8, first 2 shown]
	s_waitcnt vmcnt(0) lgkmcnt(0)
	s_waitcnt_vscnt null, 0x0
	s_barrier
	buffer_gl0_inv
	v_sub_nc_u32_e32 v4, v195, v207
	s_lshr_b32 s0, s0, 16
	s_mul_i32 s2, s5, 0xa00
	s_cmp_lg_u32 s0, 0
	s_mov_b32 s3, s16
	s_cselect_b32 s0, -1, 0
	v_mul_u32_u24_e32 v17, 40, v201
	s_cmp_lg_u32 s0, 0
	v_mov_b32_e32 v5, 0
	s_addc_u32 s0, s1, 0
	s_mov_b32 s1, s16
	s_lshl_b32 s0, s0, 7
	v_add_lshl_u32 v17, v17, v44, 3
	s_lshl_b64 s[0:1], s[0:1], 3
	s_delay_alu instid0(SALU_CYCLE_1) | instskip(SKIP_2) | instid1(SALU_CYCLE_1)
	s_add_u32 s4, s30, s0
	s_addc_u32 s5, s31, s1
	s_lshl_b64 s[0:1], s[2:3], 3
	s_add_u32 s0, s4, s0
	s_addc_u32 s1, s5, s1
	v_lshl_add_u32 v16, v8, 2, v104
	v_lshlrev_b64 v[8:9], 3, v[4:5]
	ds_load_2addr_b32 v[0:1], v16 offset1:176
	v_add_nc_u32_e32 v2, 0x500, v16
	v_add_co_u32 v8, vcc_lo, s0, v8
	v_add_co_ci_u32_e32 v9, vcc_lo, s1, v9, vcc_lo
	ds_load_2addr_b32 v[2:3], v2 offset0:32 offset1:208
	s_waitcnt lgkmcnt(1)
	v_lshrrev_b32_e32 v6, 16, v0
	v_cvt_f32_f16_e32 v0, v0
	s_delay_alu instid0(VALU_DEP_2) | instskip(SKIP_4) | instid1(VALU_DEP_2)
	v_cvt_f32_f16_e32 v7, v6
	scratch_load_b32 v6, off, off offset:244 ; 4-byte Folded Reload
	s_waitcnt lgkmcnt(0)
	v_lshrrev_b32_e32 v13, 16, v2
	v_cvt_f32_f16_e32 v2, v2
	v_cvt_f32_f16_e32 v15, v13
	s_delay_alu instid0(VALU_DEP_2) | instskip(SKIP_1) | instid1(VALU_DEP_1)
	v_add_f32_e32 v14, 0, v2
	v_cvt_f32_f16_e32 v2, v3
	v_dual_add_f32 v15, 0, v15 :: v_dual_add_f32 v2, 0, v2
	s_waitcnt vmcnt(0)
	v_dual_add_f32 v6, 0, v0 :: v_dual_lshlrev_b32 v11, 2, v6
	v_lshrrev_b32_e32 v0, 16, v1
	s_delay_alu instid0(VALU_DEP_1) | instskip(SKIP_1) | instid1(VALU_DEP_1)
	v_cvt_f32_f16_e32 v12, v0
	v_add_nc_u32_e32 v10, 0xb0, v195
	v_sub_nc_u32_e32 v4, v10, v11
	v_lshlrev_b32_e32 v11, 2, v202
	s_delay_alu instid0(VALU_DEP_1) | instskip(SKIP_3) | instid1(VALU_DEP_4)
	v_sub_nc_u32_e32 v10, v10, v11
	v_add_f32_e32 v7, 0, v7
	v_cvt_f32_f16_e32 v11, v1
	v_lshlrev_b64 v[0:1], 3, v[4:5]
	v_add_nc_u32_e32 v4, 0xb0, v10
	s_delay_alu instid0(VALU_DEP_3) | instskip(NEXT) | instid1(VALU_DEP_3)
	v_dual_add_f32 v10, 0, v11 :: v_dual_add_f32 v11, 0, v12
	v_add_co_u32 v0, vcc_lo, s0, v0
	s_delay_alu instid0(VALU_DEP_3) | instskip(SKIP_1) | instid1(VALU_DEP_2)
	v_lshlrev_b64 v[12:13], 3, v[4:5]
	v_add_co_ci_u32_e32 v1, vcc_lo, s1, v1, vcc_lo
	v_add_co_u32 v12, vcc_lo, s0, v12
	s_delay_alu instid0(VALU_DEP_3)
	v_add_co_ci_u32_e32 v13, vcc_lo, s1, v13, vcc_lo
	s_clause 0x2
	global_store_b64 v[8:9], v[6:7], off
	global_store_b64 v[0:1], v[10:11], off
	global_store_b64 v[12:13], v[14:15], off
	v_and_or_b32 v0, 0x7f0, v199, v193
	v_lshrrev_b32_e32 v1, 16, v3
	v_lshlrev_b32_e32 v3, 2, v196
	v_and_b32_e32 v7, 15, v198
	v_and_or_b32 v6, 0x7f0, v194, v193
	v_mul_u32_u24_e32 v0, 44, v0
	v_cvt_f32_f16_e32 v8, v1
	v_add_nc_u32_e32 v10, 0x210, v195
	v_add_nc_u32_e32 v1, 0xd00, v16
	v_and_or_b32 v9, 0x7f0, v192, v193
	v_and_or_b32 v12, 0x3ff0, v205, v7
	v_mul_u32_u24_e32 v6, 44, v6
	v_sub_nc_u32_e32 v4, v10, v3
	v_lshl_add_u32 v3, v0, 2, v104
	ds_load_2addr_b32 v[0:1], v1 offset0:48 offset1:224
	v_mul_u32_u24_e32 v9, 44, v9
	v_mad_u32_u24 v12, v12, 44, v197
	v_lshl_add_u32 v6, v6, 2, v104
	ds_load_b32 v11, v3
	v_and_or_b32 v3, 0x3ff0, v203, v7
	v_and_or_b32 v7, 0x3ff0, v206, v7
	v_lshl_add_u32 v9, v9, 2, v104
	v_lshl_add_u32 v13, v200, 2, 0
	;; [unrolled: 1-line block ×3, first 2 shown]
	v_mad_u32_u24 v3, v3, 44, v197
	v_mad_u32_u24 v7, v7, 44, v197
	s_delay_alu instid0(VALU_DEP_2) | instskip(NEXT) | instid1(VALU_DEP_2)
	v_lshl_add_u32 v3, v3, 2, 0
	v_lshl_add_u32 v7, v7, 2, 0
	ds_load_b32 v18, v6
	ds_load_b32 v19, v9
	ds_load_b32 v20, v13 offset:128
	ds_load_b32 v21, v3 offset:128
	;; [unrolled: 1-line block ×4, first 2 shown]
	v_lshlrev_b64 v[6:7], 3, v[4:5]
	v_add_f32_e32 v3, 0, v8
	scratch_load_b32 v8, off, off offset:532 ; 4-byte Folded Reload
	s_waitcnt lgkmcnt(7)
	v_lshrrev_b32_e32 v12, 16, v0
	v_cvt_f32_f16_e32 v0, v0
	v_add_co_u32 v6, vcc_lo, s0, v6
	v_add_co_ci_u32_e32 v7, vcc_lo, s1, v7, vcc_lo
	s_waitcnt lgkmcnt(6)
	v_lshrrev_b32_e32 v9, 16, v11
	v_cvt_f32_f16_e32 v4, v11
	global_store_b64 v[6:7], v[2:3], off
	v_add_f32_e32 v2, 0, v0
	scratch_load_b32 v0, off, off offset:524 ; 4-byte Folded Reload
	v_cvt_f32_f16_e32 v9, v9
	v_cvt_f32_f16_e32 v3, v12
	s_delay_alu instid0(VALU_DEP_1) | instskip(SKIP_4) | instid1(VALU_DEP_3)
	v_add_f32_e32 v3, 0, v3
	s_waitcnt vmcnt(1)
	v_lshlrev_b32_e32 v11, 2, v8
	v_add_f32_e32 v8, 0, v4
	v_add_nc_u32_e32 v4, 0x1400, v17
	v_sub_nc_u32_e32 v10, v10, v11
	v_add_f32_e32 v9, 0, v9
	v_lshrrev_b32_e32 v11, 16, v1
	global_store_b64 v4, v[8:9], s[0:1]
	v_add_nc_u32_e32 v4, 0x160, v10
	v_add_nc_u32_e32 v8, 0x420, v195
	s_waitcnt vmcnt(0)
	v_lshlrev_b32_e32 v0, 2, v0
	ds_load_b32 v10, v16 offset:4928
	v_cvt_f32_f16_e32 v9, v1
	v_lshlrev_b64 v[6:7], 3, v[4:5]
	v_sub_nc_u32_e32 v4, v8, v0
	scratch_load_b32 v0, off, off offset:528 ; 4-byte Folded Reload
	ds_load_b32 v24, v16 offset:7744
	ds_load_b32 v25, v16 offset:10560
	s_waitcnt lgkmcnt(2)
	v_cvt_f32_f16_e32 v14, v10
	s_delay_alu instid0(VALU_DEP_1)
	v_dual_add_f32 v14, 0, v14 :: v_dual_add_nc_u32 v13, 0x1800, v16
	s_waitcnt vmcnt(0)
	v_lshlrev_b32_e32 v12, 2, v0
	v_add_co_u32 v0, vcc_lo, s0, v6
	v_add_co_ci_u32_e32 v1, vcc_lo, s1, v7, vcc_lo
	v_cvt_f32_f16_e32 v7, v11
	s_delay_alu instid0(VALU_DEP_4)
	v_sub_nc_u32_e32 v11, v8, v12
	v_add_f32_e32 v6, 0, v9
	v_lshlrev_b64 v[8:9], 3, v[4:5]
	v_lshrrev_b32_e32 v12, 16, v10
	v_add_f32_e32 v7, 0, v7
	v_add_nc_u32_e32 v4, 0xb0, v11
	s_delay_alu instid0(VALU_DEP_3) | instskip(SKIP_1) | instid1(VALU_DEP_3)
	v_cvt_f32_f16_e32 v15, v12
	v_add_co_u32 v8, vcc_lo, s0, v8
	v_lshlrev_b64 v[10:11], 3, v[4:5]
	v_lshrrev_b32_e32 v4, 16, v18
	v_add_co_ci_u32_e32 v9, vcc_lo, s1, v9, vcc_lo
	v_cvt_f32_f16_e32 v18, v18
	v_add_f32_e32 v15, 0, v15
	v_add_co_u32 v10, vcc_lo, s0, v10
	v_cvt_f32_f16_e32 v4, v4
	v_add_co_ci_u32_e32 v11, vcc_lo, s1, v11, vcc_lo
	ds_load_2addr_b32 v[12:13], v13 offset0:48 offset1:224
	s_clause 0x2
	global_store_b64 v[0:1], v[2:3], off
	global_store_b64 v[8:9], v[6:7], off
	;; [unrolled: 1-line block ×3, first 2 shown]
	v_dual_add_f32 v0, 0, v18 :: v_dual_add_nc_u32 v3, 0x630, v195
	v_dual_add_f32 v1, 0, v4 :: v_dual_add_nc_u32 v2, 0x2800, v17
	scratch_load_b32 v4, off, off offset:520 ; 4-byte Folded Reload
	v_add_nc_u32_e32 v10, 0x2300, v16
	v_cvt_f32_f16_e32 v14, v23
	global_store_b64 v2, v[0:1], s[0:1]
	scratch_load_b32 v0, off, off offset:516 ; 4-byte Folded Reload
	ds_load_2addr_b32 v[10:11], v10 offset0:48 offset1:224
	s_waitcnt lgkmcnt(1)
	v_cvt_f32_f16_e32 v7, v12
	v_lshrrev_b32_e32 v6, 16, v12
	v_add_nc_u32_e32 v12, 0x790, v195
	s_delay_alu instid0(VALU_DEP_2) | instskip(SKIP_4) | instid1(VALU_DEP_2)
	v_cvt_f32_f16_e32 v6, v6
	s_waitcnt vmcnt(1)
	v_lshlrev_b32_e32 v4, 2, v4
	s_waitcnt vmcnt(0)
	v_dual_add_f32 v0, 0, v7 :: v_dual_lshlrev_b32 v1, 2, v0
	v_sub_nc_u32_e32 v4, v3, v4
	v_lshrrev_b32_e32 v7, 16, v13
	s_delay_alu instid0(VALU_DEP_3) | instskip(SKIP_1) | instid1(VALU_DEP_4)
	v_sub_nc_u32_e32 v8, v3, v1
	v_add_f32_e32 v1, 0, v6
	v_lshlrev_b64 v[2:3], 3, v[4:5]
	v_cvt_f32_f16_e32 v6, v13
	v_cvt_f32_f16_e32 v7, v7
	v_add_nc_u32_e32 v4, 0xb0, v8
	v_lshrrev_b32_e32 v13, 16, v24
	v_add_co_u32 v2, vcc_lo, s0, v2
	s_delay_alu instid0(VALU_DEP_3)
	v_lshlrev_b64 v[8:9], 3, v[4:5]
	scratch_load_b32 v4, off, off offset:512 ; 4-byte Folded Reload
	v_add_co_ci_u32_e32 v3, vcc_lo, s1, v3, vcc_lo
	v_dual_add_f32 v6, 0, v6 :: v_dual_add_f32 v7, 0, v7
	v_add_co_u32 v8, vcc_lo, s0, v8
	v_add_co_ci_u32_e32 v9, vcc_lo, s1, v9, vcc_lo
	global_store_b64 v[2:3], v[0:1], off
	v_cvt_f32_f16_e32 v2, v24
	v_cvt_f32_f16_e32 v3, v13
	global_store_b64 v[8:9], v[6:7], off
	v_lshrrev_b32_e32 v6, 16, v19
	s_waitcnt lgkmcnt(0)
	v_lshrrev_b32_e32 v9, 16, v10
	v_dual_add_f32 v2, 0, v2 :: v_dual_add_f32 v3, 0, v3
	v_cvt_f32_f16_e32 v10, v10
	v_cvt_f32_f16_e32 v7, v6
	scratch_load_b32 v6, off, off offset:508 ; 4-byte Folded Reload
	s_waitcnt vmcnt(1)
	v_dual_add_f32 v7, 0, v7 :: v_dual_lshlrev_b32 v4, 2, v4
	s_delay_alu instid0(VALU_DEP_1) | instskip(NEXT) | instid1(VALU_DEP_1)
	v_sub_nc_u32_e32 v4, v12, v4
	v_lshlrev_b64 v[0:1], 3, v[4:5]
	v_cvt_f32_f16_e32 v4, v19
	s_delay_alu instid0(VALU_DEP_2) | instskip(NEXT) | instid1(VALU_DEP_3)
	v_add_co_u32 v0, vcc_lo, s0, v0
	v_add_co_ci_u32_e32 v1, vcc_lo, s1, v1, vcc_lo
	s_waitcnt vmcnt(0)
	v_lshlrev_b32_e32 v8, 2, v6
	v_add_f32_e32 v6, 0, v4
	v_add_nc_u32_e32 v4, 0x3c00, v17
	s_clause 0x1
	global_store_b64 v[0:1], v[2:3], off
	global_store_b64 v4, v[6:7], s[0:1]
	scratch_load_b32 v2, off, off offset:504 ; 4-byte Folded Reload
	v_lshrrev_b32_e32 v6, 16, v11
	v_cvt_f32_f16_e32 v1, v9
	v_add_f32_e32 v0, 0, v10
	v_add_nc_u32_e32 v10, 0x9a0, v195
	s_delay_alu instid0(VALU_DEP_4)
	v_cvt_f32_f16_e32 v9, v6
	scratch_load_b32 v6, off, off offset:500 ; 4-byte Folded Reload
	v_add_f32_e32 v1, 0, v1
	v_add_f32_e32 v9, 0, v9
	v_sub_nc_u32_e32 v8, v12, v8
	v_lshrrev_b32_e32 v12, 16, v25
	s_delay_alu instid0(VALU_DEP_2) | instskip(SKIP_2) | instid1(VALU_DEP_1)
	v_add_nc_u32_e32 v4, 0x160, v8
	v_cvt_f32_f16_e32 v8, v11
	s_waitcnt vmcnt(1)
	v_dual_add_f32 v8, 0, v8 :: v_dual_lshlrev_b32 v7, 2, v2
	s_delay_alu instid0(VALU_DEP_3) | instskip(NEXT) | instid1(VALU_DEP_2)
	v_lshlrev_b64 v[2:3], 3, v[4:5]
	v_sub_nc_u32_e32 v4, v10, v7
	s_waitcnt vmcnt(0)
	v_lshlrev_b32_e32 v11, 2, v6
	s_delay_alu instid0(VALU_DEP_3) | instskip(NEXT) | instid1(VALU_DEP_3)
	v_add_co_u32 v2, vcc_lo, s0, v2
	v_lshlrev_b64 v[6:7], 3, v[4:5]
	v_add_co_ci_u32_e32 v3, vcc_lo, s1, v3, vcc_lo
	s_delay_alu instid0(VALU_DEP_4) | instskip(SKIP_3) | instid1(VALU_DEP_4)
	v_sub_nc_u32_e32 v4, v10, v11
	v_cvt_f32_f16_e32 v10, v25
	v_cvt_f32_f16_e32 v11, v12
	v_add_co_u32 v6, vcc_lo, s0, v6
	v_add_nc_u32_e32 v4, 0xb0, v4
	v_add_co_ci_u32_e32 v7, vcc_lo, s1, v7, vcc_lo
	s_clause 0x1
	global_store_b64 v[2:3], v[0:1], off
	global_store_b64 v[6:7], v[8:9], off
	v_lshlrev_b64 v[2:3], 3, v[4:5]
	v_mul_u32_u24_e32 v4, 40, v198
	v_lshrrev_b32_e32 v6, 16, v20
	v_cvt_f32_f16_e32 v5, v20
	v_cvt_f32_f16_e32 v9, v21
	v_lshrrev_b32_e32 v7, 16, v21
	v_or_b32_e32 v8, v4, v197
	v_cvt_f32_f16_e32 v6, v6
	v_add_f32_e32 v4, 0, v5
	v_add_f32_e32 v0, 0, v10
	v_cvt_f32_f16_e32 v7, v7
	v_lshlrev_b32_e32 v12, 3, v8
	v_lshrrev_b32_e32 v8, 16, v22
	v_dual_add_f32 v5, 0, v6 :: v_dual_add_f32 v6, 0, v9
	v_lshrrev_b32_e32 v9, 16, v23
	v_add_f32_e32 v1, 0, v11
	v_add_co_u32 v2, vcc_lo, s0, v2
	v_cvt_f32_f16_e32 v10, v22
	v_cvt_f32_f16_e32 v11, v8
	;; [unrolled: 1-line block ×3, first 2 shown]
	v_add_co_ci_u32_e32 v3, vcc_lo, s1, v3, vcc_lo
	v_add_f32_e32 v7, 0, v7
	v_dual_add_f32 v8, 0, v10 :: v_dual_add_nc_u32 v13, 0x1400, v12
	v_dual_add_f32 v9, 0, v11 :: v_dual_add_nc_u32 v16, 0x2800, v12
	v_dual_add_f32 v10, 0, v14 :: v_dual_add_f32 v11, 0, v15
	v_add_nc_u32_e32 v14, 0x3c00, v12
	s_clause 0x4
	global_store_b64 v[2:3], v[0:1], off
	global_store_b64 v12, v[4:5], s[0:1] offset:256
	global_store_b64 v13, v[6:7], s[0:1] offset:256
	;; [unrolled: 1-line block ×4, first 2 shown]
	s_nop 0
	s_sendmsg sendmsg(MSG_DEALLOC_VGPRS)
	s_endpgm
	.section	.rodata,"a",@progbits
	.p2align	6, 0x0
	.amdhsa_kernel _ZL18flash_attn_ext_f16ILi80ELi80ELi16ELi4ELb0ELb0EEvPKcS1_S1_S1_S1_PKiPfP15HIP_vector_typeIfLj2EEffffjfiS5_IjLj3EEiiiiiiiiiiiliiliiiiil
		.amdhsa_group_segment_fixed_size 0
		.amdhsa_private_segment_fixed_size 580
		.amdhsa_kernarg_size 464
		.amdhsa_user_sgpr_count 15
		.amdhsa_user_sgpr_dispatch_ptr 0
		.amdhsa_user_sgpr_queue_ptr 0
		.amdhsa_user_sgpr_kernarg_segment_ptr 1
		.amdhsa_user_sgpr_dispatch_id 0
		.amdhsa_user_sgpr_private_segment_size 0
		.amdhsa_wavefront_size32 1
		.amdhsa_uses_dynamic_stack 0
		.amdhsa_enable_private_segment 1
		.amdhsa_system_sgpr_workgroup_id_x 1
		.amdhsa_system_sgpr_workgroup_id_y 0
		.amdhsa_system_sgpr_workgroup_id_z 0
		.amdhsa_system_sgpr_workgroup_info 0
		.amdhsa_system_vgpr_workitem_id 1
		.amdhsa_next_free_vgpr 256
		.amdhsa_next_free_sgpr 105
		.amdhsa_reserve_vcc 1
		.amdhsa_float_round_mode_32 0
		.amdhsa_float_round_mode_16_64 0
		.amdhsa_float_denorm_mode_32 3
		.amdhsa_float_denorm_mode_16_64 3
		.amdhsa_dx10_clamp 1
		.amdhsa_ieee_mode 1
		.amdhsa_fp16_overflow 0
		.amdhsa_workgroup_processor_mode 1
		.amdhsa_memory_ordered 1
		.amdhsa_forward_progress 0
		.amdhsa_shared_vgpr_count 0
		.amdhsa_exception_fp_ieee_invalid_op 0
		.amdhsa_exception_fp_denorm_src 0
		.amdhsa_exception_fp_ieee_div_zero 0
		.amdhsa_exception_fp_ieee_overflow 0
		.amdhsa_exception_fp_ieee_underflow 0
		.amdhsa_exception_fp_ieee_inexact 0
		.amdhsa_exception_int_div_zero 0
	.end_amdhsa_kernel
	.section	.text._ZL18flash_attn_ext_f16ILi80ELi80ELi16ELi4ELb0ELb0EEvPKcS1_S1_S1_S1_PKiPfP15HIP_vector_typeIfLj2EEffffjfiS5_IjLj3EEiiiiiiiiiiiliiliiiiil,"axG",@progbits,_ZL18flash_attn_ext_f16ILi80ELi80ELi16ELi4ELb0ELb0EEvPKcS1_S1_S1_S1_PKiPfP15HIP_vector_typeIfLj2EEffffjfiS5_IjLj3EEiiiiiiiiiiiliiliiiiil,comdat
.Lfunc_end9:
	.size	_ZL18flash_attn_ext_f16ILi80ELi80ELi16ELi4ELb0ELb0EEvPKcS1_S1_S1_S1_PKiPfP15HIP_vector_typeIfLj2EEffffjfiS5_IjLj3EEiiiiiiiiiiiliiliiiiil, .Lfunc_end9-_ZL18flash_attn_ext_f16ILi80ELi80ELi16ELi4ELb0ELb0EEvPKcS1_S1_S1_S1_PKiPfP15HIP_vector_typeIfLj2EEffffjfiS5_IjLj3EEiiiiiiiiiiiliiliiiiil
                                        ; -- End function
	.section	.AMDGPU.csdata,"",@progbits
; Kernel info:
; codeLenInByte = 110928
; NumSgprs: 107
; NumVgprs: 256
; ScratchSize: 580
; MemoryBound: 0
; FloatMode: 240
; IeeeMode: 1
; LDSByteSize: 0 bytes/workgroup (compile time only)
; SGPRBlocks: 13
; VGPRBlocks: 31
; NumSGPRsForWavesPerEU: 107
; NumVGPRsForWavesPerEU: 256
; Occupancy: 5
; WaveLimiterHint : 0
; COMPUTE_PGM_RSRC2:SCRATCH_EN: 1
; COMPUTE_PGM_RSRC2:USER_SGPR: 15
; COMPUTE_PGM_RSRC2:TRAP_HANDLER: 0
; COMPUTE_PGM_RSRC2:TGID_X_EN: 1
; COMPUTE_PGM_RSRC2:TGID_Y_EN: 0
; COMPUTE_PGM_RSRC2:TGID_Z_EN: 0
; COMPUTE_PGM_RSRC2:TIDIG_COMP_CNT: 1
	.section	.text._ZL18flash_attn_ext_f16ILi80ELi80ELi16ELi4ELb1ELb0EEvPKcS1_S1_S1_S1_PKiPfP15HIP_vector_typeIfLj2EEffffjfiS5_IjLj3EEiiiiiiiiiiiliiliiiiil,"axG",@progbits,_ZL18flash_attn_ext_f16ILi80ELi80ELi16ELi4ELb1ELb0EEvPKcS1_S1_S1_S1_PKiPfP15HIP_vector_typeIfLj2EEffffjfiS5_IjLj3EEiiiiiiiiiiiliiliiiiil,comdat
	.globl	_ZL18flash_attn_ext_f16ILi80ELi80ELi16ELi4ELb1ELb0EEvPKcS1_S1_S1_S1_PKiPfP15HIP_vector_typeIfLj2EEffffjfiS5_IjLj3EEiiiiiiiiiiiliiliiiiil ; -- Begin function _ZL18flash_attn_ext_f16ILi80ELi80ELi16ELi4ELb1ELb0EEvPKcS1_S1_S1_S1_PKiPfP15HIP_vector_typeIfLj2EEffffjfiS5_IjLj3EEiiiiiiiiiiiliiliiiiil
	.p2align	8
	.type	_ZL18flash_attn_ext_f16ILi80ELi80ELi16ELi4ELb1ELb0EEvPKcS1_S1_S1_S1_PKiPfP15HIP_vector_typeIfLj2EEffffjfiS5_IjLj3EEiiiiiiiiiiiliiliiiiil,@function
_ZL18flash_attn_ext_f16ILi80ELi80ELi16ELi4ELb1ELb0EEvPKcS1_S1_S1_S1_PKiPfP15HIP_vector_typeIfLj2EEffffjfiS5_IjLj3EEiiiiiiiiiiiliiliiiiil: ; @_ZL18flash_attn_ext_f16ILi80ELi80ELi16ELi4ELb1ELb0EEvPKcS1_S1_S1_S1_PKiPfP15HIP_vector_typeIfLj2EEffffjfiS5_IjLj3EEiiiiiiiiiiiliiliiiiil
; %bb.0:
	v_mov_b32_e32 v0, 0x6cc
	s_add_u32 s8, s0, 0xd0
	s_addc_u32 s9, s1, 0
	s_mov_b32 s32, 0
	s_getpc_b64 s[0:1]
	s_add_u32 s0, s0, _ZL14no_device_codePKciS0_iS0_@rel32@lo+4
	s_addc_u32 s1, s1, _ZL14no_device_codePKciS0_iS0_@rel32@hi+12
	s_delay_alu instid0(SALU_CYCLE_1)
	s_swappc_b64 s[30:31], s[0:1]
	.section	.rodata,"a",@progbits
	.p2align	6, 0x0
	.amdhsa_kernel _ZL18flash_attn_ext_f16ILi80ELi80ELi16ELi4ELb1ELb0EEvPKcS1_S1_S1_S1_PKiPfP15HIP_vector_typeIfLj2EEffffjfiS5_IjLj3EEiiiiiiiiiiiliiliiiiil
		.amdhsa_group_segment_fixed_size 0
		.amdhsa_private_segment_fixed_size 16
		.amdhsa_kernarg_size 464
		.amdhsa_user_sgpr_count 15
		.amdhsa_user_sgpr_dispatch_ptr 0
		.amdhsa_user_sgpr_queue_ptr 0
		.amdhsa_user_sgpr_kernarg_segment_ptr 1
		.amdhsa_user_sgpr_dispatch_id 0
		.amdhsa_user_sgpr_private_segment_size 0
		.amdhsa_wavefront_size32 1
		.amdhsa_uses_dynamic_stack 0
		.amdhsa_enable_private_segment 1
		.amdhsa_system_sgpr_workgroup_id_x 1
		.amdhsa_system_sgpr_workgroup_id_y 0
		.amdhsa_system_sgpr_workgroup_id_z 0
		.amdhsa_system_sgpr_workgroup_info 0
		.amdhsa_system_vgpr_workitem_id 0
		.amdhsa_next_free_vgpr 37
		.amdhsa_next_free_sgpr 34
		.amdhsa_reserve_vcc 1
		.amdhsa_float_round_mode_32 0
		.amdhsa_float_round_mode_16_64 0
		.amdhsa_float_denorm_mode_32 3
		.amdhsa_float_denorm_mode_16_64 3
		.amdhsa_dx10_clamp 1
		.amdhsa_ieee_mode 1
		.amdhsa_fp16_overflow 0
		.amdhsa_workgroup_processor_mode 1
		.amdhsa_memory_ordered 1
		.amdhsa_forward_progress 0
		.amdhsa_shared_vgpr_count 0
		.amdhsa_exception_fp_ieee_invalid_op 0
		.amdhsa_exception_fp_denorm_src 0
		.amdhsa_exception_fp_ieee_div_zero 0
		.amdhsa_exception_fp_ieee_overflow 0
		.amdhsa_exception_fp_ieee_underflow 0
		.amdhsa_exception_fp_ieee_inexact 0
		.amdhsa_exception_int_div_zero 0
	.end_amdhsa_kernel
	.section	.text._ZL18flash_attn_ext_f16ILi80ELi80ELi16ELi4ELb1ELb0EEvPKcS1_S1_S1_S1_PKiPfP15HIP_vector_typeIfLj2EEffffjfiS5_IjLj3EEiiiiiiiiiiiliiliiiiil,"axG",@progbits,_ZL18flash_attn_ext_f16ILi80ELi80ELi16ELi4ELb1ELb0EEvPKcS1_S1_S1_S1_PKiPfP15HIP_vector_typeIfLj2EEffffjfiS5_IjLj3EEiiiiiiiiiiiliiliiiiil,comdat
.Lfunc_end10:
	.size	_ZL18flash_attn_ext_f16ILi80ELi80ELi16ELi4ELb1ELb0EEvPKcS1_S1_S1_S1_PKiPfP15HIP_vector_typeIfLj2EEffffjfiS5_IjLj3EEiiiiiiiiiiiliiliiiiil, .Lfunc_end10-_ZL18flash_attn_ext_f16ILi80ELi80ELi16ELi4ELb1ELb0EEvPKcS1_S1_S1_S1_PKiPfP15HIP_vector_typeIfLj2EEffffjfiS5_IjLj3EEiiiiiiiiiiiliiliiiiil
                                        ; -- End function
	.section	.AMDGPU.csdata,"",@progbits
; Kernel info:
; codeLenInByte = 52
; NumSgprs: 36
; NumVgprs: 37
; ScratchSize: 16
; MemoryBound: 0
; FloatMode: 240
; IeeeMode: 1
; LDSByteSize: 0 bytes/workgroup (compile time only)
; SGPRBlocks: 4
; VGPRBlocks: 4
; NumSGPRsForWavesPerEU: 36
; NumVGPRsForWavesPerEU: 37
; Occupancy: 16
; WaveLimiterHint : 1
; COMPUTE_PGM_RSRC2:SCRATCH_EN: 1
; COMPUTE_PGM_RSRC2:USER_SGPR: 15
; COMPUTE_PGM_RSRC2:TRAP_HANDLER: 0
; COMPUTE_PGM_RSRC2:TGID_X_EN: 1
; COMPUTE_PGM_RSRC2:TGID_Y_EN: 0
; COMPUTE_PGM_RSRC2:TGID_Z_EN: 0
; COMPUTE_PGM_RSRC2:TIDIG_COMP_CNT: 0
	.section	.text._ZL33flash_attn_stream_k_fixup_uniformILi80ELi16ELi4EEvPfPK15HIP_vector_typeIfLj2EEiiiiiiS1_IjLj3EES5_S5_,"axG",@progbits,_ZL33flash_attn_stream_k_fixup_uniformILi80ELi16ELi4EEvPfPK15HIP_vector_typeIfLj2EEiiiiiiS1_IjLj3EES5_S5_,comdat
	.globl	_ZL33flash_attn_stream_k_fixup_uniformILi80ELi16ELi4EEvPfPK15HIP_vector_typeIfLj2EEiiiiiiS1_IjLj3EES5_S5_ ; -- Begin function _ZL33flash_attn_stream_k_fixup_uniformILi80ELi16ELi4EEvPfPK15HIP_vector_typeIfLj2EEiiiiiiS1_IjLj3EES5_S5_
	.p2align	8
	.type	_ZL33flash_attn_stream_k_fixup_uniformILi80ELi16ELi4EEvPfPK15HIP_vector_typeIfLj2EEiiiiiiS1_IjLj3EES5_S5_,@function
_ZL33flash_attn_stream_k_fixup_uniformILi80ELi16ELi4EEvPfPK15HIP_vector_typeIfLj2EEiiiiiiS1_IjLj3EES5_S5_: ; @_ZL33flash_attn_stream_k_fixup_uniformILi80ELi16ELi4EEvPfPK15HIP_vector_typeIfLj2EEiiiiiiS1_IjLj3EES5_S5_
; %bb.0:
	s_clause 0x1
	s_load_b256 s[4:11], s[0:1], 0x1c
	s_load_b128 s[16:19], s[0:1], 0x3c
	s_waitcnt lgkmcnt(0)
	s_mul_hi_u32 s2, s7, s13
	s_delay_alu instid0(SALU_CYCLE_1) | instskip(NEXT) | instid1(SALU_CYCLE_1)
	s_add_i32 s2, s13, s2
	s_lshr_b32 s2, s2, s8
	s_delay_alu instid0(SALU_CYCLE_1) | instskip(SKIP_2) | instid1(SALU_CYCLE_1)
	s_mul_i32 s3, s2, s9
	s_load_b64 s[8:9], s[0:1], 0x10
	s_sub_i32 s3, s13, s3
	s_mul_hi_u32 s7, s3, s10
	s_delay_alu instid0(SALU_CYCLE_1) | instskip(NEXT) | instid1(SALU_CYCLE_1)
	s_add_i32 s7, s3, s7
	s_lshr_b32 s7, s7, s11
	s_delay_alu instid0(SALU_CYCLE_1) | instskip(NEXT) | instid1(SALU_CYCLE_1)
	s_mul_i32 s10, s7, s16
	s_sub_i32 s3, s3, s10
	s_delay_alu instid0(SALU_CYCLE_1) | instskip(NEXT) | instid1(SALU_CYCLE_1)
	s_mul_hi_u32 s10, s3, s17
	s_add_i32 s10, s3, s10
	s_delay_alu instid0(SALU_CYCLE_1) | instskip(NEXT) | instid1(SALU_CYCLE_1)
	s_lshr_b32 s11, s10, s18
	s_mul_i32 s10, s11, s19
	s_lshl_b32 s11, s11, 2
	s_sub_i32 s10, s3, s10
	s_delay_alu instid0(SALU_CYCLE_1) | instskip(NEXT) | instid1(SALU_CYCLE_1)
	s_lshl_b32 s3, s10, 4
	s_add_i32 s3, s3, s14
	s_waitcnt lgkmcnt(0)
	s_cmp_lt_i32 s3, s8
	s_cselect_b32 s3, -1, 0
	s_add_i32 s11, s11, s15
	s_delay_alu instid0(SALU_CYCLE_1) | instskip(SKIP_1) | instid1(SALU_CYCLE_1)
	s_cmp_lt_i32 s11, s5
	s_cselect_b32 s12, -1, 0
	s_and_b32 s3, s3, s12
	s_delay_alu instid0(SALU_CYCLE_1)
	s_and_not1_b32 vcc_lo, exec_lo, s3
	s_cbranch_vccnz .LBB11_6
; %bb.1:
	s_mul_i32 s8, s2, s8
	s_mul_i32 s7, s7, s5
	s_add_i32 s8, s8, s14
	s_add_i32 s5, s11, s7
	s_mul_i32 s8, s8, s9
	s_load_b128 s[0:3], s[0:1], 0x0
	s_mul_i32 s7, s9, s10
	s_add_i32 s5, s5, s8
	s_mulk_i32 s7, 0x500
	s_mulk_i32 s5, 0x50
	s_lshl_b32 s9, s14, 2
	v_add3_u32 v1, s5, s7, v0
	s_mul_i32 s5, s13, s6
	s_delay_alu instid0(SALU_CYCLE_1) | instskip(NEXT) | instid1(VALU_DEP_1)
	s_add_i32 s10, s5, s6
	v_ashrrev_i32_e32 v2, 31, v1
	s_delay_alu instid0(VALU_DEP_1) | instskip(SKIP_1) | instid1(VALU_DEP_1)
	v_lshlrev_b64 v[1:2], 2, v[1:2]
	s_waitcnt lgkmcnt(0)
	v_add_co_u32 v1, vcc_lo, s0, v1
	s_delay_alu instid0(VALU_DEP_2) | instskip(SKIP_4) | instid1(SALU_CYCLE_1)
	v_add_co_ci_u32_e32 v2, vcc_lo, s1, v2, vcc_lo
	s_add_i32 s0, s9, s15
	s_lshl_b32 s1, s10, 6
	global_load_b32 v5, v[1:2], off
	s_add_i32 s0, s0, s1
	s_sub_i32 s0, s0, 64
	s_delay_alu instid0(SALU_CYCLE_1) | instskip(NEXT) | instid1(SALU_CYCLE_1)
	s_ashr_i32 s1, s0, 31
	s_lshl_b64 s[0:1], s[0:1], 3
	s_delay_alu instid0(SALU_CYCLE_1)
	s_add_u32 s0, s2, s0
	s_addc_u32 s1, s3, s1
	s_add_i32 s7, s10, -2
	s_load_b32 s11, s[0:1], 0x4
	s_cmp_lt_i32 s7, s5
	s_cbranch_scc1 .LBB11_4
; %bb.2:
	s_load_b32 s12, s[0:1], 0x0
	s_lshl_b32 s16, s4, 8
	s_mulk_i32 s14, 0x140
	s_ashr_i32 s17, s16, 31
	s_waitcnt lgkmcnt(0)
	v_mov_b32_e32 v6, s11
	s_lshl_b64 s[0:1], s[16:17], 2
	s_delay_alu instid0(SALU_CYCLE_1)
	s_add_u32 s7, s2, s0
	s_addc_u32 s8, s3, s1
	s_add_i32 s13, s13, 1
	s_lshl_b32 s4, s4, 6
	s_mul_i32 s0, s6, s13
	s_mul_i32 s6, s15, 0x50
	s_lshl_b32 s1, s0, 6
	s_mulk_i32 s0, 0x1400
	s_add_i32 s6, s6, s14
	s_add_i32 s1, s15, s1
	;; [unrolled: 1-line block ×4, first 2 shown]
	v_add3_u32 v3, s6, v0, 0xffffd800
	v_mov_b32_e32 v0, s12
	s_add_i32 s0, s0, s9
	s_add_i32 s4, s10, -1
	s_addk_i32 s0, 0xff80
.LBB11_3:                               ; =>This Inner Loop Header: Depth=1
	s_delay_alu instid0(VALU_DEP_2) | instskip(SKIP_1) | instid1(SALU_CYCLE_1)
	v_ashrrev_i32_e32 v4, 31, v3
	s_ashr_i32 s1, s0, 31
	s_lshl_b64 s[10:11], s[0:1], 3
	s_delay_alu instid0(SALU_CYCLE_1) | instskip(NEXT) | instid1(VALU_DEP_1)
	s_add_u32 s10, s2, s10
	v_lshlrev_b64 v[7:8], 2, v[3:4]
	s_addc_u32 s11, s3, s11
	s_add_i32 s4, s4, -1
	s_sub_i32 s0, s0, 64
	s_cmp_le_i32 s4, s5
	s_load_b64 s[10:11], s[10:11], 0x0
	v_add_co_u32 v7, vcc_lo, s7, v7
	v_add_co_ci_u32_e32 v8, vcc_lo, s8, v8, vcc_lo
	global_load_b32 v4, v[7:8], off
	v_max_f32_e32 v7, v0, v0
	s_waitcnt lgkmcnt(0)
	v_max_f32_e64 v8, s10, s10
	s_delay_alu instid0(VALU_DEP_1) | instskip(NEXT) | instid1(VALU_DEP_1)
	v_max_f32_e32 v7, v7, v8
	v_sub_f32_e32 v8, s10, v7
	s_delay_alu instid0(VALU_DEP_1) | instskip(NEXT) | instid1(VALU_DEP_1)
	v_dual_sub_f32 v0, v0, v7 :: v_dual_mul_f32 v9, 0x3fb8aa3b, v8
	v_fma_f32 v10, 0x3fb8aa3b, v8, -v9
	v_rndne_f32_e32 v11, v9
	s_delay_alu instid0(VALU_DEP_3) | instskip(NEXT) | instid1(VALU_DEP_2)
	v_mul_f32_e32 v12, 0x3fb8aa3b, v0
	v_dual_fmac_f32 v10, 0x32a5705f, v8 :: v_dual_sub_f32 v9, v9, v11
	v_cvt_i32_f32_e32 v11, v11
	s_delay_alu instid0(VALU_DEP_3) | instskip(SKIP_1) | instid1(VALU_DEP_4)
	v_fma_f32 v13, 0x3fb8aa3b, v0, -v12
	v_rndne_f32_e32 v14, v12
	v_add_f32_e32 v9, v9, v10
	v_cmp_ngt_f32_e32 vcc_lo, 0xc2ce8ed0, v8
	s_delay_alu instid0(VALU_DEP_3) | instskip(NEXT) | instid1(VALU_DEP_3)
	v_sub_f32_e32 v10, v12, v14
	v_exp_f32_e32 v9, v9
	s_waitcnt_depctr 0xfff
	v_ldexp_f32 v9, v9, v11
	v_cvt_i32_f32_e32 v11, v14
	s_delay_alu instid0(VALU_DEP_2) | instskip(SKIP_1) | instid1(VALU_DEP_2)
	v_cndmask_b32_e32 v9, 0, v9, vcc_lo
	v_cmp_nlt_f32_e32 vcc_lo, 0x42b17218, v8
	v_cndmask_b32_e32 v9, 0x7f800000, v9, vcc_lo
	v_cmp_ngt_f32_e32 vcc_lo, 0xc2ce8ed0, v0
	v_fmac_f32_e32 v13, 0x32a5705f, v0
	s_delay_alu instid0(VALU_DEP_1) | instskip(NEXT) | instid1(VALU_DEP_1)
	v_add_f32_e32 v10, v10, v13
	v_exp_f32_e32 v10, v10
	s_waitcnt_depctr 0xfff
	v_ldexp_f32 v10, v10, v11
	s_delay_alu instid0(VALU_DEP_1)
	v_dual_mov_b32 v11, v6 :: v_dual_cndmask_b32 v10, 0, v10
	v_cmp_le_f32_e32 vcc_lo, 0xc1a00000, v8
	s_waitcnt vmcnt(1)
	v_dual_cndmask_b32 v8, 0, v9 :: v_dual_mov_b32 v9, v5
	v_cmp_nlt_f32_e32 vcc_lo, 0x42b17218, v0
	v_cndmask_b32_e32 v5, 0x7f800000, v10, vcc_lo
	s_delay_alu instid0(VALU_DEP_3) | instskip(SKIP_2) | instid1(VALU_DEP_3)
	v_mul_f32_e32 v10, s11, v8
	v_cmp_le_f32_e32 vcc_lo, 0xc1a00000, v0
	v_mov_b32_e32 v0, v7
	v_mov_b32_e32 v6, v10
	s_waitcnt vmcnt(0)
	v_dual_cndmask_b32 v12, 0, v5 :: v_dual_mul_f32 v5, v4, v8
	s_delay_alu instid0(VALU_DEP_1) | instskip(NEXT) | instid1(VALU_DEP_2)
	v_dual_fmac_f32 v6, v11, v12 :: v_dual_add_nc_u32 v3, 0xffffec00, v3
	v_fmac_f32_e32 v5, v9, v12
	s_cbranch_scc0 .LBB11_3
	s_branch .LBB11_5
.LBB11_4:
	s_waitcnt lgkmcnt(0)
	v_mov_b32_e32 v6, s11
.LBB11_5:
	s_waitcnt vmcnt(0)
	s_delay_alu instid0(VALU_DEP_1) | instskip(NEXT) | instid1(VALU_DEP_1)
	v_div_scale_f32 v0, null, v6, v6, v5
	v_rcp_f32_e32 v3, v0
	s_waitcnt_depctr 0xfff
	v_fma_f32 v4, -v0, v3, 1.0
	s_delay_alu instid0(VALU_DEP_1) | instskip(SKIP_1) | instid1(VALU_DEP_1)
	v_fmac_f32_e32 v3, v4, v3
	v_div_scale_f32 v4, vcc_lo, v5, v6, v5
	v_mul_f32_e32 v7, v4, v3
	s_delay_alu instid0(VALU_DEP_1) | instskip(NEXT) | instid1(VALU_DEP_1)
	v_fma_f32 v8, -v0, v7, v4
	v_fmac_f32_e32 v7, v8, v3
	s_delay_alu instid0(VALU_DEP_1) | instskip(NEXT) | instid1(VALU_DEP_1)
	v_fma_f32 v0, -v0, v7, v4
	v_div_fmas_f32 v0, v0, v3, v7
	s_delay_alu instid0(VALU_DEP_1)
	v_div_fixup_f32 v0, v0, v6, v5
	global_store_b32 v[1:2], v0, off
.LBB11_6:
	s_nop 0
	s_sendmsg sendmsg(MSG_DEALLOC_VGPRS)
	s_endpgm
	.section	.rodata,"a",@progbits
	.p2align	6, 0x0
	.amdhsa_kernel _ZL33flash_attn_stream_k_fixup_uniformILi80ELi16ELi4EEvPfPK15HIP_vector_typeIfLj2EEiiiiiiS1_IjLj3EES5_S5_
		.amdhsa_group_segment_fixed_size 0
		.amdhsa_private_segment_fixed_size 0
		.amdhsa_kernarg_size 76
		.amdhsa_user_sgpr_count 13
		.amdhsa_user_sgpr_dispatch_ptr 0
		.amdhsa_user_sgpr_queue_ptr 0
		.amdhsa_user_sgpr_kernarg_segment_ptr 1
		.amdhsa_user_sgpr_dispatch_id 0
		.amdhsa_user_sgpr_private_segment_size 0
		.amdhsa_wavefront_size32 1
		.amdhsa_uses_dynamic_stack 0
		.amdhsa_enable_private_segment 0
		.amdhsa_system_sgpr_workgroup_id_x 1
		.amdhsa_system_sgpr_workgroup_id_y 1
		.amdhsa_system_sgpr_workgroup_id_z 1
		.amdhsa_system_sgpr_workgroup_info 0
		.amdhsa_system_vgpr_workitem_id 0
		.amdhsa_next_free_vgpr 15
		.amdhsa_next_free_sgpr 20
		.amdhsa_reserve_vcc 1
		.amdhsa_float_round_mode_32 0
		.amdhsa_float_round_mode_16_64 0
		.amdhsa_float_denorm_mode_32 3
		.amdhsa_float_denorm_mode_16_64 3
		.amdhsa_dx10_clamp 1
		.amdhsa_ieee_mode 1
		.amdhsa_fp16_overflow 0
		.amdhsa_workgroup_processor_mode 1
		.amdhsa_memory_ordered 1
		.amdhsa_forward_progress 0
		.amdhsa_shared_vgpr_count 0
		.amdhsa_exception_fp_ieee_invalid_op 0
		.amdhsa_exception_fp_denorm_src 0
		.amdhsa_exception_fp_ieee_div_zero 0
		.amdhsa_exception_fp_ieee_overflow 0
		.amdhsa_exception_fp_ieee_underflow 0
		.amdhsa_exception_fp_ieee_inexact 0
		.amdhsa_exception_int_div_zero 0
	.end_amdhsa_kernel
	.section	.text._ZL33flash_attn_stream_k_fixup_uniformILi80ELi16ELi4EEvPfPK15HIP_vector_typeIfLj2EEiiiiiiS1_IjLj3EES5_S5_,"axG",@progbits,_ZL33flash_attn_stream_k_fixup_uniformILi80ELi16ELi4EEvPfPK15HIP_vector_typeIfLj2EEiiiiiiS1_IjLj3EES5_S5_,comdat
.Lfunc_end11:
	.size	_ZL33flash_attn_stream_k_fixup_uniformILi80ELi16ELi4EEvPfPK15HIP_vector_typeIfLj2EEiiiiiiS1_IjLj3EES5_S5_, .Lfunc_end11-_ZL33flash_attn_stream_k_fixup_uniformILi80ELi16ELi4EEvPfPK15HIP_vector_typeIfLj2EEiiiiiiS1_IjLj3EES5_S5_
                                        ; -- End function
	.section	.AMDGPU.csdata,"",@progbits
; Kernel info:
; codeLenInByte = 992
; NumSgprs: 22
; NumVgprs: 15
; ScratchSize: 0
; MemoryBound: 0
; FloatMode: 240
; IeeeMode: 1
; LDSByteSize: 0 bytes/workgroup (compile time only)
; SGPRBlocks: 2
; VGPRBlocks: 1
; NumSGPRsForWavesPerEU: 22
; NumVGPRsForWavesPerEU: 15
; Occupancy: 16
; WaveLimiterHint : 0
; COMPUTE_PGM_RSRC2:SCRATCH_EN: 0
; COMPUTE_PGM_RSRC2:USER_SGPR: 13
; COMPUTE_PGM_RSRC2:TRAP_HANDLER: 0
; COMPUTE_PGM_RSRC2:TGID_X_EN: 1
; COMPUTE_PGM_RSRC2:TGID_Y_EN: 1
; COMPUTE_PGM_RSRC2:TGID_Z_EN: 1
; COMPUTE_PGM_RSRC2:TIDIG_COMP_CNT: 0
	.section	.text._ZL33flash_attn_stream_k_fixup_generalILi80ELi16ELi4EEvPfPK15HIP_vector_typeIfLj2EEiiiiS1_IjLj3EES5_S5_S5_,"axG",@progbits,_ZL33flash_attn_stream_k_fixup_generalILi80ELi16ELi4EEvPfPK15HIP_vector_typeIfLj2EEiiiiS1_IjLj3EES5_S5_S5_,comdat
	.globl	_ZL33flash_attn_stream_k_fixup_generalILi80ELi16ELi4EEvPfPK15HIP_vector_typeIfLj2EEiiiiS1_IjLj3EES5_S5_S5_ ; -- Begin function _ZL33flash_attn_stream_k_fixup_generalILi80ELi16ELi4EEvPfPK15HIP_vector_typeIfLj2EEiiiiS1_IjLj3EES5_S5_S5_
	.p2align	8
	.type	_ZL33flash_attn_stream_k_fixup_generalILi80ELi16ELi4EEvPfPK15HIP_vector_typeIfLj2EEiiiiS1_IjLj3EES5_S5_S5_,@function
_ZL33flash_attn_stream_k_fixup_generalILi80ELi16ELi4EEvPfPK15HIP_vector_typeIfLj2EEiiiiS1_IjLj3EES5_S5_S5_: ; @_ZL33flash_attn_stream_k_fixup_generalILi80ELi16ELi4EEvPfPK15HIP_vector_typeIfLj2EEiiiiS1_IjLj3EES5_S5_S5_
; %bb.0:
	s_clause 0x1
	s_load_b128 s[4:7], s[0:1], 0x10
	s_load_b32 s20, s[0:1], 0x50
	s_mov_b32 s2, 0
	s_waitcnt lgkmcnt(0)
	s_mul_hi_i32 s3, s7, s13
	s_mul_i32 s12, s7, s13
	s_cmp_lg_u64 s[2:3], 0
	s_cbranch_scc0 .LBB12_21
; %bb.1:
	v_cvt_f32_ubyte0_e32 v1, 0
	v_cvt_f32_u32_e32 v2, s20
	s_sub_u32 s10, 0, s20
	s_subb_u32 s11, 0, 0
	s_delay_alu instid0(VALU_DEP_1) | instskip(NEXT) | instid1(VALU_DEP_1)
	v_fmamk_f32 v1, v1, 0x4f800000, v2
	v_rcp_f32_e32 v1, v1
	s_waitcnt_depctr 0xfff
	v_mul_f32_e32 v1, 0x5f7ffffc, v1
	s_delay_alu instid0(VALU_DEP_1) | instskip(NEXT) | instid1(VALU_DEP_1)
	v_mul_f32_e32 v2, 0x2f800000, v1
	v_trunc_f32_e32 v2, v2
	s_delay_alu instid0(VALU_DEP_1) | instskip(SKIP_1) | instid1(VALU_DEP_2)
	v_fmamk_f32 v1, v2, 0xcf800000, v1
	v_cvt_u32_f32_e32 v2, v2
	v_cvt_u32_f32_e32 v1, v1
	s_delay_alu instid0(VALU_DEP_2) | instskip(NEXT) | instid1(VALU_DEP_2)
	v_readfirstlane_b32 s8, v2
	v_readfirstlane_b32 s9, v1
	s_delay_alu instid0(VALU_DEP_2) | instskip(NEXT) | instid1(VALU_DEP_1)
	s_mul_i32 s16, s10, s8
	s_mul_hi_u32 s18, s10, s9
	s_mul_i32 s17, s11, s9
	s_add_i32 s16, s18, s16
	s_mul_i32 s19, s10, s9
	s_add_i32 s16, s16, s17
	s_mul_hi_u32 s18, s9, s19
	s_mul_hi_u32 s21, s8, s19
	s_mul_i32 s17, s8, s19
	s_mul_hi_u32 s19, s9, s16
	s_mul_i32 s9, s9, s16
	s_mul_hi_u32 s22, s8, s16
	s_add_u32 s9, s18, s9
	s_addc_u32 s18, 0, s19
	s_add_u32 s9, s9, s17
	s_mul_i32 s16, s8, s16
	s_addc_u32 s9, s18, s21
	s_addc_u32 s17, s22, 0
	s_add_u32 s9, s9, s16
	s_addc_u32 s16, 0, s17
	v_add_co_u32 v1, s9, v1, s9
	s_delay_alu instid0(VALU_DEP_1) | instskip(SKIP_1) | instid1(VALU_DEP_1)
	s_cmp_lg_u32 s9, 0
	s_addc_u32 s8, s8, s16
	v_readfirstlane_b32 s9, v1
	s_mul_i32 s16, s10, s8
	s_delay_alu instid0(VALU_DEP_1)
	s_mul_hi_u32 s17, s10, s9
	s_mul_i32 s11, s11, s9
	s_add_i32 s16, s17, s16
	s_mul_i32 s10, s10, s9
	s_add_i32 s16, s16, s11
	s_mul_hi_u32 s17, s8, s10
	s_mul_i32 s18, s8, s10
	s_mul_hi_u32 s10, s9, s10
	s_mul_hi_u32 s19, s9, s16
	s_mul_i32 s9, s9, s16
	s_mul_hi_u32 s11, s8, s16
	s_add_u32 s9, s10, s9
	s_addc_u32 s10, 0, s19
	s_add_u32 s9, s9, s18
	s_mul_i32 s16, s8, s16
	s_addc_u32 s9, s10, s17
	s_addc_u32 s10, s11, 0
	s_add_u32 s9, s9, s16
	s_addc_u32 s10, 0, s10
	v_add_co_u32 v1, s9, v1, s9
	s_delay_alu instid0(VALU_DEP_1) | instskip(SKIP_2) | instid1(SALU_CYCLE_1)
	s_cmp_lg_u32 s9, 0
	s_addc_u32 s16, s8, s10
	s_ashr_i32 s8, s3, 31
	s_add_u32 s10, s12, s8
	s_addc_u32 s11, s3, s8
	v_readfirstlane_b32 s3, v1
	s_mov_b32 s9, s8
	s_delay_alu instid0(SALU_CYCLE_1) | instskip(NEXT) | instid1(SALU_CYCLE_1)
	s_xor_b64 s[10:11], s[10:11], s[8:9]
	s_mul_i32 s18, s10, s16
	s_delay_alu instid0(VALU_DEP_1)
	s_mul_hi_u32 s19, s10, s3
	s_mul_hi_u32 s17, s10, s16
	;; [unrolled: 1-line block ×3, first 2 shown]
	s_mul_i32 s3, s11, s3
	s_add_u32 s18, s19, s18
	s_addc_u32 s17, 0, s17
	s_mul_hi_u32 s21, s11, s16
	s_add_u32 s3, s18, s3
	s_mul_i32 s16, s11, s16
	s_addc_u32 s3, s17, s22
	s_addc_u32 s17, s21, 0
	s_add_u32 s3, s3, s16
	s_addc_u32 s16, 0, s17
	s_mul_i32 s18, s20, s3
	s_add_u32 s17, s3, 1
	v_sub_co_u32 v1, s10, s10, s18
	s_mul_hi_u32 s18, s20, s3
	s_addc_u32 s19, s16, 0
	s_mul_i32 s21, s20, s16
	s_delay_alu instid0(VALU_DEP_1)
	v_sub_co_u32 v2, s22, v1, s20
	s_add_u32 s23, s3, 2
	s_addc_u32 s24, s16, 0
	s_add_i32 s18, s18, s21
	s_cmp_lg_u32 s10, 0
	v_readfirstlane_b32 s10, v2
	s_subb_u32 s11, s11, s18
	s_cmp_lg_u32 s22, 0
	s_subb_u32 s18, s11, 0
	s_delay_alu instid0(VALU_DEP_1) | instskip(SKIP_4) | instid1(SALU_CYCLE_1)
	s_cmp_ge_u32 s10, s20
	s_cselect_b32 s10, -1, 0
	s_cmp_eq_u32 s18, 0
	v_readfirstlane_b32 s18, v1
	s_cselect_b32 s10, s10, -1
	s_cmp_lg_u32 s10, 0
	s_cselect_b32 s10, s23, s17
	s_cselect_b32 s17, s24, s19
	s_cmp_ge_u32 s18, s20
	s_cselect_b32 s18, -1, 0
	s_cmp_eq_u32 s11, 0
	s_cselect_b32 s11, s18, -1
	s_delay_alu instid0(SALU_CYCLE_1) | instskip(SKIP_2) | instid1(SALU_CYCLE_1)
	s_cmp_lg_u32 s11, 0
	s_cselect_b32 s11, s17, s16
	s_cselect_b32 s10, s10, s3
	s_xor_b64 s[10:11], s[10:11], s[8:9]
	s_delay_alu instid0(SALU_CYCLE_1)
	s_sub_u32 s16, s10, s8
	s_load_b128 s[8:11], s[0:1], 0x44
	s_and_not1_b32 vcc_lo, exec_lo, s2
	s_cbranch_vccnz .LBB12_3
.LBB12_2:
	v_cvt_f32_u32_e32 v1, s20
	s_sub_i32 s3, 0, s20
	s_delay_alu instid0(VALU_DEP_1) | instskip(SKIP_2) | instid1(VALU_DEP_1)
	v_rcp_iflag_f32_e32 v1, v1
	s_waitcnt_depctr 0xfff
	v_mul_f32_e32 v1, 0x4f7ffffe, v1
	v_cvt_u32_f32_e32 v1, v1
	s_delay_alu instid0(VALU_DEP_1) | instskip(NEXT) | instid1(VALU_DEP_1)
	v_readfirstlane_b32 s2, v1
	s_mul_i32 s3, s3, s2
	s_delay_alu instid0(SALU_CYCLE_1) | instskip(NEXT) | instid1(SALU_CYCLE_1)
	s_mul_hi_u32 s3, s2, s3
	s_add_i32 s2, s2, s3
	s_delay_alu instid0(SALU_CYCLE_1) | instskip(NEXT) | instid1(SALU_CYCLE_1)
	s_mul_hi_u32 s2, s12, s2
	s_mul_i32 s3, s2, s20
	s_waitcnt lgkmcnt(0)
	s_add_i32 s11, s2, 1
	s_sub_i32 s3, s12, s3
	s_delay_alu instid0(SALU_CYCLE_1)
	s_sub_i32 s12, s3, s20
	s_cmp_ge_u32 s3, s20
	s_cselect_b32 s2, s11, s2
	s_cselect_b32 s3, s12, s3
	s_add_i32 s11, s2, 1
	s_cmp_ge_u32 s3, s20
	s_cselect_b32 s16, s11, s2
.LBB12_3:
	s_waitcnt lgkmcnt(0)
	s_add_i32 s11, s13, 1
	s_mov_b32 s2, 0
	s_mul_hi_i32 s3, s7, s11
	s_mul_i32 s11, s7, s11
	s_cmp_lg_u64 s[2:3], 0
	s_cbranch_scc0 .LBB12_22
; %bb.4:
	v_cvt_f32_ubyte0_e32 v1, 0
	v_cvt_f32_u32_e32 v2, s20
	s_sub_u32 s18, 0, s20
	s_subb_u32 s19, 0, 0
	s_delay_alu instid0(VALU_DEP_1) | instskip(NEXT) | instid1(VALU_DEP_1)
	v_fmamk_f32 v1, v1, 0x4f800000, v2
	v_rcp_f32_e32 v1, v1
	s_waitcnt_depctr 0xfff
	v_mul_f32_e32 v1, 0x5f7ffffc, v1
	s_delay_alu instid0(VALU_DEP_1) | instskip(NEXT) | instid1(VALU_DEP_1)
	v_mul_f32_e32 v2, 0x2f800000, v1
	v_trunc_f32_e32 v2, v2
	s_delay_alu instid0(VALU_DEP_1) | instskip(SKIP_1) | instid1(VALU_DEP_2)
	v_fmamk_f32 v1, v2, 0xcf800000, v1
	v_cvt_u32_f32_e32 v2, v2
	v_cvt_u32_f32_e32 v1, v1
	s_delay_alu instid0(VALU_DEP_2) | instskip(NEXT) | instid1(VALU_DEP_2)
	v_readfirstlane_b32 s12, v2
	v_readfirstlane_b32 s17, v1
	s_delay_alu instid0(VALU_DEP_2) | instskip(NEXT) | instid1(VALU_DEP_1)
	s_mul_i32 s21, s18, s12
	s_mul_hi_u32 s23, s18, s17
	s_mul_i32 s22, s19, s17
	s_add_i32 s21, s23, s21
	s_mul_i32 s24, s18, s17
	s_add_i32 s21, s21, s22
	s_mul_hi_u32 s23, s17, s24
	s_mul_hi_u32 s25, s12, s24
	s_mul_i32 s22, s12, s24
	s_mul_hi_u32 s24, s17, s21
	s_mul_i32 s17, s17, s21
	s_mul_hi_u32 s26, s12, s21
	s_add_u32 s17, s23, s17
	s_addc_u32 s23, 0, s24
	s_add_u32 s17, s17, s22
	s_mul_i32 s21, s12, s21
	s_addc_u32 s17, s23, s25
	s_addc_u32 s22, s26, 0
	s_add_u32 s17, s17, s21
	s_addc_u32 s21, 0, s22
	v_add_co_u32 v1, s17, v1, s17
	s_delay_alu instid0(VALU_DEP_1) | instskip(SKIP_1) | instid1(VALU_DEP_1)
	s_cmp_lg_u32 s17, 0
	s_addc_u32 s12, s12, s21
	v_readfirstlane_b32 s17, v1
	s_mul_i32 s21, s18, s12
	s_delay_alu instid0(VALU_DEP_1)
	s_mul_hi_u32 s22, s18, s17
	s_mul_i32 s19, s19, s17
	s_add_i32 s21, s22, s21
	s_mul_i32 s18, s18, s17
	s_add_i32 s21, s21, s19
	s_mul_hi_u32 s22, s12, s18
	s_mul_i32 s23, s12, s18
	s_mul_hi_u32 s18, s17, s18
	s_mul_hi_u32 s24, s17, s21
	s_mul_i32 s17, s17, s21
	s_mul_hi_u32 s19, s12, s21
	s_add_u32 s17, s18, s17
	s_addc_u32 s18, 0, s24
	s_add_u32 s17, s17, s23
	s_mul_i32 s21, s12, s21
	s_addc_u32 s17, s18, s22
	s_addc_u32 s18, s19, 0
	s_add_u32 s17, s17, s21
	s_addc_u32 s18, 0, s18
	v_add_co_u32 v1, s17, v1, s17
	s_delay_alu instid0(VALU_DEP_1) | instskip(SKIP_2) | instid1(SALU_CYCLE_1)
	s_cmp_lg_u32 s17, 0
	s_addc_u32 s12, s12, s18
	s_ashr_i32 s18, s3, 31
	s_add_u32 s22, s11, s18
	s_addc_u32 s23, s3, s18
	v_readfirstlane_b32 s3, v1
	s_mov_b32 s19, s18
	s_delay_alu instid0(SALU_CYCLE_1) | instskip(NEXT) | instid1(SALU_CYCLE_1)
	s_xor_b64 s[22:23], s[22:23], s[18:19]
	s_mul_i32 s21, s22, s12
	s_delay_alu instid0(VALU_DEP_1)
	s_mul_hi_u32 s24, s22, s3
	s_mul_hi_u32 s17, s22, s12
	;; [unrolled: 1-line block ×3, first 2 shown]
	s_mul_i32 s3, s23, s3
	s_add_u32 s21, s24, s21
	s_addc_u32 s17, 0, s17
	s_mul_hi_u32 s25, s23, s12
	s_add_u32 s3, s21, s3
	s_mul_i32 s12, s23, s12
	s_addc_u32 s3, s17, s26
	s_addc_u32 s17, s25, 0
	s_add_u32 s3, s3, s12
	s_addc_u32 s12, 0, s17
	s_mul_i32 s21, s20, s3
	s_add_u32 s17, s3, 1
	v_sub_co_u32 v1, s21, s22, s21
	s_mul_hi_u32 s22, s20, s3
	s_addc_u32 s24, s12, 0
	s_mul_i32 s25, s20, s12
	s_delay_alu instid0(VALU_DEP_1)
	v_sub_co_u32 v2, s26, v1, s20
	s_add_u32 s27, s3, 2
	s_addc_u32 s28, s12, 0
	s_add_i32 s22, s22, s25
	s_cmp_lg_u32 s21, 0
	v_readfirstlane_b32 s21, v2
	s_subb_u32 s22, s23, s22
	s_cmp_lg_u32 s26, 0
	s_subb_u32 s23, s22, 0
	s_delay_alu instid0(VALU_DEP_1) | instskip(SKIP_4) | instid1(SALU_CYCLE_1)
	s_cmp_ge_u32 s21, s20
	s_cselect_b32 s21, -1, 0
	s_cmp_eq_u32 s23, 0
	v_readfirstlane_b32 s23, v1
	s_cselect_b32 s21, s21, -1
	s_cmp_lg_u32 s21, 0
	s_cselect_b32 s17, s27, s17
	s_cselect_b32 s21, s28, s24
	s_cmp_ge_u32 s23, s20
	s_cselect_b32 s23, -1, 0
	s_cmp_eq_u32 s22, 0
	s_cselect_b32 s22, s23, -1
	s_delay_alu instid0(SALU_CYCLE_1) | instskip(SKIP_2) | instid1(SALU_CYCLE_1)
	s_cmp_lg_u32 s22, 0
	s_cselect_b32 s23, s21, s12
	s_cselect_b32 s22, s17, s3
	s_xor_b64 s[22:23], s[22:23], s[18:19]
	s_delay_alu instid0(SALU_CYCLE_1)
	s_sub_u32 s18, s22, s18
	s_and_not1_b32 vcc_lo, exec_lo, s2
	s_cbranch_vccnz .LBB12_6
.LBB12_5:
	v_cvt_f32_u32_e32 v1, s20
	s_sub_i32 s3, 0, s20
	s_delay_alu instid0(VALU_DEP_1) | instskip(SKIP_2) | instid1(VALU_DEP_1)
	v_rcp_iflag_f32_e32 v1, v1
	s_waitcnt_depctr 0xfff
	v_mul_f32_e32 v1, 0x4f7ffffe, v1
	v_cvt_u32_f32_e32 v1, v1
	s_delay_alu instid0(VALU_DEP_1) | instskip(NEXT) | instid1(VALU_DEP_1)
	v_readfirstlane_b32 s2, v1
	s_mul_i32 s3, s3, s2
	s_delay_alu instid0(SALU_CYCLE_1) | instskip(NEXT) | instid1(SALU_CYCLE_1)
	s_mul_hi_u32 s3, s2, s3
	s_add_i32 s2, s2, s3
	s_delay_alu instid0(SALU_CYCLE_1) | instskip(NEXT) | instid1(SALU_CYCLE_1)
	s_mul_hi_u32 s2, s11, s2
	s_mul_i32 s3, s2, s20
	s_delay_alu instid0(SALU_CYCLE_1)
	s_sub_i32 s3, s11, s3
	s_add_i32 s11, s2, 1
	s_sub_i32 s12, s3, s20
	s_cmp_ge_u32 s3, s20
	s_cselect_b32 s2, s11, s2
	s_cselect_b32 s3, s12, s3
	s_add_i32 s11, s2, 1
	s_cmp_ge_u32 s3, s20
	s_cselect_b32 s18, s11, s2
.LBB12_6:
	s_delay_alu instid0(SALU_CYCLE_1) | instskip(SKIP_3) | instid1(SALU_CYCLE_1)
	s_cmp_eq_u32 s16, s18
	s_mul_hi_u32 s2, s16, s8
	s_cselect_b32 s3, -1, 0
	s_add_i32 s2, s2, s16
	s_lshr_b32 s11, s2, s9
	s_delay_alu instid0(SALU_CYCLE_1) | instskip(NEXT) | instid1(SALU_CYCLE_1)
	s_mul_i32 s2, s11, s10
	s_cmp_eq_u32 s2, s16
	s_mul_hi_u32 s2, s18, s8
	s_cselect_b32 s12, -1, 0
	s_add_i32 s2, s2, s18
	s_delay_alu instid0(SALU_CYCLE_1) | instskip(NEXT) | instid1(SALU_CYCLE_1)
	s_lshr_b32 s2, s2, s9
	s_cmp_eq_u32 s11, s2
	s_mul_i32 s2, s2, s10
	s_cselect_b32 s17, -1, 0
	s_cmp_lg_u32 s2, s18
	s_cselect_b32 s2, -1, 0
	s_or_b32 s3, s3, s12
	s_and_b32 s2, s17, s2
	s_delay_alu instid0(SALU_CYCLE_1) | instskip(NEXT) | instid1(SALU_CYCLE_1)
	s_or_b32 s2, s3, s2
	s_and_b32 vcc_lo, exec_lo, s2
	s_cbranch_vccnz .LBB12_24
; %bb.7:
	s_load_b256 s[24:31], s[0:1], 0x20
	s_waitcnt lgkmcnt(0)
	s_mul_hi_u32 s2, s16, s24
	s_delay_alu instid0(SALU_CYCLE_1) | instskip(NEXT) | instid1(SALU_CYCLE_1)
	s_add_i32 s2, s2, s16
	s_lshr_b32 s17, s2, s25
	s_load_b32 s2, s[0:1], 0x40
	s_mul_i32 s3, s17, s26
	s_delay_alu instid0(SALU_CYCLE_1) | instskip(NEXT) | instid1(SALU_CYCLE_1)
	s_sub_i32 s3, s16, s3
	s_mul_hi_u32 s12, s3, s27
	s_delay_alu instid0(SALU_CYCLE_1) | instskip(NEXT) | instid1(SALU_CYCLE_1)
	s_add_i32 s12, s3, s12
	s_lshr_b32 s19, s12, s28
	s_delay_alu instid0(SALU_CYCLE_1) | instskip(NEXT) | instid1(SALU_CYCLE_1)
	s_mul_i32 s12, s19, s29
	s_sub_i32 s3, s3, s12
	s_delay_alu instid0(SALU_CYCLE_1) | instskip(NEXT) | instid1(SALU_CYCLE_1)
	s_mul_hi_u32 s12, s3, s30
	s_add_i32 s12, s3, s12
	s_delay_alu instid0(SALU_CYCLE_1)
	s_lshr_b32 s12, s12, s31
	s_waitcnt lgkmcnt(0)
	s_mul_i32 s2, s12, s2
	s_lshl_b32 s21, s12, 2
	s_sub_i32 s2, s3, s2
	s_mov_b32 s12, 0
	s_mul_hi_u32 s3, s2, s8
	s_delay_alu instid0(SALU_CYCLE_1) | instskip(NEXT) | instid1(SALU_CYCLE_1)
	s_add_i32 s2, s2, s3
	s_lshr_b32 s18, s2, s9
	s_delay_alu instid0(SALU_CYCLE_1) | instskip(NEXT) | instid1(SALU_CYCLE_1)
	s_lshl_b32 s2, s18, 4
	s_add_i32 s2, s2, s14
	s_delay_alu instid0(SALU_CYCLE_1) | instskip(SKIP_2) | instid1(SALU_CYCLE_1)
	s_cmp_lt_i32 s2, s4
	s_cselect_b32 s2, -1, 0
	s_add_i32 s21, s21, s15
	s_cmp_lt_i32 s21, s6
	s_cselect_b32 s3, -1, 0
	s_delay_alu instid0(SALU_CYCLE_1) | instskip(NEXT) | instid1(SALU_CYCLE_1)
	s_and_b32 s2, s2, s3
	s_and_not1_b32 vcc_lo, exec_lo, s2
	s_cbranch_vccnz .LBB12_24
; %bb.8:
	s_load_b128 s[0:3], s[0:1], 0x0
	s_lshl_b32 s22, s20, 8
	s_mov_b32 s23, s12
	s_lshl_b32 s24, s14, 2
	s_lshl_b64 s[22:23], s[22:23], 2
	s_mul_i32 s19, s19, s6
	s_mul_i32 s4, s17, s4
	s_add_i32 s6, s24, s15
	v_cvt_f32_ubyte0_e32 v3, 0
	v_cvt_f32_u32_e32 v4, s20
	s_waitcnt lgkmcnt(0)
	s_add_u32 s15, s2, s22
	s_addc_u32 s17, s3, s23
	s_add_i32 s4, s4, s14
	s_add_i32 s14, s21, s19
	s_mul_i32 s4, s4, s5
	s_mul_i32 s5, s5, s18
	s_add_i32 s4, s14, s4
	s_mulk_i32 s5, 0x500
	s_mulk_i32 s4, 0x50
	s_delay_alu instid0(SALU_CYCLE_1) | instskip(NEXT) | instid1(VALU_DEP_1)
	v_add3_u32 v1, s5, s4, v0
	v_ashrrev_i32_e32 v2, 31, v1
	s_delay_alu instid0(VALU_DEP_1) | instskip(NEXT) | instid1(VALU_DEP_1)
	v_lshlrev_b64 v[1:2], 2, v[1:2]
	v_add_co_u32 v1, vcc_lo, s0, v1
	s_delay_alu instid0(VALU_DEP_2) | instskip(SKIP_1) | instid1(SALU_CYCLE_1)
	v_add_co_ci_u32_e32 v2, vcc_lo, s1, v2, vcc_lo
	s_lshl_b32 s0, s13, 6
	s_add_i32 s0, s6, s0
	global_load_b32 v5, v[1:2], off
	s_ashr_i32 s1, s0, 31
	s_delay_alu instid0(SALU_CYCLE_1) | instskip(NEXT) | instid1(SALU_CYCLE_1)
	s_lshl_b64 s[0:1], s[0:1], 3
	s_add_u32 s0, s2, s0
	s_addc_u32 s1, s3, s1
	s_add_i32 s18, s13, -1
	s_load_b64 s[0:1], s[0:1], 0x0
	v_fmac_f32_e32 v4, 0x4f800000, v3
	s_sub_i32 s14, 0, s20
	s_delay_alu instid0(VALU_DEP_1)
	v_rcp_f32_e32 v3, v4
	s_waitcnt_depctr 0xfff
	v_mul_f32_e32 v6, 0x5f7ffffc, v3
	v_cvt_f32_u32_e32 v3, s20
	s_waitcnt lgkmcnt(0)
	v_mov_b32_e32 v8, s0
	s_delay_alu instid0(VALU_DEP_3) | instskip(NEXT) | instid1(VALU_DEP_3)
	v_mul_f32_e32 v4, 0x2f800000, v6
	v_rcp_iflag_f32_e32 v7, v3
	s_delay_alu instid0(VALU_DEP_1) | instskip(SKIP_1) | instid1(VALU_DEP_2)
	v_trunc_f32_e32 v9, v4
	v_mad_u64_u32 v[3:4], null, 0x50, s6, v[0:1]
	v_fmac_f32_e32 v6, 0xcf800000, v9
	s_waitcnt_depctr 0xfff
	v_dual_mul_f32 v10, 0x4f7ffffe, v7 :: v_dual_mov_b32 v7, s1
	v_cvt_u32_f32_e32 v4, v9
	v_cvt_u32_f32_e32 v0, v6
	s_delay_alu instid0(VALU_DEP_3)
	v_cvt_u32_f32_e32 v6, v10
.LBB12_9:                               ; =>This Inner Loop Header: Depth=1
	s_mul_hi_i32 s13, s18, s7
	s_mul_i32 s4, s18, s7
	s_cmp_lg_u64 s[12:13], 0
	s_mov_b32 s5, -1
                                        ; implicit-def: $sgpr0_sgpr1
	s_cbranch_scc0 .LBB12_11
; %bb.10:                               ;   in Loop: Header=BB12_9 Depth=1
	v_readfirstlane_b32 s0, v0
	v_readfirstlane_b32 s1, v4
	s_sub_u32 s5, 0, s20
	s_subb_u32 s19, 0, 0
	s_delay_alu instid0(VALU_DEP_2) | instskip(NEXT) | instid1(VALU_DEP_1)
	s_mul_hi_u32 s21, s5, s0
	s_mul_i32 s22, s5, s1
	s_mul_i32 s23, s19, s0
	s_add_i32 s21, s21, s22
	s_mul_i32 s22, s5, s0
	s_add_i32 s21, s21, s23
	s_mul_hi_u32 s23, s0, s22
	s_mul_i32 s24, s0, s21
	s_mul_hi_u32 s0, s0, s21
	s_add_u32 s23, s23, s24
	s_mul_i32 s25, s1, s22
	s_addc_u32 s0, 0, s0
	s_mul_hi_u32 s22, s1, s22
	s_mul_hi_u32 s24, s1, s21
	s_add_u32 s23, s23, s25
	s_addc_u32 s0, s0, s22
	s_mul_i32 s21, s1, s21
	s_addc_u32 s22, s24, 0
	s_add_u32 s0, s0, s21
	s_addc_u32 s21, 0, s22
	v_add_co_u32 v9, s0, v0, s0
	s_delay_alu instid0(VALU_DEP_1) | instskip(SKIP_1) | instid1(VALU_DEP_1)
	s_cmp_lg_u32 s0, 0
	s_addc_u32 s1, s1, s21
	v_readfirstlane_b32 s0, v9
	s_mul_i32 s21, s5, s1
	s_delay_alu instid0(VALU_DEP_1)
	s_mul_hi_u32 s22, s5, s0
	s_mul_i32 s19, s19, s0
	s_add_i32 s21, s22, s21
	s_mul_i32 s5, s5, s0
	s_add_i32 s21, s21, s19
	s_mul_hi_u32 s19, s1, s5
	s_mul_i32 s23, s1, s5
	s_mul_i32 s24, s0, s21
	s_mul_hi_u32 s5, s0, s5
	s_mul_hi_u32 s0, s0, s21
	s_add_u32 s5, s5, s24
	s_addc_u32 s0, 0, s0
	s_mul_hi_u32 s22, s1, s21
	s_add_u32 s5, s5, s23
	s_addc_u32 s0, s0, s19
	s_mul_i32 s5, s1, s21
	s_addc_u32 s19, s22, 0
	s_add_u32 s0, s0, s5
	s_addc_u32 s5, 0, s19
	v_add_co_u32 v9, s0, v9, s0
	s_delay_alu instid0(VALU_DEP_1) | instskip(SKIP_2) | instid1(SALU_CYCLE_1)
	s_cmp_lg_u32 s0, 0
	s_addc_u32 s5, s1, s5
	s_ashr_i32 s0, s13, 31
	s_add_u32 s22, s4, s0
	s_addc_u32 s23, s13, s0
	v_readfirstlane_b32 s13, v9
	s_mov_b32 s1, s0
	s_delay_alu instid0(SALU_CYCLE_1) | instskip(NEXT) | instid1(SALU_CYCLE_1)
	s_xor_b64 s[22:23], s[22:23], s[0:1]
	s_mul_i32 s19, s22, s5
	s_delay_alu instid0(VALU_DEP_1)
	s_mul_hi_u32 s21, s22, s13
	s_mul_hi_u32 s24, s22, s5
	s_add_u32 s19, s21, s19
	s_mul_i32 s25, s23, s13
	s_addc_u32 s21, 0, s24
	s_mul_hi_u32 s13, s23, s13
	s_mul_hi_u32 s24, s23, s5
	s_add_u32 s19, s19, s25
	s_addc_u32 s13, s21, s13
	s_mul_i32 s5, s23, s5
	s_addc_u32 s19, s24, 0
	s_add_u32 s5, s13, s5
	s_addc_u32 s13, 0, s19
	s_mul_i32 s21, s20, s5
	s_add_u32 s19, s5, 1
	v_sub_co_u32 v9, s21, s22, s21
	s_addc_u32 s22, s13, 0
	s_mul_i32 s25, s20, s13
	s_mul_hi_u32 s27, s20, s5
	s_delay_alu instid0(VALU_DEP_1)
	v_sub_co_u32 v10, s26, v9, s20
	s_add_u32 s24, s5, 2
	s_addc_u32 s28, s13, 0
	s_add_i32 s27, s27, s25
	s_cmp_lg_u32 s21, 0
	v_readfirstlane_b32 s21, v10
	s_subb_u32 s23, s23, s27
	s_cmp_lg_u32 s26, 0
	s_subb_u32 s25, s23, 0
	s_delay_alu instid0(VALU_DEP_1) | instskip(SKIP_4) | instid1(SALU_CYCLE_1)
	s_cmp_ge_u32 s21, s20
	s_cselect_b32 s21, -1, 0
	s_cmp_eq_u32 s25, 0
	v_readfirstlane_b32 s25, v9
	s_cselect_b32 s21, s21, -1
	s_cmp_lg_u32 s21, 0
	s_cselect_b32 s19, s24, s19
	s_cselect_b32 s21, s28, s22
	s_cmp_ge_u32 s25, s20
	s_cselect_b32 s22, -1, 0
	s_cmp_eq_u32 s23, 0
	s_cselect_b32 s22, s22, -1
	s_delay_alu instid0(SALU_CYCLE_1) | instskip(SKIP_4) | instid1(SALU_CYCLE_1)
	s_cmp_lg_u32 s22, 0
	s_cselect_b32 s23, s21, s13
	s_cselect_b32 s22, s19, s5
	s_mov_b32 s5, 0
	s_xor_b64 s[22:23], s[22:23], s[0:1]
	s_sub_u32 s0, s22, s0
.LBB12_11:                              ;   in Loop: Header=BB12_9 Depth=1
	s_and_not1_b32 vcc_lo, exec_lo, s5
	s_cbranch_vccnz .LBB12_13
; %bb.12:                               ;   in Loop: Header=BB12_9 Depth=1
	v_readfirstlane_b32 s0, v6
	s_delay_alu instid0(VALU_DEP_1) | instskip(NEXT) | instid1(SALU_CYCLE_1)
	s_mul_i32 s1, s14, s0
	s_mul_hi_u32 s1, s0, s1
	s_delay_alu instid0(SALU_CYCLE_1) | instskip(NEXT) | instid1(SALU_CYCLE_1)
	s_add_i32 s0, s0, s1
	s_mul_hi_u32 s0, s4, s0
	s_delay_alu instid0(SALU_CYCLE_1) | instskip(NEXT) | instid1(SALU_CYCLE_1)
	s_mul_i32 s1, s0, s20
	s_sub_i32 s1, s4, s1
	s_add_i32 s4, s0, 1
	s_sub_i32 s5, s1, s20
	s_cmp_ge_u32 s1, s20
	s_cselect_b32 s0, s4, s0
	s_cselect_b32 s1, s5, s1
	s_add_i32 s4, s0, 1
	s_cmp_ge_u32 s1, s20
	s_cselect_b32 s0, s4, s0
.LBB12_13:                              ;   in Loop: Header=BB12_9 Depth=1
	s_delay_alu instid0(SALU_CYCLE_1)
	s_cmp_lg_u32 s16, s0
	s_cbranch_scc0 .LBB12_17
; %bb.14:                               ;   in Loop: Header=BB12_9 Depth=1
	s_add_i32 s1, s18, s20
	s_mov_b32 s5, s12
	s_lshl_b32 s1, s1, 6
	s_mov_b32 s19, s16
	s_add_i32 s4, s1, s6
	s_mul_hi_u32 s1, s0, s8
	s_lshl_b64 s[4:5], s[4:5], 3
	s_delay_alu instid0(SALU_CYCLE_1) | instskip(SKIP_2) | instid1(SALU_CYCLE_1)
	s_add_u32 s4, s2, s4
	s_addc_u32 s5, s3, s5
	s_add_i32 s1, s1, s0
	s_lshr_b32 s1, s1, s9
	s_delay_alu instid0(SALU_CYCLE_1) | instskip(NEXT) | instid1(SALU_CYCLE_1)
	s_mul_i32 s13, s1, s10
	s_cmp_eq_u32 s13, s0
	s_cselect_b32 s13, -1, 0
	s_cmp_lt_u32 s1, s11
	s_cselect_b32 s1, -1, 0
	s_delay_alu instid0(SALU_CYCLE_1)
	s_or_b32 s1, s1, s13
	s_mov_b32 s13, -1
	s_and_b32 vcc_lo, exec_lo, s1
	s_mov_b32 s1, s18
	s_cbranch_vccnz .LBB12_16
; %bb.15:                               ;   in Loop: Header=BB12_9 Depth=1
	s_add_i32 s1, s18, -1
	s_mov_b32 s13, 0
	s_mov_b32 s19, s0
.LBB12_16:                              ;   in Loop: Header=BB12_9 Depth=1
	v_mad_u64_u32 v[9:10], null, 0x1400, s18, v[3:4]
	s_load_b64 s[4:5], s[4:5], 0x0
	s_delay_alu instid0(VALU_DEP_1) | instskip(NEXT) | instid1(VALU_DEP_1)
	v_ashrrev_i32_e32 v10, 31, v9
	v_lshlrev_b64 v[9:10], 2, v[9:10]
	s_delay_alu instid0(VALU_DEP_1) | instskip(NEXT) | instid1(VALU_DEP_2)
	v_add_co_u32 v9, vcc_lo, s15, v9
	v_add_co_ci_u32_e32 v10, vcc_lo, s17, v10, vcc_lo
	s_waitcnt lgkmcnt(0)
	v_max_f32_e64 v11, s4, s4
	global_load_b32 v10, v[9:10], off
	v_max_f32_e32 v9, v8, v8
	s_delay_alu instid0(VALU_DEP_1) | instskip(NEXT) | instid1(VALU_DEP_1)
	v_max_f32_e32 v9, v9, v11
	v_sub_f32_e32 v12, v8, v9
	s_delay_alu instid0(VALU_DEP_1) | instskip(NEXT) | instid1(VALU_DEP_1)
	v_dual_mul_f32 v14, 0x3fb8aa3b, v12 :: v_dual_sub_f32 v11, s4, v9
	v_rndne_f32_e32 v18, v14
	s_delay_alu instid0(VALU_DEP_2) | instskip(SKIP_2) | instid1(VALU_DEP_4)
	v_mul_f32_e32 v13, 0x3fb8aa3b, v11
	v_fma_f32 v17, 0x3fb8aa3b, v12, -v14
	v_cmp_ngt_f32_e32 vcc_lo, 0xc2ce8ed0, v11
	v_sub_f32_e32 v14, v14, v18
	s_delay_alu instid0(VALU_DEP_4) | instskip(SKIP_2) | instid1(VALU_DEP_3)
	v_fma_f32 v15, 0x3fb8aa3b, v11, -v13
	v_rndne_f32_e32 v16, v13
	v_fmac_f32_e32 v17, 0x32a5705f, v12
	v_fmac_f32_e32 v15, 0x32a5705f, v11
	s_delay_alu instid0(VALU_DEP_2) | instskip(NEXT) | instid1(VALU_DEP_1)
	v_dual_sub_f32 v13, v13, v16 :: v_dual_add_f32 v14, v14, v17
	v_add_f32_e32 v13, v13, v15
	s_delay_alu instid0(VALU_DEP_2) | instskip(SKIP_2) | instid1(VALU_DEP_3)
	v_exp_f32_e32 v14, v14
	v_cvt_i32_f32_e32 v15, v16
	v_cvt_i32_f32_e32 v16, v18
	v_exp_f32_e32 v13, v13
	s_waitcnt_depctr 0xfff
	v_ldexp_f32 v14, v14, v16
	v_ldexp_f32 v13, v13, v15
	s_delay_alu instid0(VALU_DEP_1) | instskip(SKIP_1) | instid1(VALU_DEP_4)
	v_cndmask_b32_e32 v13, 0, v13, vcc_lo
	v_cmp_ngt_f32_e32 vcc_lo, 0xc2ce8ed0, v12
	v_cndmask_b32_e32 v14, 0, v14, vcc_lo
	v_cmp_nlt_f32_e32 vcc_lo, 0x42b17218, v11
	s_delay_alu instid0(VALU_DEP_4) | instskip(SKIP_1) | instid1(VALU_DEP_4)
	v_cndmask_b32_e32 v13, 0x7f800000, v13, vcc_lo
	v_cmp_nlt_f32_e32 vcc_lo, 0x42b17218, v12
	v_cndmask_b32_e32 v14, 0x7f800000, v14, vcc_lo
	v_cmp_le_f32_e32 vcc_lo, 0xc1a00000, v11
	s_delay_alu instid0(VALU_DEP_4) | instskip(SKIP_1) | instid1(VALU_DEP_4)
	v_cndmask_b32_e32 v11, 0, v13, vcc_lo
	v_cmp_le_f32_e32 vcc_lo, 0xc1a00000, v12
	v_cndmask_b32_e32 v12, 0, v14, vcc_lo
	s_waitcnt vmcnt(0)
	s_delay_alu instid0(VALU_DEP_3) | instskip(NEXT) | instid1(VALU_DEP_1)
	v_mul_f32_e32 v10, v10, v11
	v_dual_mul_f32 v11, s5, v11 :: v_dual_fmac_f32 v10, v5, v12
	s_delay_alu instid0(VALU_DEP_1)
	v_fmac_f32_e32 v11, v7, v12
	s_cbranch_execz .LBB12_18
	s_branch .LBB12_19
.LBB12_17:                              ;   in Loop: Header=BB12_9 Depth=1
                                        ; implicit-def: $sgpr13
                                        ; implicit-def: $vgpr10
                                        ; implicit-def: $vgpr9
                                        ; implicit-def: $vgpr11
                                        ; implicit-def: $sgpr1
                                        ; implicit-def: $sgpr19
.LBB12_18:                              ;   in Loop: Header=BB12_9 Depth=1
	s_waitcnt vmcnt(0)
	v_dual_mov_b32 v11, v7 :: v_dual_mov_b32 v10, v5
	v_mov_b32_e32 v9, v8
	s_add_i32 s1, s18, -1
	s_mov_b32 s13, 0
	s_mov_b32 s19, s16
.LBB12_19:                              ;   in Loop: Header=BB12_9 Depth=1
	s_and_not1_b32 vcc_lo, exec_lo, s13
	s_cbranch_vccz .LBB12_23
; %bb.20:                               ;   in Loop: Header=BB12_9 Depth=1
	v_dual_mov_b32 v7, v11 :: v_dual_mov_b32 v8, v9
	s_waitcnt vmcnt(0)
	v_mov_b32_e32 v5, v10
	s_mov_b32 s16, s19
	s_mov_b32 s18, s1
	s_branch .LBB12_9
.LBB12_21:
                                        ; implicit-def: $sgpr16_sgpr17
	s_load_b128 s[8:11], s[0:1], 0x44
	s_branch .LBB12_2
.LBB12_22:
                                        ; implicit-def: $sgpr18_sgpr19
	s_branch .LBB12_5
.LBB12_23:
	v_div_scale_f32 v0, null, v11, v11, v10
	s_delay_alu instid0(VALU_DEP_1) | instskip(SKIP_2) | instid1(VALU_DEP_1)
	v_rcp_f32_e32 v3, v0
	s_waitcnt_depctr 0xfff
	v_fma_f32 v4, -v0, v3, 1.0
	v_fmac_f32_e32 v3, v4, v3
	v_div_scale_f32 v4, vcc_lo, v10, v11, v10
	s_waitcnt vmcnt(0)
	s_delay_alu instid0(VALU_DEP_1) | instskip(NEXT) | instid1(VALU_DEP_1)
	v_mul_f32_e32 v5, v4, v3
	v_fma_f32 v6, -v0, v5, v4
	s_delay_alu instid0(VALU_DEP_1) | instskip(NEXT) | instid1(VALU_DEP_1)
	v_fmac_f32_e32 v5, v6, v3
	v_fma_f32 v0, -v0, v5, v4
	s_delay_alu instid0(VALU_DEP_1) | instskip(NEXT) | instid1(VALU_DEP_1)
	v_div_fmas_f32 v0, v0, v3, v5
	v_div_fixup_f32 v0, v0, v11, v10
	global_store_b32 v[1:2], v0, off
.LBB12_24:
	s_nop 0
	s_sendmsg sendmsg(MSG_DEALLOC_VGPRS)
	s_endpgm
	.section	.rodata,"a",@progbits
	.p2align	6, 0x0
	.amdhsa_kernel _ZL33flash_attn_stream_k_fixup_generalILi80ELi16ELi4EEvPfPK15HIP_vector_typeIfLj2EEiiiiS1_IjLj3EES5_S5_S5_
		.amdhsa_group_segment_fixed_size 0
		.amdhsa_private_segment_fixed_size 0
		.amdhsa_kernarg_size 336
		.amdhsa_user_sgpr_count 13
		.amdhsa_user_sgpr_dispatch_ptr 0
		.amdhsa_user_sgpr_queue_ptr 0
		.amdhsa_user_sgpr_kernarg_segment_ptr 1
		.amdhsa_user_sgpr_dispatch_id 0
		.amdhsa_user_sgpr_private_segment_size 0
		.amdhsa_wavefront_size32 1
		.amdhsa_uses_dynamic_stack 0
		.amdhsa_enable_private_segment 0
		.amdhsa_system_sgpr_workgroup_id_x 1
		.amdhsa_system_sgpr_workgroup_id_y 1
		.amdhsa_system_sgpr_workgroup_id_z 1
		.amdhsa_system_sgpr_workgroup_info 0
		.amdhsa_system_vgpr_workitem_id 0
		.amdhsa_next_free_vgpr 19
		.amdhsa_next_free_sgpr 32
		.amdhsa_reserve_vcc 1
		.amdhsa_float_round_mode_32 0
		.amdhsa_float_round_mode_16_64 0
		.amdhsa_float_denorm_mode_32 3
		.amdhsa_float_denorm_mode_16_64 3
		.amdhsa_dx10_clamp 1
		.amdhsa_ieee_mode 1
		.amdhsa_fp16_overflow 0
		.amdhsa_workgroup_processor_mode 1
		.amdhsa_memory_ordered 1
		.amdhsa_forward_progress 0
		.amdhsa_shared_vgpr_count 0
		.amdhsa_exception_fp_ieee_invalid_op 0
		.amdhsa_exception_fp_denorm_src 0
		.amdhsa_exception_fp_ieee_div_zero 0
		.amdhsa_exception_fp_ieee_overflow 0
		.amdhsa_exception_fp_ieee_underflow 0
		.amdhsa_exception_fp_ieee_inexact 0
		.amdhsa_exception_int_div_zero 0
	.end_amdhsa_kernel
	.section	.text._ZL33flash_attn_stream_k_fixup_generalILi80ELi16ELi4EEvPfPK15HIP_vector_typeIfLj2EEiiiiS1_IjLj3EES5_S5_S5_,"axG",@progbits,_ZL33flash_attn_stream_k_fixup_generalILi80ELi16ELi4EEvPfPK15HIP_vector_typeIfLj2EEiiiiS1_IjLj3EES5_S5_S5_,comdat
.Lfunc_end12:
	.size	_ZL33flash_attn_stream_k_fixup_generalILi80ELi16ELi4EEvPfPK15HIP_vector_typeIfLj2EEiiiiS1_IjLj3EES5_S5_S5_, .Lfunc_end12-_ZL33flash_attn_stream_k_fixup_generalILi80ELi16ELi4EEvPfPK15HIP_vector_typeIfLj2EEiiiiS1_IjLj3EES5_S5_S5_
                                        ; -- End function
	.section	.AMDGPU.csdata,"",@progbits
; Kernel info:
; codeLenInByte = 3224
; NumSgprs: 34
; NumVgprs: 19
; ScratchSize: 0
; MemoryBound: 0
; FloatMode: 240
; IeeeMode: 1
; LDSByteSize: 0 bytes/workgroup (compile time only)
; SGPRBlocks: 4
; VGPRBlocks: 2
; NumSGPRsForWavesPerEU: 34
; NumVGPRsForWavesPerEU: 19
; Occupancy: 16
; WaveLimiterHint : 0
; COMPUTE_PGM_RSRC2:SCRATCH_EN: 0
; COMPUTE_PGM_RSRC2:USER_SGPR: 13
; COMPUTE_PGM_RSRC2:TRAP_HANDLER: 0
; COMPUTE_PGM_RSRC2:TGID_X_EN: 1
; COMPUTE_PGM_RSRC2:TGID_Y_EN: 1
; COMPUTE_PGM_RSRC2:TGID_Z_EN: 1
; COMPUTE_PGM_RSRC2:TIDIG_COMP_CNT: 0
	.section	.text._ZL26flash_attn_combine_resultsILi80EEvPKfPK15HIP_vector_typeIfLj2EEPfi,"axG",@progbits,_ZL26flash_attn_combine_resultsILi80EEvPKfPK15HIP_vector_typeIfLj2EEPfi,comdat
	.globl	_ZL26flash_attn_combine_resultsILi80EEvPKfPK15HIP_vector_typeIfLj2EEPfi ; -- Begin function _ZL26flash_attn_combine_resultsILi80EEvPKfPK15HIP_vector_typeIfLj2EEPfi
	.p2align	8
	.type	_ZL26flash_attn_combine_resultsILi80EEvPKfPK15HIP_vector_typeIfLj2EEPfi,@function
_ZL26flash_attn_combine_resultsILi80EEvPKfPK15HIP_vector_typeIfLj2EEPfi: ; @_ZL26flash_attn_combine_resultsILi80EEvPKfPK15HIP_vector_typeIfLj2EEPfi
; %bb.0:
	s_clause 0x3
	s_load_b64 s[2:3], s[0:1], 0x20
	s_load_b32 s12, s[0:1], 0x18
	s_load_b128 s[8:11], s[0:1], 0x0
	s_load_b64 s[16:17], s[0:1], 0x10
	v_lshlrev_b32_e32 v7, 2, v0
	s_mov_b32 s4, exec_lo
	s_waitcnt lgkmcnt(0)
	s_mul_i32 s0, s2, s15
	s_lshl_b32 s1, s12, 1
	s_add_i32 s0, s0, s13
	s_delay_alu instid0(SALU_CYCLE_1) | instskip(NEXT) | instid1(SALU_CYCLE_1)
	s_mul_i32 s7, s0, s3
	s_add_i32 s7, s7, s14
	s_delay_alu instid0(SALU_CYCLE_1)
	s_mul_i32 s2, s7, s12
	v_cmpx_gt_i32_e64 s1, v0
	s_cbranch_execz .LBB13_3
; %bb.1:
	s_ashr_i32 s3, s2, 31
	v_dual_mov_b32 v4, v0 :: v_dual_add_nc_u32 v3, 0, v7
	s_lshl_b64 s[14:15], s[2:3], 3
	s_delay_alu instid0(SALU_CYCLE_1) | instskip(SKIP_2) | instid1(VALU_DEP_1)
	s_add_u32 s0, s10, s14
	s_addc_u32 s3, s11, s15
	v_add_co_u32 v1, s0, s0, v7
	v_add_co_ci_u32_e64 v2, null, s3, 0, s0
	s_mov_b32 s3, 0
	.p2align	6
.LBB13_2:                               ; =>This Inner Loop Header: Depth=1
	global_load_b32 v5, v[1:2], off
	v_add_nc_u32_e32 v4, 0x50, v4
	v_add_co_u32 v1, vcc_lo, 0x140, v1
	v_add_co_ci_u32_e32 v2, vcc_lo, 0, v2, vcc_lo
	s_delay_alu instid0(VALU_DEP_3) | instskip(NEXT) | instid1(VALU_DEP_1)
	v_cmp_le_i32_e64 s0, s1, v4
	s_or_b32 s3, s0, s3
	s_waitcnt vmcnt(0)
	ds_store_b32 v3, v5
	v_add_nc_u32_e32 v3, 0x140, v3
	s_and_not1_b32 exec_lo, exec_lo, s3
	s_cbranch_execnz .LBB13_2
.LBB13_3:
	s_or_b32 exec_lo, exec_lo, s4
	v_mov_b32_e32 v1, 0
	s_waitcnt lgkmcnt(0)
	s_barrier
	buffer_gl0_inv
	s_cmp_lt_i32 s12, 2
	ds_load_b32 v8, v1
	s_cbranch_scc1 .LBB13_11
; %bb.4:
	s_add_i32 s1, s12, -2
	s_add_i32 s0, s12, -1
	s_cmp_lt_u32 s1, 7
	s_cbranch_scc1 .LBB13_8
; %bb.5:
	s_mov_b32 s3, 0
	s_add_i32 s1, 0, 8
	s_and_b32 s4, s0, -8
	.p2align	6
.LBB13_6:                               ; =>This Inner Loop Header: Depth=1
	v_mov_b32_e32 v9, s1
	s_mov_b32 s5, s3
	s_add_i32 s3, s3, 8
	s_add_i32 s1, s1, 64
	s_cmp_eq_u32 s4, s3
	ds_load_2addr_b32 v[1:2], v9 offset1:2
	ds_load_2addr_b32 v[3:4], v9 offset0:4 offset1:6
	ds_load_2addr_b32 v[5:6], v9 offset0:8 offset1:10
	;; [unrolled: 1-line block ×3, first 2 shown]
	s_waitcnt lgkmcnt(3)
	v_max3_f32 v1, v8, v1, v2
	s_waitcnt lgkmcnt(2)
	s_delay_alu instid0(VALU_DEP_1) | instskip(SKIP_1) | instid1(VALU_DEP_1)
	v_max3_f32 v1, v1, v3, v4
	s_waitcnt lgkmcnt(1)
	v_max3_f32 v1, v1, v5, v6
	s_waitcnt lgkmcnt(0)
	s_delay_alu instid0(VALU_DEP_1)
	v_max3_f32 v8, v1, v9, v10
	s_cbranch_scc0 .LBB13_6
; %bb.7:
	s_add_i32 s1, s5, 9
	s_and_b32 s0, s0, 7
	s_delay_alu instid0(SALU_CYCLE_1)
	s_cmp_eq_u32 s0, 0
	s_cbranch_scc0 .LBB13_9
	s_branch .LBB13_11
.LBB13_8:
	s_mov_b32 s1, 1
	s_and_b32 s0, s0, 7
	s_delay_alu instid0(SALU_CYCLE_1)
	s_cmp_eq_u32 s0, 0
	s_cbranch_scc1 .LBB13_11
.LBB13_9:
	s_lshl_b32 s1, s1, 3
	s_delay_alu instid0(SALU_CYCLE_1)
	s_add_i32 s1, s1, 0
.LBB13_10:                              ; =>This Inner Loop Header: Depth=1
	s_waitcnt lgkmcnt(0)
	s_delay_alu instid0(VALU_DEP_1)
	v_dual_mov_b32 v1, s1 :: v_dual_max_f32 v2, v8, v8
	s_add_i32 s0, s0, -1
	s_add_i32 s1, s1, 8
	s_cmp_lg_u32 s0, 0
	ds_load_b32 v1, v1
	s_waitcnt lgkmcnt(0)
	v_max_f32_e32 v1, v1, v1
	s_delay_alu instid0(VALU_DEP_1)
	v_max_f32_e32 v8, v2, v1
	s_cbranch_scc1 .LBB13_10
.LBB13_11:
	s_cmp_lt_i32 s12, 1
	s_cbranch_scc1 .LBB13_16
; %bb.12:
	s_mul_i32 s10, s2, 0x50
	v_mov_b32_e32 v9, 0
	s_ashr_i32 s11, s10, 31
	s_cmp_lt_u32 s12, 8
	s_mov_b32 s14, 0
	s_cbranch_scc1 .LBB13_17
; %bb.13:
	s_lshl_b64 s[0:1], s[10:11], 2
	v_dual_mov_b32 v6, 0 :: v_dual_add_nc_u32 v3, 0x140, v0
	s_add_u32 s15, s8, s0
	s_addc_u32 s18, s9, s1
	v_add_co_u32 v1, s0, s15, v7
	s_delay_alu instid0(VALU_DEP_1) | instskip(SKIP_1) | instid1(VALU_DEP_3)
	v_add_co_ci_u32_e64 v2, null, s18, 0, s0
	v_dual_mov_b32 v10, 0 :: v_dual_mov_b32 v9, 0
	v_add_co_u32 v1, vcc_lo, 0x140, v1
	s_delay_alu instid0(VALU_DEP_3)
	v_add_co_ci_u32_e32 v2, vcc_lo, 0, v2, vcc_lo
	s_and_b32 s13, s12, 0x7ffffff8
	s_mov_b32 s19, 0
.LBB13_14:                              ; =>This Inner Loop Header: Depth=1
	v_dual_mov_b32 v4, v6 :: v_dual_add_nc_u32 v5, 0xfffffec0, v3
	s_clause 0x1
	global_load_b32 v27, v[1:2], off
	global_load_b32 v28, v[1:2], off offset:320
	s_add_i32 s19, s19, 8
	v_lshlrev_b64 v[11:12], 2, v[5:6]
	v_lshlrev_b64 v[13:14], 2, v[3:4]
	v_add_nc_u32_e32 v5, 0xffffffb0, v3
	s_delay_alu instid0(VALU_DEP_3) | instskip(NEXT) | instid1(VALU_DEP_4)
	v_add_co_u32 v11, vcc_lo, s15, v11
	v_add_co_ci_u32_e32 v12, vcc_lo, s18, v12, vcc_lo
	s_delay_alu instid0(VALU_DEP_3)
	v_lshlrev_b64 v[15:16], 2, v[5:6]
	v_add_co_u32 v13, vcc_lo, s15, v13
	global_load_b32 v29, v[11:12], off
	v_add_nc_u32_e32 v5, 0x50, v3
	v_add_co_ci_u32_e32 v14, vcc_lo, s18, v14, vcc_lo
	v_add_co_u32 v15, vcc_lo, s15, v15
	v_add_co_ci_u32_e32 v16, vcc_lo, s18, v16, vcc_lo
	global_load_b32 v31, v[13:14], off
	v_lshlrev_b64 v[11:12], 2, v[5:6]
	v_add_nc_u32_e32 v5, 0xa0, v3
	global_load_b32 v30, v[15:16], off
	v_lshlrev_b64 v[17:18], 2, v[5:6]
	v_add_nc_u32_e32 v5, 0xf0, v3
	v_add_co_u32 v11, vcc_lo, s15, v11
	v_add_co_ci_u32_e32 v12, vcc_lo, s18, v12, vcc_lo
	s_delay_alu instid0(VALU_DEP_3)
	v_lshlrev_b64 v[4:5], 2, v[5:6]
	v_add_nc_u32_e32 v3, 0x280, v3
	global_load_b32 v32, v[11:12], off
	v_add_co_u32 v11, vcc_lo, s15, v17
	v_add_co_ci_u32_e32 v12, vcc_lo, s18, v18, vcc_lo
	v_add_co_u32 v4, vcc_lo, s15, v4
	v_add_co_ci_u32_e32 v5, vcc_lo, s18, v5, vcc_lo
	s_clause 0x1
	global_load_b32 v33, v[11:12], off
	global_load_b32 v4, v[4:5], off
	v_mov_b32_e32 v5, s14
	ds_load_2addr_b64 v[11:14], v5 offset1:1
	ds_load_2addr_b64 v[15:18], v5 offset0:2 offset1:3
	ds_load_2addr_b64 v[19:22], v5 offset0:4 offset1:5
	;; [unrolled: 1-line block ×3, first 2 shown]
	s_add_i32 s14, s14, 64
	s_cmp_eq_u32 s13, s19
	s_waitcnt lgkmcnt(3)
	v_sub_f32_e32 v5, v11, v8
	v_sub_f32_e32 v11, v13, v8
	s_waitcnt lgkmcnt(2)
	v_sub_f32_e32 v13, v15, v8
	v_sub_f32_e32 v15, v17, v8
	;; [unrolled: 3-line block ×3, first 2 shown]
	s_waitcnt lgkmcnt(0)
	s_delay_alu instid0(VALU_DEP_1) | instskip(SKIP_2) | instid1(VALU_DEP_3)
	v_dual_sub_f32 v21, v23, v8 :: v_dual_mul_f32 v38, 0x3fb8aa3b, v19
	v_mul_f32_e32 v34, 0x3fb8aa3b, v11
	v_cmp_ngt_f32_e32 vcc_lo, 0xc2ce8ed0, v11
	v_fma_f32 v51, 0x3fb8aa3b, v19, -v38
	s_delay_alu instid0(VALU_DEP_3) | instskip(SKIP_2) | instid1(VALU_DEP_4)
	v_fma_f32 v43, 0x3fb8aa3b, v11, -v34
	v_rndne_f32_e32 v44, v34
	v_rndne_f32_e32 v52, v38
	v_fmac_f32_e32 v51, 0x32a5705f, v19
	s_delay_alu instid0(VALU_DEP_3) | instskip(SKIP_1) | instid1(VALU_DEP_4)
	v_dual_fmac_f32 v43, 0x32a5705f, v11 :: v_dual_sub_f32 v34, v34, v44
	v_cvt_i32_f32_e32 v44, v44
	v_sub_f32_e32 v38, v38, v52
	v_cvt_i32_f32_e32 v52, v52
	s_delay_alu instid0(VALU_DEP_4)
	v_add_f32_e32 v34, v34, v43
	v_mul_f32_e32 v36, 0x3fb8aa3b, v15
	v_cmp_ngt_f32_e64 s6, 0xc2ce8ed0, v5
	v_cmp_ngt_f32_e64 s1, 0xc2ce8ed0, v15
	v_add_f32_e32 v38, v38, v51
	v_exp_f32_e32 v34, v34
	v_fma_f32 v47, 0x3fb8aa3b, v15, -v36
	v_rndne_f32_e32 v48, v36
	v_cmp_ngt_f32_e64 s3, 0xc2ce8ed0, v19
	v_exp_f32_e32 v38, v38
	s_delay_alu instid0(VALU_DEP_2) | instskip(SKIP_1) | instid1(TRANS32_DEP_2)
	v_dual_fmac_f32 v47, 0x32a5705f, v15 :: v_dual_sub_f32 v36, v36, v48
	v_cvt_i32_f32_e32 v48, v48
	v_ldexp_f32 v34, v34, v44
	v_sub_f32_e32 v23, v25, v8
	s_delay_alu instid0(VALU_DEP_4) | instskip(SKIP_1) | instid1(VALU_DEP_4)
	v_dual_mul_f32 v25, 0x3fb8aa3b, v5 :: v_dual_add_f32 v36, v36, v47
	v_cmp_ngt_f32_e64 s2, 0xc2ce8ed0, v17
	v_cndmask_b32_e32 v34, 0, v34, vcc_lo
	v_cmp_nlt_f32_e32 vcc_lo, 0x42b17218, v5
	s_delay_alu instid0(VALU_DEP_4)
	v_fma_f32 v41, 0x3fb8aa3b, v5, -v25
	v_rndne_f32_e32 v42, v25
	v_mul_f32_e32 v40, 0x3fb8aa3b, v23
	v_exp_f32_e32 v36, v36
	v_cmp_ngt_f32_e64 s0, 0xc2ce8ed0, v13
	v_fmac_f32_e32 v41, 0x32a5705f, v5
	v_sub_f32_e32 v25, v25, v42
	v_cvt_i32_f32_e32 v42, v42
	v_fma_f32 v55, 0x3fb8aa3b, v23, -v40
	v_rndne_f32_e32 v56, v40
	v_ldexp_f32 v38, v38, v52
	v_add_f32_e32 v25, v25, v41
	v_cmp_ngt_f32_e64 s5, 0xc2ce8ed0, v23
	v_ldexp_f32 v36, v36, v48
	v_dual_fmac_f32 v55, 0x32a5705f, v23 :: v_dual_sub_f32 v40, v40, v56
	s_delay_alu instid0(VALU_DEP_4) | instskip(SKIP_1) | instid1(VALU_DEP_3)
	v_exp_f32_e32 v25, v25
	v_cvt_i32_f32_e32 v56, v56
	v_cndmask_b32_e64 v36, 0, v36, s1
	v_cndmask_b32_e64 v38, 0, v38, s3
	v_add_f32_e32 v40, v40, v55
	v_cmp_ngt_f32_e64 s4, 0xc2ce8ed0, v21
	s_delay_alu instid0(VALU_DEP_2) | instskip(NEXT) | instid1(TRANS32_DEP_2)
	v_exp_f32_e32 v40, v40
	v_ldexp_f32 v25, v25, v42
	s_delay_alu instid0(VALU_DEP_1) | instskip(SKIP_4) | instid1(VALU_DEP_3)
	v_cndmask_b32_e64 v25, 0, v25, s6
	s_waitcnt_depctr 0xfff
	v_ldexp_f32 v40, v40, v56
	v_cndmask_b32_e32 v5, 0x7f800000, v25, vcc_lo
	v_cmp_nlt_f32_e32 vcc_lo, 0x42b17218, v11
	v_cndmask_b32_e64 v40, 0, v40, s5
	s_delay_alu instid0(VALU_DEP_3) | instskip(SKIP_2) | instid1(VALU_DEP_3)
	v_dual_fmac_f32 v10, v5, v12 :: v_dual_cndmask_b32 v11, 0x7f800000, v34
	v_mul_f32_e32 v35, 0x3fb8aa3b, v13
	v_cmp_nlt_f32_e32 vcc_lo, 0x42b17218, v13
	v_fmac_f32_e32 v10, v11, v14
	s_delay_alu instid0(VALU_DEP_3) | instskip(SKIP_1) | instid1(VALU_DEP_2)
	v_fma_f32 v45, 0x3fb8aa3b, v13, -v35
	v_rndne_f32_e32 v46, v35
	v_fmac_f32_e32 v45, 0x32a5705f, v13
	s_delay_alu instid0(VALU_DEP_2) | instskip(SKIP_1) | instid1(VALU_DEP_2)
	v_sub_f32_e32 v35, v35, v46
	v_cvt_i32_f32_e32 v46, v46
	v_add_f32_e32 v35, v35, v45
	s_delay_alu instid0(VALU_DEP_1) | instskip(SKIP_2) | instid1(VALU_DEP_1)
	v_exp_f32_e32 v35, v35
	s_waitcnt_depctr 0xfff
	v_ldexp_f32 v35, v35, v46
	v_cndmask_b32_e64 v35, 0, v35, s0
	v_cmp_nlt_f32_e64 s0, 0x42b17218, v23
	s_waitcnt vmcnt(5)
	v_fmac_f32_e32 v9, v29, v5
	s_delay_alu instid0(VALU_DEP_3) | instskip(SKIP_2) | instid1(VALU_DEP_3)
	v_cndmask_b32_e32 v5, 0x7f800000, v35, vcc_lo
	v_mul_f32_e32 v37, 0x3fb8aa3b, v17
	v_cmp_nlt_f32_e32 vcc_lo, 0x42b17218, v15
	v_dual_fmac_f32 v9, v27, v11 :: v_dual_fmac_f32 v10, v5, v16
	s_delay_alu instid0(VALU_DEP_3)
	v_fma_f32 v49, 0x3fb8aa3b, v17, -v37
	v_rndne_f32_e32 v50, v37
	v_cndmask_b32_e32 v11, 0x7f800000, v36, vcc_lo
	v_mul_f32_e32 v39, 0x3fb8aa3b, v21
	v_fmac_f32_e32 v9, v28, v5
	v_fmac_f32_e32 v49, 0x32a5705f, v17
	v_sub_f32_e32 v37, v37, v50
	v_fmac_f32_e32 v10, v11, v18
	v_fma_f32 v53, 0x3fb8aa3b, v21, -v39
	v_rndne_f32_e32 v54, v39
	v_cvt_i32_f32_e32 v50, v50
	v_add_f32_e32 v37, v37, v49
	v_cmp_nlt_f32_e32 vcc_lo, 0x42b17218, v17
	v_fmac_f32_e32 v53, 0x32a5705f, v21
	v_sub_f32_e32 v39, v39, v54
	v_cvt_i32_f32_e32 v54, v54
	v_exp_f32_e32 v37, v37
	s_waitcnt vmcnt(3)
	v_fmac_f32_e32 v9, v30, v11
	v_add_f32_e32 v39, v39, v53
	s_delay_alu instid0(VALU_DEP_1) | instskip(SKIP_2) | instid1(VALU_DEP_1)
	v_exp_f32_e32 v39, v39
	s_waitcnt_depctr 0xfff
	v_ldexp_f32 v37, v37, v50
	v_cndmask_b32_e64 v37, 0, v37, s2
	v_ldexp_f32 v39, v39, v54
	s_delay_alu instid0(VALU_DEP_2) | instskip(SKIP_1) | instid1(VALU_DEP_3)
	v_cndmask_b32_e32 v5, 0x7f800000, v37, vcc_lo
	v_cmp_nlt_f32_e32 vcc_lo, 0x42b17218, v19
	v_cndmask_b32_e64 v39, 0, v39, s4
	s_delay_alu instid0(VALU_DEP_3) | instskip(SKIP_3) | instid1(VALU_DEP_2)
	v_dual_fmac_f32 v10, v5, v20 :: v_dual_cndmask_b32 v11, 0x7f800000, v38
	v_fmac_f32_e32 v9, v31, v5
	v_cmp_nlt_f32_e32 vcc_lo, 0x42b17218, v21
	s_waitcnt vmcnt(2)
	v_dual_fmac_f32 v10, v11, v22 :: v_dual_fmac_f32 v9, v32, v11
	v_cndmask_b32_e32 v5, 0x7f800000, v39, vcc_lo
	v_cndmask_b32_e64 v11, 0x7f800000, v40, s0
	v_add_co_u32 v1, vcc_lo, 0xa00, v1
	v_add_co_ci_u32_e32 v2, vcc_lo, 0, v2, vcc_lo
	s_delay_alu instid0(VALU_DEP_4) | instskip(SKIP_1) | instid1(VALU_DEP_1)
	v_fmac_f32_e32 v10, v5, v24
	s_waitcnt vmcnt(1)
	v_dual_fmac_f32 v9, v33, v5 :: v_dual_fmac_f32 v10, v11, v26
	s_waitcnt vmcnt(0)
	s_delay_alu instid0(VALU_DEP_1)
	v_fmac_f32_e32 v9, v4, v11
	s_cbranch_scc0 .LBB13_14
; %bb.15:
	s_and_b32 s1, s12, 7
	s_delay_alu instid0(SALU_CYCLE_1)
	s_cmp_eq_u32 s1, 0
	s_cbranch_scc0 .LBB13_18
	s_branch .LBB13_20
.LBB13_16:
	v_mov_b32_e32 v0, 0x7fc00000
	s_branch .LBB13_21
.LBB13_17:
	v_mov_b32_e32 v10, 0
	s_mov_b32 s13, 0
	s_and_b32 s1, s12, 7
	s_delay_alu instid0(SALU_CYCLE_1)
	s_cmp_eq_u32 s1, 0
	s_cbranch_scc1 .LBB13_20
.LBB13_18:
	v_mad_u64_u32 v[1:2], null, 0x50, s13, v[0:1]
	v_mov_b32_e32 v2, 0
	s_lshl_b64 s[2:3], s[10:11], 2
	s_delay_alu instid0(SALU_CYCLE_1) | instskip(SKIP_1) | instid1(VALU_DEP_1)
	s_add_u32 s0, s8, s2
	s_addc_u32 s2, s9, s3
	v_lshlrev_b64 v[0:1], 2, v[1:2]
	s_delay_alu instid0(VALU_DEP_1) | instskip(NEXT) | instid1(VALU_DEP_2)
	v_add_co_u32 v0, vcc_lo, s0, v0
	v_add_co_ci_u32_e32 v1, vcc_lo, s2, v1, vcc_lo
	s_lshl_b32 s0, s13, 3
	s_delay_alu instid0(SALU_CYCLE_1)
	s_add_i32 s2, s0, 0
	s_set_inst_prefetch_distance 0x1
	.p2align	6
.LBB13_19:                              ; =>This Inner Loop Header: Depth=1
	global_load_b32 v4, v[0:1], off
	v_mov_b32_e32 v2, s2
	s_add_i32 s1, s1, -1
	s_add_i32 s2, s2, 8
	s_cmp_lg_u32 s1, 0
	ds_load_b64 v[2:3], v2
	s_waitcnt lgkmcnt(0)
	v_sub_f32_e32 v2, v2, v8
	s_delay_alu instid0(VALU_DEP_1) | instskip(NEXT) | instid1(VALU_DEP_1)
	v_mul_f32_e32 v5, 0x3fb8aa3b, v2
	v_fma_f32 v6, 0x3fb8aa3b, v2, -v5
	v_rndne_f32_e32 v11, v5
	s_delay_alu instid0(VALU_DEP_1) | instskip(NEXT) | instid1(VALU_DEP_1)
	v_dual_fmac_f32 v6, 0x32a5705f, v2 :: v_dual_sub_f32 v5, v5, v11
	v_add_f32_e32 v5, v5, v6
	v_cvt_i32_f32_e32 v6, v11
	v_cmp_ngt_f32_e32 vcc_lo, 0xc2ce8ed0, v2
	v_cmp_nlt_f32_e64 s0, 0x42b17218, v2
	s_delay_alu instid0(VALU_DEP_4) | instskip(SKIP_2) | instid1(VALU_DEP_1)
	v_exp_f32_e32 v5, v5
	s_waitcnt_depctr 0xfff
	v_ldexp_f32 v5, v5, v6
	v_cndmask_b32_e32 v5, 0, v5, vcc_lo
	v_add_co_u32 v0, vcc_lo, 0x140, v0
	v_add_co_ci_u32_e32 v1, vcc_lo, 0, v1, vcc_lo
	s_delay_alu instid0(VALU_DEP_3) | instskip(SKIP_1) | instid1(VALU_DEP_1)
	v_cndmask_b32_e64 v2, 0x7f800000, v5, s0
	s_waitcnt vmcnt(0)
	v_dual_fmac_f32 v10, v2, v3 :: v_dual_fmac_f32 v9, v4, v2
	s_cbranch_scc1 .LBB13_19
.LBB13_20:
	s_set_inst_prefetch_distance 0x2
	s_delay_alu instid0(VALU_DEP_1) | instskip(NEXT) | instid1(VALU_DEP_1)
	v_div_scale_f32 v0, null, v10, v10, v9
	v_rcp_f32_e32 v1, v0
	s_waitcnt_depctr 0xfff
	v_fma_f32 v2, -v0, v1, 1.0
	s_delay_alu instid0(VALU_DEP_1) | instskip(SKIP_1) | instid1(VALU_DEP_1)
	v_fmac_f32_e32 v1, v2, v1
	v_div_scale_f32 v2, vcc_lo, v9, v10, v9
	v_mul_f32_e32 v3, v2, v1
	s_delay_alu instid0(VALU_DEP_1) | instskip(NEXT) | instid1(VALU_DEP_1)
	v_fma_f32 v4, -v0, v3, v2
	v_fmac_f32_e32 v3, v4, v1
	s_delay_alu instid0(VALU_DEP_1) | instskip(NEXT) | instid1(VALU_DEP_1)
	v_fma_f32 v0, -v0, v3, v2
	v_div_fmas_f32 v0, v0, v1, v3
	s_delay_alu instid0(VALU_DEP_1)
	v_div_fixup_f32 v0, v0, v10, v9
.LBB13_21:
	s_mul_i32 s0, s7, 0x50
	s_delay_alu instid0(SALU_CYCLE_1) | instskip(NEXT) | instid1(SALU_CYCLE_1)
	s_ashr_i32 s1, s0, 31
	s_lshl_b64 s[0:1], s[0:1], 2
	s_delay_alu instid0(SALU_CYCLE_1)
	s_add_u32 s0, s16, s0
	s_addc_u32 s1, s17, s1
	global_store_b32 v7, v0, s[0:1]
	s_nop 0
	s_sendmsg sendmsg(MSG_DEALLOC_VGPRS)
	s_endpgm
	.section	.rodata,"a",@progbits
	.p2align	6, 0x0
	.amdhsa_kernel _ZL26flash_attn_combine_resultsILi80EEvPKfPK15HIP_vector_typeIfLj2EEPfi
		.amdhsa_group_segment_fixed_size 0
		.amdhsa_private_segment_fixed_size 0
		.amdhsa_kernarg_size 288
		.amdhsa_user_sgpr_count 13
		.amdhsa_user_sgpr_dispatch_ptr 0
		.amdhsa_user_sgpr_queue_ptr 0
		.amdhsa_user_sgpr_kernarg_segment_ptr 1
		.amdhsa_user_sgpr_dispatch_id 0
		.amdhsa_user_sgpr_private_segment_size 0
		.amdhsa_wavefront_size32 1
		.amdhsa_uses_dynamic_stack 0
		.amdhsa_enable_private_segment 0
		.amdhsa_system_sgpr_workgroup_id_x 1
		.amdhsa_system_sgpr_workgroup_id_y 1
		.amdhsa_system_sgpr_workgroup_id_z 1
		.amdhsa_system_sgpr_workgroup_info 0
		.amdhsa_system_vgpr_workitem_id 0
		.amdhsa_next_free_vgpr 57
		.amdhsa_next_free_sgpr 20
		.amdhsa_reserve_vcc 1
		.amdhsa_float_round_mode_32 0
		.amdhsa_float_round_mode_16_64 0
		.amdhsa_float_denorm_mode_32 3
		.amdhsa_float_denorm_mode_16_64 3
		.amdhsa_dx10_clamp 1
		.amdhsa_ieee_mode 1
		.amdhsa_fp16_overflow 0
		.amdhsa_workgroup_processor_mode 1
		.amdhsa_memory_ordered 1
		.amdhsa_forward_progress 0
		.amdhsa_shared_vgpr_count 0
		.amdhsa_exception_fp_ieee_invalid_op 0
		.amdhsa_exception_fp_denorm_src 0
		.amdhsa_exception_fp_ieee_div_zero 0
		.amdhsa_exception_fp_ieee_overflow 0
		.amdhsa_exception_fp_ieee_underflow 0
		.amdhsa_exception_fp_ieee_inexact 0
		.amdhsa_exception_int_div_zero 0
	.end_amdhsa_kernel
	.section	.text._ZL26flash_attn_combine_resultsILi80EEvPKfPK15HIP_vector_typeIfLj2EEPfi,"axG",@progbits,_ZL26flash_attn_combine_resultsILi80EEvPKfPK15HIP_vector_typeIfLj2EEPfi,comdat
.Lfunc_end13:
	.size	_ZL26flash_attn_combine_resultsILi80EEvPKfPK15HIP_vector_typeIfLj2EEPfi, .Lfunc_end13-_ZL26flash_attn_combine_resultsILi80EEvPKfPK15HIP_vector_typeIfLj2EEPfi
                                        ; -- End function
	.section	.AMDGPU.csdata,"",@progbits
; Kernel info:
; codeLenInByte = 2380
; NumSgprs: 22
; NumVgprs: 57
; ScratchSize: 0
; MemoryBound: 0
; FloatMode: 240
; IeeeMode: 1
; LDSByteSize: 0 bytes/workgroup (compile time only)
; SGPRBlocks: 2
; VGPRBlocks: 7
; NumSGPRsForWavesPerEU: 22
; NumVGPRsForWavesPerEU: 57
; Occupancy: 16
; WaveLimiterHint : 1
; COMPUTE_PGM_RSRC2:SCRATCH_EN: 0
; COMPUTE_PGM_RSRC2:USER_SGPR: 13
; COMPUTE_PGM_RSRC2:TRAP_HANDLER: 0
; COMPUTE_PGM_RSRC2:TGID_X_EN: 1
; COMPUTE_PGM_RSRC2:TGID_Y_EN: 1
; COMPUTE_PGM_RSRC2:TGID_Z_EN: 1
; COMPUTE_PGM_RSRC2:TIDIG_COMP_CNT: 0
	.section	.text._ZL18flash_attn_ext_f16ILi96ELi96ELi16ELi4ELb0ELb0EEvPKcS1_S1_S1_S1_PKiPfP15HIP_vector_typeIfLj2EEffffjfiS5_IjLj3EEiiiiiiiiiiiliiliiiiil,"axG",@progbits,_ZL18flash_attn_ext_f16ILi96ELi96ELi16ELi4ELb0ELb0EEvPKcS1_S1_S1_S1_PKiPfP15HIP_vector_typeIfLj2EEffffjfiS5_IjLj3EEiiiiiiiiiiiliiliiiiil,comdat
	.globl	_ZL18flash_attn_ext_f16ILi96ELi96ELi16ELi4ELb0ELb0EEvPKcS1_S1_S1_S1_PKiPfP15HIP_vector_typeIfLj2EEffffjfiS5_IjLj3EEiiiiiiiiiiiliiliiiiil ; -- Begin function _ZL18flash_attn_ext_f16ILi96ELi96ELi16ELi4ELb0ELb0EEvPKcS1_S1_S1_S1_PKiPfP15HIP_vector_typeIfLj2EEffffjfiS5_IjLj3EEiiiiiiiiiiiliiliiiiil
	.p2align	8
	.type	_ZL18flash_attn_ext_f16ILi96ELi96ELi16ELi4ELb0ELb0EEvPKcS1_S1_S1_S1_PKiPfP15HIP_vector_typeIfLj2EEffffjfiS5_IjLj3EEiiiiiiiiiiiliiliiiiil,@function
_ZL18flash_attn_ext_f16ILi96ELi96ELi16ELi4ELb0ELb0EEvPKcS1_S1_S1_S1_PKiPfP15HIP_vector_typeIfLj2EEffffjfiS5_IjLj3EEiiiiiiiiiiiliiliiiiil: ; @_ZL18flash_attn_ext_f16ILi96ELi96ELi16ELi4ELb0ELb0EEvPKcS1_S1_S1_S1_PKiPfP15HIP_vector_typeIfLj2EEffffjfiS5_IjLj3EEiiiiiiiiiiiliiliiiiil
; %bb.0:
	s_clause 0x2
	s_load_b64 s[2:3], s[0:1], 0x80
	s_load_b128 s[8:11], s[0:1], 0x64
	; meta instruction
	s_load_b32 s23, s[0:1], 0xd0
	s_mov_b32 s22, s15
	s_waitcnt lgkmcnt(0)
	s_abs_i32 s4, s3
	s_abs_i32 s7, s9
	v_cvt_f32_u32_e32 v1, s4
	s_sub_i32 s6, 0, s4
	v_cvt_f32_u32_e32 v2, s23
	s_delay_alu instid0(VALU_DEP_2) | instskip(SKIP_2) | instid1(VALU_DEP_1)
	v_rcp_iflag_f32_e32 v1, v1
	s_waitcnt_depctr 0xfff
	v_mul_f32_e32 v1, 0x4f7ffffe, v1
	v_cvt_u32_f32_e32 v1, v1
	s_delay_alu instid0(VALU_DEP_1) | instskip(SKIP_1) | instid1(VALU_DEP_2)
	v_readfirstlane_b32 s5, v1
	v_cvt_f32_ubyte0_e32 v1, 0
	s_mul_i32 s6, s6, s5
	s_delay_alu instid0(SALU_CYCLE_1) | instskip(NEXT) | instid1(SALU_CYCLE_1)
	s_mul_hi_u32 s6, s5, s6
	s_add_i32 s5, s5, s6
	s_xor_b32 s6, s9, s3
	s_mul_hi_u32 s5, s7, s5
	s_ashr_i32 s6, s6, 31
	s_mul_i32 s12, s5, s4
	s_delay_alu instid0(SALU_CYCLE_1)
	s_sub_i32 s7, s7, s12
	s_add_i32 s12, s5, 1
	s_sub_i32 s13, s7, s4
	s_cmp_ge_u32 s7, s4
	s_cselect_b32 s5, s12, s5
	s_cselect_b32 s7, s13, s7
	s_add_i32 s12, s5, 1
	s_cmp_ge_u32 s7, s4
	s_cselect_b32 s4, s12, s5
	s_add_i32 s2, s2, 63
	s_xor_b32 s4, s4, s6
	s_add_i32 s5, s8, 15
	s_ashr_i32 s7, s2, 31
	s_sub_i32 s33, s4, s6
	s_lshr_b32 s12, s5, 4
	s_add_i32 s4, s33, 3
	s_lshr_b32 s5, s7, 26
	s_ashr_i32 s6, s4, 31
	s_add_i32 s2, s2, s5
	v_writelane_b32 v255, s12, 0
	s_lshr_b32 s5, s6, 30
	s_ashr_i32 s80, s2, 6
	s_add_i32 s4, s4, s5
	s_mul_i32 s5, s12, s80
	s_ashr_i32 s2, s4, 2
	v_writelane_b32 v255, s5, 1
	s_mul_i32 s2, s5, s2
	s_delay_alu instid0(SALU_CYCLE_1) | instskip(SKIP_1) | instid1(SALU_CYCLE_1)
	v_writelane_b32 v255, s2, 2
	s_mul_i32 s2, s2, s3
	s_mul_i32 s4, s2, s10
	s_delay_alu instid0(SALU_CYCLE_1)
	s_ashr_i32 s5, s4, 31
	v_writelane_b32 v255, s2, 3
	s_mul_hi_u32 s3, s4, s15
	s_mul_i32 s6, s5, s15
	s_mov_b32 s2, 0
	s_add_i32 s3, s3, s6
	s_add_u32 s6, s0, 0xd0
	s_addc_u32 s7, s1, 0
	v_writelane_b32 v255, s6, 4
	s_cmp_lg_u64 s[2:3], 0
	v_writelane_b32 v255, s7, 5
	s_mul_i32 s6, s4, s15
	s_cbranch_scc0 .LBB14_2
; %bb.1:
	v_fmamk_f32 v3, v1, 0x4f800000, v2
	s_sub_u32 s12, 0, s23
	s_subb_u32 s13, 0, 0
	s_delay_alu instid0(VALU_DEP_1) | instskip(SKIP_2) | instid1(VALU_DEP_1)
	v_rcp_f32_e32 v3, v3
	s_waitcnt_depctr 0xfff
	v_mul_f32_e32 v3, 0x5f7ffffc, v3
	v_mul_f32_e32 v4, 0x2f800000, v3
	s_delay_alu instid0(VALU_DEP_1) | instskip(NEXT) | instid1(VALU_DEP_1)
	v_trunc_f32_e32 v4, v4
	v_fmamk_f32 v3, v4, 0xcf800000, v3
	v_cvt_u32_f32_e32 v4, v4
	s_delay_alu instid0(VALU_DEP_2) | instskip(NEXT) | instid1(VALU_DEP_2)
	v_cvt_u32_f32_e32 v3, v3
	v_readfirstlane_b32 s7, v4
	s_delay_alu instid0(VALU_DEP_2) | instskip(NEXT) | instid1(VALU_DEP_2)
	v_readfirstlane_b32 s10, v3
	s_mul_i32 s14, s12, s7
	s_delay_alu instid0(VALU_DEP_1)
	s_mul_hi_u32 s16, s12, s10
	s_mul_i32 s15, s13, s10
	s_add_i32 s14, s16, s14
	s_mul_i32 s17, s12, s10
	s_add_i32 s14, s14, s15
	s_mul_hi_u32 s16, s10, s17
	s_mul_hi_u32 s18, s7, s17
	s_mul_i32 s15, s7, s17
	s_mul_hi_u32 s17, s10, s14
	s_mul_i32 s10, s10, s14
	s_mul_hi_u32 s19, s7, s14
	s_add_u32 s10, s16, s10
	s_addc_u32 s16, 0, s17
	s_add_u32 s10, s10, s15
	s_mul_i32 s14, s7, s14
	s_addc_u32 s10, s16, s18
	s_addc_u32 s15, s19, 0
	s_add_u32 s10, s10, s14
	s_addc_u32 s14, 0, s15
	v_add_co_u32 v3, s10, v3, s10
	s_delay_alu instid0(VALU_DEP_1) | instskip(SKIP_1) | instid1(VALU_DEP_1)
	s_cmp_lg_u32 s10, 0
	s_addc_u32 s7, s7, s14
	v_readfirstlane_b32 s10, v3
	s_mul_i32 s14, s12, s7
	s_delay_alu instid0(VALU_DEP_1)
	s_mul_hi_u32 s15, s12, s10
	s_mul_i32 s13, s13, s10
	s_add_i32 s14, s15, s14
	s_mul_i32 s12, s12, s10
	s_add_i32 s14, s14, s13
	s_mul_hi_u32 s15, s7, s12
	s_mul_i32 s16, s7, s12
	s_mul_hi_u32 s12, s10, s12
	s_mul_hi_u32 s17, s10, s14
	s_mul_i32 s10, s10, s14
	s_mul_hi_u32 s13, s7, s14
	s_add_u32 s10, s12, s10
	s_addc_u32 s12, 0, s17
	s_add_u32 s10, s10, s16
	s_mul_i32 s14, s7, s14
	s_addc_u32 s10, s12, s15
	s_addc_u32 s12, s13, 0
	s_add_u32 s10, s10, s14
	s_addc_u32 s12, 0, s12
	v_add_co_u32 v3, s10, v3, s10
	s_delay_alu instid0(VALU_DEP_1) | instskip(SKIP_2) | instid1(SALU_CYCLE_1)
	s_cmp_lg_u32 s10, 0
	s_addc_u32 s7, s7, s12
	s_ashr_i32 s12, s3, 31
	s_add_u32 s14, s6, s12
	s_addc_u32 s15, s3, s12
	v_readfirstlane_b32 s3, v3
	s_mov_b32 s13, s12
	s_delay_alu instid0(SALU_CYCLE_1) | instskip(NEXT) | instid1(SALU_CYCLE_1)
	s_xor_b64 s[14:15], s[14:15], s[12:13]
	s_mul_i32 s16, s14, s7
	s_delay_alu instid0(VALU_DEP_1)
	s_mul_hi_u32 s17, s14, s3
	s_mul_hi_u32 s10, s14, s7
	;; [unrolled: 1-line block ×3, first 2 shown]
	s_mul_i32 s3, s15, s3
	s_add_u32 s16, s17, s16
	s_addc_u32 s10, 0, s10
	s_mul_hi_u32 s18, s15, s7
	s_add_u32 s3, s16, s3
	s_mul_i32 s7, s15, s7
	s_addc_u32 s3, s10, s19
	s_addc_u32 s10, s18, 0
	s_add_u32 s3, s3, s7
	s_addc_u32 s7, 0, s10
	s_mul_i32 s16, s23, s3
	s_add_u32 s10, s3, 1
	v_sub_co_u32 v3, s14, s14, s16
	s_mul_hi_u32 s16, s23, s3
	s_addc_u32 s17, s7, 0
	s_mul_i32 s18, s23, s7
	s_delay_alu instid0(VALU_DEP_1)
	v_sub_co_u32 v4, s19, v3, s23
	s_add_u32 s20, s3, 2
	s_addc_u32 s21, s7, 0
	s_add_i32 s16, s16, s18
	s_cmp_lg_u32 s14, 0
	v_readfirstlane_b32 s14, v4
	s_subb_u32 s15, s15, s16
	s_cmp_lg_u32 s19, 0
	s_subb_u32 s16, s15, 0
	s_delay_alu instid0(VALU_DEP_1) | instskip(SKIP_4) | instid1(SALU_CYCLE_1)
	s_cmp_ge_u32 s14, s23
	s_cselect_b32 s14, -1, 0
	s_cmp_eq_u32 s16, 0
	v_readfirstlane_b32 s16, v3
	s_cselect_b32 s14, s14, -1
	s_cmp_lg_u32 s14, 0
	s_cselect_b32 s10, s20, s10
	s_cselect_b32 s14, s21, s17
	s_cmp_ge_u32 s16, s23
	s_cselect_b32 s16, -1, 0
	s_cmp_eq_u32 s15, 0
	s_cselect_b32 s15, s16, -1
	s_delay_alu instid0(SALU_CYCLE_1) | instskip(SKIP_2) | instid1(SALU_CYCLE_1)
	s_cmp_lg_u32 s15, 0
	s_cselect_b32 s15, s14, s7
	s_cselect_b32 s14, s10, s3
	s_xor_b64 s[14:15], s[14:15], s[12:13]
	s_delay_alu instid0(SALU_CYCLE_1)
	s_sub_u32 s58, s14, s12
	s_branch .LBB14_3
.LBB14_2:
	s_mov_b32 s2, -1
                                        ; implicit-def: $sgpr58_sgpr59
.LBB14_3:
	s_load_b64 s[12:13], s[0:1], 0x74
	v_cvt_f32_u32_e32 v3, s23
	s_and_not1_b32 vcc_lo, exec_lo, s2
	s_waitcnt lgkmcnt(0)
	v_writelane_b32 v255, s12, 6
	v_writelane_b32 v255, s13, 7
	s_cbranch_vccnz .LBB14_5
; %bb.4:
	v_rcp_iflag_f32_e32 v4, v3
	s_sub_i32 s3, 0, s23
	s_waitcnt_depctr 0xfff
	v_mul_f32_e32 v4, 0x4f7ffffe, v4
	s_delay_alu instid0(VALU_DEP_1) | instskip(NEXT) | instid1(VALU_DEP_1)
	v_cvt_u32_f32_e32 v4, v4
	v_readfirstlane_b32 s2, v4
	s_delay_alu instid0(VALU_DEP_1) | instskip(NEXT) | instid1(SALU_CYCLE_1)
	s_mul_i32 s3, s3, s2
	s_mul_hi_u32 s3, s2, s3
	s_delay_alu instid0(SALU_CYCLE_1) | instskip(NEXT) | instid1(SALU_CYCLE_1)
	s_add_i32 s2, s2, s3
	s_mul_hi_u32 s2, s6, s2
	s_delay_alu instid0(SALU_CYCLE_1) | instskip(NEXT) | instid1(SALU_CYCLE_1)
	s_mul_i32 s3, s2, s23
	s_sub_i32 s3, s6, s3
	s_add_i32 s6, s2, 1
	s_sub_i32 s7, s3, s23
	s_cmp_ge_u32 s3, s23
	s_cselect_b32 s2, s6, s2
	s_cselect_b32 s3, s7, s3
	s_add_i32 s6, s2, 1
	s_cmp_ge_u32 s3, s23
	s_cselect_b32 s58, s6, s2
.LBB14_5:
	s_add_i32 s6, s22, 1
	s_delay_alu instid0(SALU_CYCLE_1) | instskip(SKIP_4) | instid1(SALU_CYCLE_1)
	s_mul_i32 s2, s5, s6
	s_mul_hi_u32 s3, s4, s6
	s_mul_i32 s4, s4, s6
	s_add_i32 s3, s3, s2
	s_mov_b32 s2, 0
	s_cmp_lg_u64 s[2:3], 0
	s_cbranch_scc0 .LBB14_7
; %bb.6:
	v_fmamk_f32 v1, v1, 0x4f800000, v2
	s_sub_u32 s7, 0, s23
	s_subb_u32 s10, 0, 0
	s_delay_alu instid0(VALU_DEP_1) | instskip(SKIP_2) | instid1(VALU_DEP_1)
	v_rcp_f32_e32 v1, v1
	s_waitcnt_depctr 0xfff
	v_mul_f32_e32 v1, 0x5f7ffffc, v1
	v_mul_f32_e32 v2, 0x2f800000, v1
	s_delay_alu instid0(VALU_DEP_1) | instskip(NEXT) | instid1(VALU_DEP_1)
	v_trunc_f32_e32 v2, v2
	v_fmamk_f32 v1, v2, 0xcf800000, v1
	v_cvt_u32_f32_e32 v2, v2
	s_delay_alu instid0(VALU_DEP_2) | instskip(NEXT) | instid1(VALU_DEP_2)
	v_cvt_u32_f32_e32 v1, v1
	v_readfirstlane_b32 s5, v2
	s_delay_alu instid0(VALU_DEP_2) | instskip(NEXT) | instid1(VALU_DEP_2)
	v_readfirstlane_b32 s6, v1
	s_mul_i32 s12, s7, s5
	s_delay_alu instid0(VALU_DEP_1)
	s_mul_hi_u32 s14, s7, s6
	s_mul_i32 s13, s10, s6
	s_add_i32 s12, s14, s12
	s_mul_i32 s15, s7, s6
	s_add_i32 s12, s12, s13
	s_mul_hi_u32 s14, s6, s15
	s_mul_hi_u32 s16, s5, s15
	s_mul_i32 s13, s5, s15
	s_mul_hi_u32 s15, s6, s12
	s_mul_i32 s6, s6, s12
	s_mul_hi_u32 s17, s5, s12
	s_add_u32 s6, s14, s6
	s_addc_u32 s14, 0, s15
	s_add_u32 s6, s6, s13
	s_mul_i32 s12, s5, s12
	s_addc_u32 s6, s14, s16
	s_addc_u32 s13, s17, 0
	s_add_u32 s6, s6, s12
	s_addc_u32 s12, 0, s13
	v_add_co_u32 v1, s6, v1, s6
	s_delay_alu instid0(VALU_DEP_1) | instskip(SKIP_1) | instid1(VALU_DEP_1)
	s_cmp_lg_u32 s6, 0
	s_addc_u32 s5, s5, s12
	v_readfirstlane_b32 s6, v1
	s_mul_i32 s12, s7, s5
	s_delay_alu instid0(VALU_DEP_1)
	s_mul_hi_u32 s13, s7, s6
	s_mul_i32 s10, s10, s6
	s_add_i32 s12, s13, s12
	s_mul_i32 s7, s7, s6
	s_add_i32 s12, s12, s10
	s_mul_hi_u32 s13, s5, s7
	s_mul_i32 s14, s5, s7
	s_mul_hi_u32 s7, s6, s7
	s_mul_hi_u32 s15, s6, s12
	s_mul_i32 s6, s6, s12
	s_mul_hi_u32 s10, s5, s12
	s_add_u32 s6, s7, s6
	s_addc_u32 s7, 0, s15
	s_add_u32 s6, s6, s14
	s_mul_i32 s12, s5, s12
	s_addc_u32 s6, s7, s13
	s_addc_u32 s7, s10, 0
	s_add_u32 s6, s6, s12
	s_addc_u32 s7, 0, s7
	v_add_co_u32 v1, s6, v1, s6
	s_delay_alu instid0(VALU_DEP_1) | instskip(SKIP_2) | instid1(SALU_CYCLE_1)
	s_cmp_lg_u32 s6, 0
	s_addc_u32 s5, s5, s7
	s_ashr_i32 s6, s3, 31
	s_add_u32 s12, s4, s6
	s_addc_u32 s13, s3, s6
	v_readfirstlane_b32 s3, v1
	s_mov_b32 s7, s6
	s_delay_alu instid0(SALU_CYCLE_1) | instskip(NEXT) | instid1(SALU_CYCLE_1)
	s_xor_b64 s[12:13], s[12:13], s[6:7]
	s_mul_i32 s14, s12, s5
	s_delay_alu instid0(VALU_DEP_1)
	s_mul_hi_u32 s15, s12, s3
	s_mul_hi_u32 s10, s12, s5
	;; [unrolled: 1-line block ×3, first 2 shown]
	s_mul_i32 s3, s13, s3
	s_add_u32 s14, s15, s14
	s_addc_u32 s10, 0, s10
	s_mul_hi_u32 s16, s13, s5
	s_add_u32 s3, s14, s3
	s_mul_i32 s5, s13, s5
	s_addc_u32 s3, s10, s17
	s_addc_u32 s10, s16, 0
	s_add_u32 s3, s3, s5
	s_addc_u32 s5, 0, s10
	s_mul_i32 s14, s23, s3
	s_add_u32 s10, s3, 1
	v_sub_co_u32 v1, s12, s12, s14
	s_mul_hi_u32 s14, s23, s3
	s_addc_u32 s15, s5, 0
	s_mul_i32 s16, s23, s5
	s_delay_alu instid0(VALU_DEP_1)
	v_sub_co_u32 v2, s17, v1, s23
	s_add_u32 s18, s3, 2
	s_addc_u32 s19, s5, 0
	s_add_i32 s14, s14, s16
	s_cmp_lg_u32 s12, 0
	v_readfirstlane_b32 s12, v2
	s_subb_u32 s13, s13, s14
	s_cmp_lg_u32 s17, 0
	s_subb_u32 s14, s13, 0
	s_delay_alu instid0(VALU_DEP_1) | instskip(SKIP_4) | instid1(SALU_CYCLE_1)
	s_cmp_ge_u32 s12, s23
	s_cselect_b32 s12, -1, 0
	s_cmp_eq_u32 s14, 0
	v_readfirstlane_b32 s14, v1
	s_cselect_b32 s12, s12, -1
	s_cmp_lg_u32 s12, 0
	s_cselect_b32 s10, s18, s10
	s_cselect_b32 s12, s19, s15
	s_cmp_ge_u32 s14, s23
	s_cselect_b32 s14, -1, 0
	s_cmp_eq_u32 s13, 0
	s_cselect_b32 s13, s14, -1
	s_delay_alu instid0(SALU_CYCLE_1) | instskip(SKIP_2) | instid1(SALU_CYCLE_1)
	s_cmp_lg_u32 s13, 0
	s_cselect_b32 s13, s12, s5
	s_cselect_b32 s12, s10, s3
	s_xor_b64 s[12:13], s[12:13], s[6:7]
	s_delay_alu instid0(SALU_CYCLE_1)
	s_sub_u32 s62, s12, s6
	s_branch .LBB14_8
.LBB14_7:
	s_mov_b32 s2, -1
                                        ; implicit-def: $sgpr62_sgpr63
.LBB14_8:
	s_load_b64 s[34:35], s[0:1], 0x5c
	v_writelane_b32 v255, s22, 8
	s_and_not1_b32 vcc_lo, exec_lo, s2
	s_cbranch_vccnz .LBB14_10
; %bb.9:
	v_rcp_iflag_f32_e32 v1, v3
	s_sub_i32 s3, 0, s23
	s_waitcnt_depctr 0xfff
	v_mul_f32_e32 v1, 0x4f7ffffe, v1
	s_delay_alu instid0(VALU_DEP_1) | instskip(NEXT) | instid1(VALU_DEP_1)
	v_cvt_u32_f32_e32 v1, v1
	v_readfirstlane_b32 s2, v1
	s_delay_alu instid0(VALU_DEP_1) | instskip(NEXT) | instid1(SALU_CYCLE_1)
	s_mul_i32 s3, s3, s2
	s_mul_hi_u32 s3, s2, s3
	s_delay_alu instid0(SALU_CYCLE_1) | instskip(NEXT) | instid1(SALU_CYCLE_1)
	s_add_i32 s2, s2, s3
	s_mul_hi_u32 s2, s4, s2
	s_delay_alu instid0(SALU_CYCLE_1) | instskip(NEXT) | instid1(SALU_CYCLE_1)
	s_mul_i32 s3, s2, s23
	s_sub_i32 s3, s4, s3
	s_add_i32 s4, s2, 1
	s_sub_i32 s5, s3, s23
	s_cmp_ge_u32 s3, s23
	s_cselect_b32 s2, s4, s2
	s_cselect_b32 s3, s5, s3
	s_add_i32 s4, s2, 1
	s_cmp_ge_u32 s3, s23
	s_cselect_b32 s62, s4, s2
.LBB14_10:
	v_writelane_b32 v255, s23, 9
	s_clause 0x4
	s_load_b512 s[16:31], s[0:1], 0x0
	s_load_b32 s2, s[0:1], 0x40
	s_load_b64 s[6:7], s[0:1], 0x8c
	s_load_b128 s[44:47], s[0:1], 0x98
	s_load_b64 s[4:5], s[0:1], 0xa8
	s_abs_i32 s81, s80
	s_clause 0x1
	s_load_b64 s[50:51], s[0:1], 0xb8
	s_load_b64 s[0:1], s[0:1], 0xc8
	v_cvt_f32_u32_e32 v1, s81
	v_bfe_u32 v177, v0, 10, 10
	v_and_b32_e32 v161, 0x3ff, v0
	s_sub_i32 s3, 0, s81
	s_ashr_i32 s59, s11, 3
	v_rcp_iflag_f32_e32 v1, v1
	v_add_nc_u32_e32 v185, 4, v177
	v_add_nc_u32_e32 v179, 8, v177
	v_add_nc_u32_e32 v166, 12, v177
	v_and_b32_e32 v146, 3, v177
	v_lshrrev_b32_e32 v147, 2, v177
	v_mul_u32_u24_e32 v186, 52, v177
	v_add_nc_u32_e32 v168, 16, v177
	v_add_nc_u32_e32 v163, 20, v177
	s_waitcnt lgkmcnt(0)
	v_cvt_f16_f32_e32 v0, s2
	v_mul_f32_e32 v1, 0x4f7ffffe, v1
	s_ashr_i32 s12, s6, 2
	v_writelane_b32 v255, s4, 10
	s_ashr_i32 s48, s51, 1
	v_pack_b32_f16 v195, v0, v0
	v_mov_b32_e32 v0, v161
	v_cvt_u32_f32_e32 v1, v1
	v_writelane_b32 v255, s5, 11
	s_ashr_i32 s10, s46, 2
	s_mov_b32 s5, s7
	v_add_nc_u32_e32 v160, 24, v177
	v_readfirstlane_b32 s83, v1
	v_writelane_b32 v255, s0, 12
	v_add_nc_u32_e32 v162, 28, v177
	v_add_nc_u32_e32 v167, 32, v177
	;; [unrolled: 1-line block ×3, first 2 shown]
	s_mul_i32 s3, s3, s83
	v_writelane_b32 v255, s1, 13
	s_mul_hi_u32 s3, s83, s3
	v_add_nc_u32_e32 v158, 40, v177
	s_add_i32 s83, s83, s3
	v_add_nc_u32_e32 v157, 44, v177
	v_readlane_b32 s0, v255, 6
	v_readlane_b32 s1, v255, 7
	s_ashr_i32 s1, s80, 31
	v_add_nc_u32_e32 v164, 48, v177
	v_writelane_b32 v255, s1, 14
	s_abs_i32 s1, s58
	s_ashr_i32 s14, s0, 3
	s_mul_hi_u32 s3, s1, s83
	s_ashr_i32 s0, s58, 31
	s_mul_i32 s3, s3, s81
	v_writelane_b32 v255, s4, 15
	s_sub_i32 s1, s1, s3
	v_add_nc_u32_e32 v156, 52, v177
	s_sub_i32 s3, s1, s81
	s_cmp_ge_u32 s1, s81
	v_writelane_b32 v255, s5, 16
	s_cselect_b32 s1, s3, s1
	v_add_nc_u32_e32 v155, 56, v177
	s_sub_i32 s3, s1, s81
	s_cmp_ge_u32 s1, s81
	v_add_nc_u32_e32 v154, 60, v177
	s_cselect_b32 s1, s3, s1
	s_sub_i32 s3, s62, s58
	s_xor_b32 s1, s1, s0
	v_and_b32_e32 v165, 15, v177
	s_sub_i32 s102, s1, s0
	v_writelane_b32 v255, s14, 17
	s_add_i32 s3, s3, s102
	s_mov_b32 s65, 0
	s_min_i32 s101, s80, s3
	s_cmp_gt_i32 s62, s58
	s_clause 0x4
	scratch_store_b64 off, v[0:1], off offset:148
	scratch_store_b32 off, v177, off offset:156
	scratch_store_b32 off, v179, off offset:160
	;; [unrolled: 1-line block ×4, first 2 shown]
	s_cselect_b32 s0, -1, 0
	s_cmp_le_i32 s62, s58
	s_cselect_b32 s1, -1, 0
	s_cmp_gt_i32 s80, s3
	s_cselect_b32 s2, -1, 0
	s_delay_alu instid0(SALU_CYCLE_1) | instskip(NEXT) | instid1(SALU_CYCLE_1)
	s_or_b32 s1, s2, s1
	s_and_b32 vcc_lo, exec_lo, s1
	s_cbranch_vccnz .LBB14_477
; %bb.11:
	v_lshrrev_b32_e32 v1, 3, v161
	s_cmp_eq_u64 s[24:25], 0
	v_cmp_gt_u32_e64 s2, 16, v161
	s_cselect_b32 s0, -1, 0
	s_cmp_lg_u64 s[26:27], 0
	v_lshl_add_u32 v3, v177, 2, v1
	v_writelane_b32 v255, s0, 18
	s_cselect_b32 s0, -1, 0
	s_ashr_i32 s49, s48, 31
	s_ashr_i32 s13, s12, 31
	v_mul_lo_u32 v2, s12, v3
	v_writelane_b32 v255, s0, 19
	s_lshl_b32 s0, s12, 4
	v_mul_lo_u32 v10, s10, v3
	s_ashr_i32 s11, s10, 31
	v_lshrrev_b32_e32 v197, 4, v161
	v_lshlrev_b32_e32 v28, 4, v177
	v_lshrrev_b32_e32 v0, 2, v161
	v_add_nc_u32_e32 v6, s0, v2
	v_mul_u32_u24_e32 v27, 0xd0, v3
	v_lshl_add_u32 v24, v177, 1, v197
	v_and_or_b32 v9, v161, 12, v28
	v_or_b32_e32 v28, v28, v161
	v_add_nc_u32_e32 v8, s0, v6
	v_lshl_add_u32 v7, v177, 3, v0
	v_lshl_add_u32 v151, v197, 1, 0
	v_lshrrev_b32_e32 v30, 2, v9
	v_lshlrev_b32_e32 v37, 3, v28
	v_add_nc_u32_e32 v14, s0, v8
	s_lshl_b32 s0, s10, 4
	v_mul_u32_u24_e32 v26, 0xd0, v7
	v_add_nc_u32_e32 v16, s0, v10
	v_mul_u32_u24_e32 v149, 0x90, v30
	v_mad_u32_u24 v206, 0x90, v30, v151
	v_add_nc_u32_e32 v30, 8, v24
	v_add_nc_u32_e32 v33, 48, v24
	;; [unrolled: 1-line block ×3, first 2 shown]
	v_and_b32_e32 v36, 15, v24
	v_and_b32_e32 v244, 3, v24
	v_lshrrev_b32_e32 v153, 2, v30
	v_add_nc_u32_e32 v30, 32, v24
	v_add_nc_u32_e32 v22, s0, v20
	v_readlane_b32 s0, v255, 8
	v_writelane_b32 v255, s2, 20
	v_lshrrev_b32_e32 v189, 2, v33
	v_lshrrev_b32_e32 v184, 2, v30
	v_and_or_b32 v30, 0x3f0, v30, v36
	s_lshl_b32 s64, s0, 6
	v_readlane_b32 s5, v255, 3
	s_lshl_b64 s[0:1], s[64:65], 3
	v_readlane_b32 s7, v255, 2
	s_add_u32 s0, s30, s0
	s_addc_u32 s1, s31, s1
	s_abs_i32 s84, s5
	v_readlane_b32 s6, v255, 1
	v_cvt_f32_u32_e32 v34, s84
	s_abs_i32 s85, s7
	s_abs_i32 s87, s50
	v_cvt_f32_u32_e32 v35, s85
	s_abs_i32 s86, s6
	v_rcp_iflag_f32_e32 v34, v34
	v_lshlrev_b32_e32 v199, 2, v161
	v_cvt_f32_u32_e32 v38, s86
	v_rcp_iflag_f32_e32 v35, v35
	v_and_b32_e32 v148, 15, v161
	v_cvt_f32_u32_e32 v39, s87
	v_and_or_b32 v33, 0x3f0, v33, v36
	v_rcp_iflag_f32_e32 v38, v38
	v_mov_b32_e32 v194, 0
	v_ashrrev_i32_e32 v3, 31, v2
	v_dual_mul_f32 v34, 0x4f7ffffe, v34 :: v_dual_and_b32 v25, 12, v199
	v_and_b32_e32 v29, 28, v199
	s_delay_alu instid0(TRANS32_DEP_2) | instskip(NEXT) | instid1(VALU_DEP_3)
	v_dual_mul_f32 v35, 0x4f7ffffe, v35 :: v_dual_lshlrev_b32 v32, 2, v148
	v_cvt_u32_f32_e32 v34, v34
	v_add_nc_u32_e32 v150, 0, v199
	s_delay_alu instid0(TRANS32_DEP_1)
	v_mul_f32_e32 v38, 0x4f7ffffe, v38
	v_lshlrev_b64 v[108:109], 2, v[2:3]
	v_add_nc_u32_e32 v207, 0, v32
	v_add3_u32 v208, 0, 0xd00, v32
	v_add3_u32 v209, 0, 0x1a00, v32
	;; [unrolled: 1-line block ×11, first 2 shown]
	v_add_nc_u32_e32 v32, 24, v24
	v_readfirstlane_b32 s2, v34
	v_cvt_u32_f32_e32 v34, v35
	v_rcp_iflag_f32_e32 v35, v39
	v_lshlrev_b32_e32 v31, 2, v25
	v_lshrrev_b32_e32 v176, 2, v32
	v_add_nc_u32_e32 v32, 40, v24
	v_add_co_u32 v39, s0, s0, v37
	s_delay_alu instid0(VALU_DEP_1) | instskip(NEXT) | instid1(VALU_DEP_3)
	v_add_co_ci_u32_e64 v40, null, s1, 0, s0
	v_lshrrev_b32_e32 v187, 2, v32
	v_add_nc_u32_e32 v32, 56, v24
	v_readfirstlane_b32 s0, v34
	s_delay_alu instid0(TRANS32_DEP_1)
	v_mul_f32_e32 v34, 0x4f7ffffe, v35
	v_add3_u32 v26, 0, v26, v31
	v_lshlrev_b32_e32 v31, 2, v29
	v_lshrrev_b32_e32 v190, 2, v32
	v_and_or_b32 v32, 0xf0, v168, v165
	v_cvt_u32_f32_e32 v37, v38
	v_add_nc_u32_e32 v203, 0x80, v26
	v_add3_u32 v205, 0, v27, v31
	v_add_nc_u32_e32 v31, 16, v24
	v_mul_u32_u24_e32 v32, 52, v32
	v_add_nc_u32_e32 v204, 0x1a80, v26
	v_lshlrev_b32_e32 v26, 2, v186
	v_and_or_b32 v35, 0xf0, v164, v165
	v_lshrrev_b32_e32 v170, 2, v31
	v_and_or_b32 v31, 0x3f0, v31, v36
	v_and_or_b32 v36, 0xf0, v167, v165
	v_lshlrev_b32_e32 v32, 2, v32
	v_add_nc_u32_e32 v152, v150, v26
	v_readfirstlane_b32 s1, v37
	v_cvt_u32_f32_e32 v34, v34
	v_mul_u32_u24_e32 v36, 52, v36
	v_add_nc_u32_e32 v37, v150, v32
	v_add_nc_u32_e32 v26, 0, v26
	v_mul_u32_u24_e32 v35, 52, v35
	v_readfirstlane_b32 s3, v34
	v_lshlrev_b32_e32 v36, 2, v36
	v_lshrrev_b32_e32 v2, 2, v159
	scratch_store_b32 off, v26, off offset:292 ; 4-byte Folded Spill
	v_add_nc_u32_e32 v26, 0, v32
	v_mul_lo_u32 v12, s10, v7
	v_add_nc_u32_e32 v34, v150, v36
	s_clause 0x2
	scratch_store_b32 off, v2, off offset:92
	scratch_store_b32 off, v37, off offset:516
	;; [unrolled: 1-line block ×3, first 2 shown]
	v_add_nc_u32_e32 v26, 0, v36
	scratch_store_b32 off, v34, off offset:540 ; 4-byte Folded Spill
	v_lshlrev_b32_e32 v34, 2, v35
	v_mul_u32_u24_e32 v27, 52, v24
	v_ashrrev_i32_e32 v13, 31, v12
	scratch_store_b32 off, v26, off offset:544 ; 4-byte Folded Spill
	v_mul_u32_u24_e32 v31, 52, v31
	v_add_nc_u32_e32 v26, v150, v34
	v_lshlrev_b32_e32 v27, 2, v27
	v_lshlrev_b64 v[200:201], 2, v[12:13]
	v_lshl_add_u32 v18, s10, 5, v12
	v_lshlrev_b32_e32 v31, 2, v31
	scratch_store_b32 off, v26, off offset:548 ; 4-byte Folded Spill
	v_add_nc_u32_e32 v26, 0, v34
	v_mul_u32_u24_e32 v30, 52, v30
	v_add_co_u32 v12, vcc_lo, v200, s20
	v_lshrrev_b32_e32 v2, 2, v158
	scratch_store_b32 off, v26, off offset:552 ; 4-byte Folded Spill
	v_add_nc_u32_e32 v26, 0, v27
	v_ashrrev_i32_e32 v19, 31, v18
	v_add_co_ci_u32_e32 v13, vcc_lo, s21, v201, vcc_lo
	v_lshlrev_b32_e32 v30, 2, v30
	s_clause 0x1
	scratch_store_b32 off, v26, off offset:372
	scratch_store_b32 off, v2, off offset:96
	v_add_nc_u32_e32 v26, v207, v31
	v_add_co_u32 v12, vcc_lo, 0x80, v12
	v_lshrrev_b32_e32 v2, 2, v157
	s_clause 0x1
	scratch_store_b64 off, v[39:40], off offset:376
	scratch_store_b32 off, v26, off offset:508
	v_add_nc_u32_e32 v26, 0, v31
	v_mul_lo_u32 v0, s12, v7
	v_lshlrev_b64 v[233:234], 2, v[18:19]
	scratch_store_b32 off, v2, off offset:100 ; 4-byte Folded Spill
	v_lshrrev_b32_e32 v2, 2, v164
	s_clause 0x1
	scratch_store_b32 off, v26, off offset:512
	scratch_store_b32 off, v12, off offset:384
	v_add_nc_u32_e32 v26, v207, v30
	v_add_co_ci_u32_e32 v12, vcc_lo, 0, v13, vcc_lo
	scratch_store_b32 off, v2, off offset:104 ; 4-byte Folded Spill
	v_ashrrev_i32_e32 v1, 31, v0
	v_lshrrev_b32_e32 v2, 2, v156
	s_clause 0x1
	scratch_store_b32 off, v26, off offset:520
	scratch_store_b32 off, v12, off offset:388
	v_add_co_u32 v12, vcc_lo, v233, s20
	scratch_store_b32 off, v2, off offset:108 ; 4-byte Folded Spill
	v_add_co_ci_u32_e32 v13, vcc_lo, s21, v234, vcc_lo
	v_add_nc_u32_e32 v26, 0, v30
	v_add_co_u32 v12, vcc_lo, 0x80, v12
	v_lshlrev_b64 v[192:193], 2, v[0:1]
	v_mul_u32_u24_e32 v33, 52, v33
	v_lshl_add_u32 v4, s12, 5, v0
	v_lshrrev_b32_e32 v2, 2, v155
	s_clause 0x1
	scratch_store_b32 off, v26, off offset:528
	scratch_store_b32 off, v12, off offset:392
	v_add_co_ci_u32_e32 v12, vcc_lo, 0, v13, vcc_lo
	scratch_store_b32 off, v2, off offset:112 ; 4-byte Folded Spill
	v_lshlrev_b32_e32 v33, 2, v33
	v_add_co_u32 v0, vcc_lo, v192, s18
	v_ashrrev_i32_e32 v5, 31, v4
	v_add_co_ci_u32_e32 v1, vcc_lo, s19, v193, vcc_lo
	s_delay_alu instid0(VALU_DEP_4) | instskip(NEXT) | instid1(VALU_DEP_4)
	v_add_nc_u32_e32 v26, v207, v33
	v_add_co_u32 v0, vcc_lo, 0x80, v0
	s_delay_alu instid0(VALU_DEP_4)
	v_lshlrev_b64 v[106:107], 2, v[4:5]
	v_lshrrev_b32_e32 v2, 2, v154
	s_clause 0x2
	scratch_store_b32 off, v12, off offset:396
	scratch_store_b32 off, v0, off offset:424
	scratch_store_b32 off, v26, off offset:532
	v_add_nc_u32_e32 v26, 0, v33
	v_add_co_ci_u32_e32 v0, vcc_lo, 0, v1, vcc_lo
	v_mul_u32_u24_e32 v28, 0xd0, v28
	v_mad_u32_u24 v253, 0xd0, v148, 0
	s_clause 0x1
	scratch_store_b32 off, v26, off offset:536
	scratch_store_b32 off, v0, off offset:428
	v_add_co_u32 v0, vcc_lo, v106, s18
	v_add_co_ci_u32_e32 v1, vcc_lo, s19, v107, vcc_lo
	v_ashrrev_i32_e32 v11, 31, v10
	s_delay_alu instid0(VALU_DEP_3) | instskip(SKIP_2) | instid1(VALU_DEP_4)
	v_add_co_u32 v0, vcc_lo, 0x80, v0
	v_mad_u32_u24 v171, 0xd00, v177, v253
	v_ashrrev_i32_e32 v17, 31, v16
	v_lshlrev_b64 v[248:249], 2, v[10:11]
	scratch_store_b32 off, v0, off offset:432 ; 4-byte Folded Spill
	v_add_co_ci_u32_e32 v0, vcc_lo, 0, v1, vcc_lo
	v_and_b32_e32 v1, 3, v161
	scratch_store_b32 off, v2, off offset:116 ; 4-byte Folded Spill
	v_lshlrev_b64 v[219:220], 2, v[16:17]
	scratch_store_b32 off, v0, off offset:436 ; 4-byte Folded Spill
	v_add_nc_u32_e32 v0, 0, v28
	v_ashrrev_i32_e32 v21, 31, v20
	v_ashrrev_i32_e32 v23, 31, v22
	;; [unrolled: 1-line block ×3, first 2 shown]
	s_sub_i32 s4, 0, s84
	scratch_store_b32 off, v0, off offset:440 ; 4-byte Folded Spill
	v_mul_lo_u32 v0, v244, s14
	v_lshlrev_b64 v[221:222], 2, v[20:21]
	v_lshlrev_b64 v[223:224], 2, v[22:23]
	;; [unrolled: 1-line block ×3, first 2 shown]
	s_ashr_i32 s5, s5, 31
	s_mul_i32 s4, s4, s2
	v_writelane_b32 v255, s5, 21
	s_mul_hi_u32 s4, s2, s4
	v_add3_u32 v26, v0, v148, 32
	v_lshl_add_u32 v0, v197, 2, v171
	s_clause 0x1
	scratch_store_b32 off, v0, off offset:128
	scratch_store_b32 off, v1, off offset:144
	v_add_co_u32 v0, vcc_lo, s20, v248
	v_ashrrev_i32_e32 v9, 31, v8
	s_add_i32 s2, s2, s4
	s_sub_i32 s5, 0, s85
	scratch_store_b32 off, v0, off offset:444 ; 4-byte Folded Spill
	v_add_co_ci_u32_e32 v0, vcc_lo, s21, v249, vcc_lo
	v_writelane_b32 v255, s2, 22
	v_lshlrev_b64 v[112:113], 2, v[8:9]
	s_ashr_i32 s4, s7, 31
	scratch_store_b32 off, v0, off offset:448 ; 4-byte Folded Spill
	v_add_co_u32 v0, vcc_lo, s20, v219
	s_mul_i32 s5, s5, s0
	v_writelane_b32 v255, s4, 23
	s_mul_hi_u32 s2, s0, s5
	scratch_store_b32 off, v0, off offset:452 ; 4-byte Folded Spill
	v_add_co_ci_u32_e32 v0, vcc_lo, s21, v220, vcc_lo
	v_ashrrev_i32_e32 v15, 31, v14
	s_add_i32 s0, s0, s2
	s_sub_i32 s2, 0, s87
	scratch_store_b32 off, v0, off offset:456 ; 4-byte Folded Spill
	v_add_co_u32 v0, vcc_lo, s20, v221
	v_writelane_b32 v255, s0, 24
	v_lshlrev_b64 v[114:115], 2, v[14:15]
	s_ashr_i32 s0, s6, 31
	scratch_store_b32 off, v0, off offset:460 ; 4-byte Folded Spill
	v_add_co_ci_u32_e32 v0, vcc_lo, s21, v222, vcc_lo
	v_writelane_b32 v255, s0, 25
	s_sub_i32 s0, 0, s86
	s_mul_i32 s2, s2, s3
	scratch_store_b32 off, v0, off offset:464 ; 4-byte Folded Spill
	v_add_co_u32 v0, vcc_lo, s20, v223
	s_mul_i32 s0, s0, s1
	s_mul_hi_u32 s2, s3, s2
	s_mul_hi_u32 s0, s1, s0
	scratch_store_b32 off, v0, off offset:468 ; 4-byte Folded Spill
	v_add_co_ci_u32_e32 v0, vcc_lo, s21, v224, vcc_lo
	s_add_i32 s0, s1, s0
	v_add_nc_u32_e32 v191, v207, v27
	v_writelane_b32 v255, s0, 26
	scratch_store_b32 off, v0, off offset:472 ; 4-byte Folded Spill
	v_add_co_u32 v0, vcc_lo, s18, v108
	s_add_i32 s0, s3, s2
	v_lshlrev_b32_e32 v172, 1, v161
	v_writelane_b32 v255, s0, 27
	scratch_store_b32 off, v0, off offset:476 ; 4-byte Folded Spill
	v_add_co_ci_u32_e32 v0, vcc_lo, s19, v109, vcc_lo
	s_lshl_b64 s[0:1], s[48:49], 1
	v_mul_u32_u24_e32 v228, 0x90, v177
	v_writelane_b32 v255, s0, 28
	scratch_store_b32 off, v0, off offset:480 ; 4-byte Folded Spill
	v_add_co_u32 v0, vcc_lo, s18, v110
	v_lshrrev_b32_e32 v196, 2, v185
	v_writelane_b32 v255, s1, 29
	v_add_nc_u32_e32 v198, 0x340, v152
	scratch_store_b32 off, v0, off offset:484 ; 4-byte Folded Spill
	v_add_co_ci_u32_e32 v0, vcc_lo, s19, v111, vcc_lo
	v_lshrrev_b32_e32 v202, 2, v179
	v_add_nc_u32_e32 v229, 0x680, v152
	v_lshrrev_b32_e32 v231, 2, v166
	scratch_store_b32 off, v0, off offset:488 ; 4-byte Folded Spill
	v_add_co_u32 v0, vcc_lo, s18, v112
	v_add_nc_u32_e32 v232, 0x9c0, v152
	v_lshrrev_b32_e32 v235, 2, v168
	v_lshrrev_b32_e32 v236, 2, v24
	scratch_store_b32 off, v0, off offset:492 ; 4-byte Folded Spill
	v_add_co_ci_u32_e32 v0, vcc_lo, s19, v113, vcc_lo
	v_lshrrev_b32_e32 v245, 2, v163
	v_lshrrev_b32_e32 v247, 2, v160
	v_mad_u64_u32 v[27:28], null, v146, s14, v[161:162]
	scratch_store_b32 off, v0, off offset:496 ; 4-byte Folded Spill
	v_add_co_u32 v0, vcc_lo, s18, v114
	v_lshrrev_b32_e32 v250, 2, v162
	v_lshrrev_b32_e32 v254, 2, v167
	v_and_b32_e32 v18, 7, v161
	scratch_store_b32 off, v0, off offset:500 ; 4-byte Folded Spill
	v_add_co_ci_u32_e32 v0, vcc_lo, s19, v115, vcc_lo
	v_writelane_b32 v255, s50, 30
	v_lshlrev_b32_e32 v246, 4, v18
	v_lshlrev_b32_e32 v251, 2, v25
	scratch_store_b32 off, v0, off offset:504 ; 4-byte Folded Spill
	v_mbcnt_lo_u32_b32 v0, -1, 0
	v_lshlrev_b32_e32 v252, 2, v29
	v_xor_b32_e32 v241, 1, v197
	v_add_nc_u32_e32 v240, 0xd00, v205
	v_add_nc_u32_e32 v230, 0x1a00, v205
	scratch_store_b32 off, v0, off offset:36 ; 4-byte Folded Spill
	v_mov_b32_e32 v0, v146
	s_clause 0x1b
	scratch_store_b64 off, v[0:1], off offset:172
	scratch_store_b32 off, v147, off offset:180
	scratch_store_b32 off, v148, off offset:184
	;; [unrolled: 1-line block ×12, first 2 shown]
	scratch_store_b64 off, v[200:201], off offset:4
	scratch_store_b64 off, v[233:234], off offset:12
	;; [unrolled: 1-line block ×4, first 2 shown]
	scratch_store_b32 off, v171, off offset:228
	scratch_store_b32 off, v172, off offset:232
	scratch_store_b32 off, v228, off
	scratch_store_b32 off, v196, off offset:236
	scratch_store_b32 off, v198, off offset:240
	;; [unrolled: 1-line block ×8, first 2 shown]
	v_mov_b32_e32 v0, v244
	s_clause 0x4
	scratch_store_b64 off, v[0:1], off offset:268
	scratch_store_b32 off, v245, off offset:276
	scratch_store_b32 off, v247, off offset:280
	scratch_store_b32 off, v250, off offset:284
	scratch_store_b32 off, v254, off offset:288
	v_dual_mov_b32 v0, v26 :: v_dual_add_nc_u32 v239, 0x2700, v205
	v_lshlrev_b32_e32 v242, 4, v1
	v_writelane_b32 v255, s51, 31
	s_lshl_b64 s[68:69], s[10:11], 8
	scratch_store_b64 off, v[0:1], off offset:120 ; 8-byte Folded Spill
	v_mov_b32_e32 v0, v27
	s_lshl_b64 s[70:71], s[12:13], 8
	s_mov_b32 s36, s65
	s_mov_b32 s37, s65
	;; [unrolled: 1-line block ×8, first 2 shown]
	s_clause 0x3
	scratch_store_b64 off, v[0:1], off offset:132
	scratch_store_b64 off, v[219:220], off offset:400
	;; [unrolled: 1-line block ×4, first 2 shown]
	s_branch .LBB14_13
.LBB14_12:                              ;   in Loop: Header=BB14_13 Depth=1
	s_or_b32 exec_lo, exec_lo, s0
	s_add_i32 s0, s58, s80
	s_mov_b32 s102, 0
	s_abs_i32 s1, s0
	s_delay_alu instid0(SALU_CYCLE_1) | instskip(NEXT) | instid1(SALU_CYCLE_1)
	s_mul_hi_u32 s2, s1, s83
	s_mul_i32 s2, s2, s81
	s_delay_alu instid0(SALU_CYCLE_1) | instskip(SKIP_4) | instid1(SALU_CYCLE_1)
	s_sub_i32 s1, s1, s2
	s_ashr_i32 s2, s0, 31
	s_sub_i32 s3, s1, s81
	s_cmp_ge_u32 s1, s81
	s_cselect_b32 s1, s3, s1
	s_sub_i32 s3, s1, s81
	s_cmp_ge_u32 s1, s81
	s_cselect_b32 s1, s3, s1
	s_delay_alu instid0(SALU_CYCLE_1) | instskip(NEXT) | instid1(SALU_CYCLE_1)
	s_xor_b32 s1, s1, s2
	s_sub_i32 s1, s2, s1
	s_delay_alu instid0(SALU_CYCLE_1) | instskip(NEXT) | instid1(SALU_CYCLE_1)
	s_add_i32 s58, s0, s1
	s_sub_i32 s1, s62, s58
	s_delay_alu instid0(SALU_CYCLE_1) | instskip(SKIP_4) | instid1(SALU_CYCLE_1)
	s_min_i32 s101, s80, s1
	s_cmp_gt_i32 s62, s58
	s_cselect_b32 s0, -1, 0
	s_cmp_le_i32 s80, s1
	s_cselect_b32 s1, -1, 0
	s_and_b32 s1, s1, s0
	s_delay_alu instid0(SALU_CYCLE_1)
	s_and_b32 vcc_lo, exec_lo, s1
	s_cbranch_vccz .LBB14_477
.LBB14_13:                              ; =>This Loop Header: Depth=1
                                        ;     Child Loop BB14_119 Depth 2
                                        ;     Child Loop BB14_348 Depth 2
	v_readlane_b32 s1, v255, 22
	s_abs_i32 s0, s58
	v_readlane_b32 s4, v255, 21
	s_ashr_i32 s2, s58, 31
	v_readlane_b32 s6, v255, 23
	s_mul_hi_u32 s1, s0, s1
	v_readlane_b32 s7, v255, 25
	s_mul_i32 s3, s1, s84
	s_xor_b32 s2, s2, s4
	s_sub_i32 s0, s0, s3
	s_add_i32 s3, s1, 1
	s_sub_i32 s4, s0, s84
	s_cmp_ge_u32 s0, s84
	s_cselect_b32 s1, s3, s1
	s_cselect_b32 s0, s4, s0
	s_add_i32 s3, s1, 1
	s_cmp_ge_u32 s0, s84
	s_cselect_b32 s0, s3, s1
	v_readlane_b32 s1, v255, 3
	s_xor_b32 s0, s0, s2
	v_readlane_b32 s3, v255, 24
	s_sub_i32 s0, s0, s2
	s_delay_alu instid0(VALU_DEP_2) | instid1(SALU_CYCLE_1)
	s_mul_i32 s1, s0, s1
	s_delay_alu instid0(SALU_CYCLE_1) | instskip(NEXT) | instid1(SALU_CYCLE_1)
	s_sub_i32 s2, s58, s1
	s_abs_i32 s1, s2
	s_ashr_i32 s4, s2, 31
	s_mul_hi_u32 s3, s1, s3
	s_xor_b32 s4, s4, s6
	s_mul_i32 s5, s3, s85
	s_delay_alu instid0(SALU_CYCLE_1)
	s_sub_i32 s1, s1, s5
	s_add_i32 s5, s3, 1
	s_sub_i32 s6, s1, s85
	s_cmp_ge_u32 s1, s85
	s_cselect_b32 s3, s5, s3
	s_cselect_b32 s1, s6, s1
	s_add_i32 s5, s3, 1
	s_cmp_ge_u32 s1, s85
	s_cselect_b32 s1, s5, s3
	v_readlane_b32 s3, v255, 2
	s_xor_b32 s1, s1, s4
	s_delay_alu instid0(SALU_CYCLE_1) | instskip(SKIP_1) | instid1(VALU_DEP_2)
	s_sub_i32 s1, s1, s4
	v_readlane_b32 s4, v255, 26
	s_mul_i32 s3, s1, s3
	s_delay_alu instid0(SALU_CYCLE_1) | instskip(NEXT) | instid1(SALU_CYCLE_1)
	s_sub_i32 s3, s2, s3
	s_abs_i32 s2, s3
	s_ashr_i32 s5, s3, 31
	s_mul_hi_u32 s4, s2, s4
	s_xor_b32 s5, s5, s7
	s_mul_i32 s6, s4, s86
	s_delay_alu instid0(SALU_CYCLE_1)
	s_sub_i32 s2, s2, s6
	s_add_i32 s6, s4, 1
	s_sub_i32 s7, s2, s86
	s_cmp_ge_u32 s2, s86
	s_cselect_b32 s4, s6, s4
	s_cselect_b32 s2, s7, s2
	s_add_i32 s6, s4, 1
	s_cmp_ge_u32 s2, s86
	v_readlane_b32 s7, v255, 14
	s_cselect_b32 s2, s6, s4
	v_readlane_b32 s4, v255, 1
	s_xor_b32 s2, s2, s5
	s_delay_alu instid0(SALU_CYCLE_1)
	s_sub_i32 s2, s2, s5
	s_delay_alu instid0(VALU_DEP_1) | instid1(SALU_CYCLE_1)
	s_mul_i32 s4, s2, s4
	s_delay_alu instid0(SALU_CYCLE_1) | instskip(NEXT) | instid1(SALU_CYCLE_1)
	s_sub_i32 s3, s3, s4
	s_abs_i32 s4, s3
	s_ashr_i32 s3, s3, 31
	s_mul_hi_u32 s5, s4, s83
	s_xor_b32 s3, s3, s7
	s_mul_i32 s6, s5, s81
	s_delay_alu instid0(SALU_CYCLE_1)
	s_sub_i32 s4, s4, s6
	s_add_i32 s6, s5, 1
	s_sub_i32 s7, s4, s81
	s_cmp_ge_u32 s4, s81
	s_cselect_b32 s5, s6, s5
	s_cselect_b32 s4, s7, s4
	s_add_i32 s6, s5, 1
	s_cmp_ge_u32 s4, s81
	s_cselect_b32 s4, s6, s5
	v_readlane_b32 s5, v255, 19
	s_xor_b32 s4, s4, s3
	s_delay_alu instid0(SALU_CYCLE_1) | instskip(NEXT) | instid1(VALU_DEP_1)
	s_sub_i32 s78, s4, s3
	s_and_not1_b32 vcc_lo, exec_lo, s5
	s_cbranch_vccnz .LBB14_15
; %bb.14:                               ;   in Loop: Header=BB14_13 Depth=1
	v_readlane_b32 s3, v255, 0
	s_delay_alu instid0(VALU_DEP_1) | instskip(NEXT) | instid1(SALU_CYCLE_1)
	s_mul_i32 s3, s0, s3
	s_add_i32 s4, s78, s3
	s_delay_alu instid0(SALU_CYCLE_1) | instskip(NEXT) | instid1(SALU_CYCLE_1)
	s_ashr_i32 s5, s4, 31
	s_lshl_b64 s[4:5], s[4:5], 2
	s_delay_alu instid0(SALU_CYCLE_1) | instskip(SKIP_4) | instid1(VALU_DEP_1)
	s_add_u32 s4, s26, s4
	s_addc_u32 s5, s27, s5
	global_load_b32 v0, v194, s[4:5]
	s_waitcnt vmcnt(0)
	v_readfirstlane_b32 s3, v0
	s_ashr_i32 s4, s3, 31
	s_delay_alu instid0(SALU_CYCLE_1) | instskip(NEXT) | instid1(SALU_CYCLE_1)
	s_lshr_b32 s4, s4, 26
	s_add_i32 s3, s3, s4
	s_delay_alu instid0(SALU_CYCLE_1) | instskip(NEXT) | instid1(SALU_CYCLE_1)
	s_ashr_i32 s3, s3, 6
	s_min_i32 s101, s101, s3
.LBB14_15:                              ;   in Loop: Header=BB14_13 Depth=1
	v_readlane_b32 s6, v255, 6
	v_readlane_b32 s7, v255, 7
	s_mul_i32 s3, s1, s33
	s_lshl_b32 s77, s2, 2
	s_mul_i32 s64, s0, s44
	s_add_i32 s2, s77, s3
	s_mul_i32 s4, s0, s7
	s_mul_i32 s5, s2, s6
	s_ashr_i32 s3, s4, 31
	s_add_u32 s4, s16, s4
	s_addc_u32 s3, s17, s3
	s_ashr_i32 s6, s5, 31
	s_add_u32 s46, s4, s5
	s_addc_u32 s55, s3, s6
	s_mul_i32 s3, s0, s45
	s_mul_hi_u32 s4, s0, s44
	s_ashr_i32 s7, s0, 31
	s_add_i32 s3, s4, s3
	s_mul_i32 s4, s7, s44
	v_readlane_b32 s14, v255, 12
	s_add_i32 s103, s3, s4
	v_readlane_b32 s4, v255, 15
	v_readlane_b32 s5, v255, 16
	s_add_u32 s3, s18, s64
	s_addc_u32 s4, s19, s103
	v_readlane_b32 s15, v255, 13
	s_mov_b32 s75, 0
	s_mul_i32 s104, s1, s5
	s_mul_i32 s63, s1, s47
	s_ashr_i32 vcc_hi, s104, 31
	s_add_u32 s97, s3, s104
	s_addc_u32 s98, s4, vcc_hi
	v_readlane_b32 s4, v255, 27
	s_abs_i32 s3, s0
	v_or_b32_e32 v169, s77, v146
	s_delay_alu instid0(VALU_DEP_2) | instskip(NEXT) | instid1(SALU_CYCLE_1)
	s_mul_hi_u32 s4, s3, s4
	s_mul_i32 s4, s4, s87
	s_delay_alu instid0(VALU_DEP_1) | instskip(SKIP_1) | instid1(SALU_CYCLE_1)
	v_cmp_gt_i32_e32 vcc_lo, s33, v169
	s_sub_i32 s3, s3, s4
	s_sub_i32 s4, s3, s87
	s_cmp_ge_u32 s3, s87
	s_cselect_b32 s3, s4, s3
	s_delay_alu instid0(SALU_CYCLE_1) | instskip(SKIP_2) | instid1(SALU_CYCLE_1)
	s_sub_i32 s4, s3, s87
	s_cmp_ge_u32 s3, s87
	s_cselect_b32 s3, s4, s3
	s_xor_b32 s3, s3, s7
	s_delay_alu instid0(SALU_CYCLE_1) | instskip(NEXT) | instid1(SALU_CYCLE_1)
	s_sub_i32 s3, s3, s7
	s_mul_i32 s4, s3, s15
	s_mul_hi_u32 s5, s3, s14
	s_ashr_i32 s6, s3, 31
	s_add_i32 s4, s5, s4
	s_mul_i32 s6, s6, s14
	s_mul_i32 s60, s3, s14
	;; [unrolled: 1-line block ×3, first 2 shown]
	s_add_i32 s6, s4, s6
	s_mul_i32 s3, s3, s0
	s_add_u32 s99, s22, s60
	s_addc_u32 s100, s23, s6
	s_add_i32 s3, s2, s3
	v_readlane_b32 s14, v255, 10
	v_readlane_b32 s15, v255, 11
	s_mul_i32 s74, s3, 48
	s_delay_alu instid0(SALU_CYCLE_1) | instskip(NEXT) | instid1(VALU_DEP_2)
	s_lshl_b64 s[4:5], s[74:75], 3
	s_mul_i32 s7, s7, s14
	s_add_u32 s49, s28, s4
	s_mul_i32 s3, s0, s15
	s_mul_hi_u32 s4, s0, s14
	s_addc_u32 s67, s29, s5
	s_add_i32 s3, s4, s3
	s_mul_i32 s14, s0, s14
	s_add_i32 s7, s3, s7
	s_add_u32 s0, s20, s14
	s_addc_u32 s1, s21, s7
	s_ashr_i32 s15, s63, 31
	s_add_u32 s95, s0, s63
	s_addc_u32 s96, s1, s15
	s_ashr_i32 s3, s2, 31
	s_delay_alu instid0(SALU_CYCLE_1) | instskip(SKIP_3) | instid1(VALU_DEP_1)
	s_lshl_b64 s[0:1], s[2:3], 2
	v_readlane_b32 s2, v255, 18
	s_add_u32 s0, s24, s0
	s_addc_u32 s1, s25, s1
	s_and_b32 s2, s2, exec_lo
	s_cselect_b32 s73, 0, s1
	s_cselect_b32 s72, 0, s0
	s_cmp_lg_u32 s102, 0
	s_cbranch_scc0 .LBB14_114
; %bb.16:                               ;   in Loop: Header=BB14_13 Depth=1
	s_lshl_b32 s0, s78, 4
	s_xor_b32 s2, vcc_lo, -1
	v_add_nc_u32_e32 v238, s0, v147
	s_delay_alu instid0(VALU_DEP_1) | instskip(NEXT) | instid1(VALU_DEP_1)
	v_cmp_le_i32_e64 s1, s8, v238
	s_or_b32 s1, s1, s2
	s_delay_alu instid0(SALU_CYCLE_1) | instskip(NEXT) | instid1(SALU_CYCLE_1)
	s_and_saveexec_b32 s3, s1
	s_xor_b32 s1, exec_lo, s3
	s_cbranch_execz .LBB14_18
; %bb.17:                               ;   in Loop: Header=BB14_13 Depth=1
	ds_store_b32 v152, v194
.LBB14_18:                              ;   in Loop: Header=BB14_13 Depth=1
	s_and_not1_saveexec_b32 s1, s1
	s_cbranch_execz .LBB14_20
; %bb.19:                               ;   in Loop: Header=BB14_13 Depth=1
	v_mad_u64_u32 v[0:1], null, v238, s59, v[27:28]
	s_delay_alu instid0(VALU_DEP_1) | instskip(NEXT) | instid1(VALU_DEP_1)
	v_ashrrev_i32_e32 v1, 31, v0
	v_lshlrev_b64 v[0:1], 3, v[0:1]
	s_delay_alu instid0(VALU_DEP_1) | instskip(NEXT) | instid1(VALU_DEP_2)
	v_add_co_u32 v0, vcc_lo, s46, v0
	v_add_co_ci_u32_e32 v1, vcc_lo, s55, v1, vcc_lo
	global_load_b64 v[0:1], v[0:1], off
	s_waitcnt vmcnt(0)
	v_cvt_f16_f32_e32 v0, v0
	v_cvt_f16_f32_e32 v1, v1
	s_delay_alu instid0(VALU_DEP_1) | instskip(NEXT) | instid1(VALU_DEP_1)
	v_pack_b32_f16 v0, v0, v1
	v_pk_mul_f16 v0, v195, v0
	ds_store_b32 v152, v0
.LBB14_20:                              ;   in Loop: Header=BB14_13 Depth=1
	s_or_b32 exec_lo, exec_lo, s1
	v_add_nc_u32_e32 v237, s0, v196
	s_delay_alu instid0(VALU_DEP_1) | instskip(SKIP_1) | instid1(SALU_CYCLE_1)
	v_cmp_le_i32_e32 vcc_lo, s8, v237
	s_or_b32 s1, vcc_lo, s2
	s_and_saveexec_b32 s3, s1
	s_delay_alu instid0(SALU_CYCLE_1)
	s_xor_b32 s1, exec_lo, s3
	s_cbranch_execz .LBB14_22
; %bb.21:                               ;   in Loop: Header=BB14_13 Depth=1
	ds_store_b32 v198, v194
.LBB14_22:                              ;   in Loop: Header=BB14_13 Depth=1
	s_and_not1_saveexec_b32 s1, s1
	s_cbranch_execz .LBB14_24
; %bb.23:                               ;   in Loop: Header=BB14_13 Depth=1
	v_mad_u64_u32 v[0:1], null, v237, s59, v[27:28]
	s_delay_alu instid0(VALU_DEP_1) | instskip(NEXT) | instid1(VALU_DEP_1)
	v_ashrrev_i32_e32 v1, 31, v0
	v_lshlrev_b64 v[0:1], 3, v[0:1]
	s_delay_alu instid0(VALU_DEP_1) | instskip(NEXT) | instid1(VALU_DEP_2)
	v_add_co_u32 v0, vcc_lo, s46, v0
	v_add_co_ci_u32_e32 v1, vcc_lo, s55, v1, vcc_lo
	global_load_b64 v[0:1], v[0:1], off
	s_waitcnt vmcnt(0)
	v_cvt_f16_f32_e32 v0, v0
	v_cvt_f16_f32_e32 v1, v1
	s_delay_alu instid0(VALU_DEP_1) | instskip(NEXT) | instid1(VALU_DEP_1)
	v_pack_b32_f16 v0, v0, v1
	v_pk_mul_f16 v0, v195, v0
	ds_store_b32 v198, v0
.LBB14_24:                              ;   in Loop: Header=BB14_13 Depth=1
	s_or_b32 exec_lo, exec_lo, s1
	v_add_nc_u32_e32 v227, s0, v202
	s_delay_alu instid0(VALU_DEP_1) | instskip(SKIP_1) | instid1(SALU_CYCLE_1)
	v_cmp_le_i32_e32 vcc_lo, s8, v227
	s_or_b32 s1, vcc_lo, s2
	s_and_saveexec_b32 s3, s1
	s_delay_alu instid0(SALU_CYCLE_1)
	;; [unrolled: 31-line block ×4, first 2 shown]
	s_xor_b32 s1, exec_lo, s3
	s_cbranch_execz .LBB14_34
; %bb.33:                               ;   in Loop: Header=BB14_13 Depth=1
	ds_store_b32 v232, v194 offset:832
.LBB14_34:                              ;   in Loop: Header=BB14_13 Depth=1
	s_and_not1_saveexec_b32 s1, s1
	s_cbranch_execz .LBB14_36
; %bb.35:                               ;   in Loop: Header=BB14_13 Depth=1
	v_mad_u64_u32 v[0:1], null, v180, s59, v[27:28]
	s_delay_alu instid0(VALU_DEP_1) | instskip(NEXT) | instid1(VALU_DEP_1)
	v_ashrrev_i32_e32 v1, 31, v0
	v_lshlrev_b64 v[0:1], 3, v[0:1]
	s_delay_alu instid0(VALU_DEP_1) | instskip(NEXT) | instid1(VALU_DEP_2)
	v_add_co_u32 v0, vcc_lo, s46, v0
	v_add_co_ci_u32_e32 v1, vcc_lo, s55, v1, vcc_lo
	global_load_b64 v[0:1], v[0:1], off
	s_waitcnt vmcnt(0)
	v_cvt_f16_f32_e32 v0, v0
	v_cvt_f16_f32_e32 v1, v1
	s_delay_alu instid0(VALU_DEP_1) | instskip(NEXT) | instid1(VALU_DEP_1)
	v_pack_b32_f16 v0, v0, v1
	v_pk_mul_f16 v0, v195, v0
	ds_store_b32 v232, v0 offset:832
.LBB14_36:                              ;   in Loop: Header=BB14_13 Depth=1
	s_or_b32 exec_lo, exec_lo, s1
	v_add_nc_u32_e32 v225, s0, v245
	s_delay_alu instid0(VALU_DEP_1) | instskip(SKIP_1) | instid1(SALU_CYCLE_1)
	v_cmp_le_i32_e32 vcc_lo, s8, v225
	s_or_b32 s1, vcc_lo, s2
	s_and_saveexec_b32 s3, s1
	s_delay_alu instid0(SALU_CYCLE_1)
	s_xor_b32 s1, exec_lo, s3
	s_cbranch_execz .LBB14_38
; %bb.37:                               ;   in Loop: Header=BB14_13 Depth=1
	ds_store_b32 v232, v194 offset:1664
.LBB14_38:                              ;   in Loop: Header=BB14_13 Depth=1
	s_and_not1_saveexec_b32 s1, s1
	s_cbranch_execz .LBB14_40
; %bb.39:                               ;   in Loop: Header=BB14_13 Depth=1
	v_mad_u64_u32 v[0:1], null, v225, s59, v[27:28]
	s_delay_alu instid0(VALU_DEP_1) | instskip(NEXT) | instid1(VALU_DEP_1)
	v_ashrrev_i32_e32 v1, 31, v0
	v_lshlrev_b64 v[0:1], 3, v[0:1]
	s_delay_alu instid0(VALU_DEP_1) | instskip(NEXT) | instid1(VALU_DEP_2)
	v_add_co_u32 v0, vcc_lo, s46, v0
	v_add_co_ci_u32_e32 v1, vcc_lo, s55, v1, vcc_lo
	global_load_b64 v[0:1], v[0:1], off
	s_waitcnt vmcnt(0)
	v_cvt_f16_f32_e32 v0, v0
	v_cvt_f16_f32_e32 v1, v1
	s_delay_alu instid0(VALU_DEP_1) | instskip(NEXT) | instid1(VALU_DEP_1)
	v_pack_b32_f16 v0, v0, v1
	v_pk_mul_f16 v0, v195, v0
	ds_store_b32 v232, v0 offset:1664
.LBB14_40:                              ;   in Loop: Header=BB14_13 Depth=1
	s_or_b32 exec_lo, exec_lo, s1
	v_add_nc_u32_e32 v16, s0, v247
	s_delay_alu instid0(VALU_DEP_1) | instskip(SKIP_1) | instid1(SALU_CYCLE_1)
	v_cmp_le_i32_e32 vcc_lo, s8, v16
	s_or_b32 s1, vcc_lo, s2
	s_and_saveexec_b32 s3, s1
	s_delay_alu instid0(SALU_CYCLE_1)
	;; [unrolled: 31-line block ×4, first 2 shown]
	s_xor_b32 s1, exec_lo, s3
	s_cbranch_execz .LBB14_50
; %bb.49:                               ;   in Loop: Header=BB14_13 Depth=1
	ds_store_b32 v232, v194 offset:4160
.LBB14_50:                              ;   in Loop: Header=BB14_13 Depth=1
	s_and_not1_saveexec_b32 s1, s1
	s_cbranch_execz .LBB14_52
; %bb.51:                               ;   in Loop: Header=BB14_13 Depth=1
	v_mad_u64_u32 v[0:1], null, v14, s59, v[27:28]
	s_delay_alu instid0(VALU_DEP_1) | instskip(NEXT) | instid1(VALU_DEP_1)
	v_ashrrev_i32_e32 v1, 31, v0
	v_lshlrev_b64 v[0:1], 3, v[0:1]
	s_delay_alu instid0(VALU_DEP_1) | instskip(NEXT) | instid1(VALU_DEP_2)
	v_add_co_u32 v0, vcc_lo, s46, v0
	v_add_co_ci_u32_e32 v1, vcc_lo, s55, v1, vcc_lo
	global_load_b64 v[0:1], v[0:1], off
	s_waitcnt vmcnt(0)
	v_cvt_f16_f32_e32 v0, v0
	v_cvt_f16_f32_e32 v1, v1
	s_delay_alu instid0(VALU_DEP_1) | instskip(NEXT) | instid1(VALU_DEP_1)
	v_pack_b32_f16 v0, v0, v1
	v_pk_mul_f16 v0, v195, v0
	ds_store_b32 v232, v0 offset:4160
.LBB14_52:                              ;   in Loop: Header=BB14_13 Depth=1
	s_or_b32 exec_lo, exec_lo, s1
	scratch_load_b32 v0, off, off offset:92 ; 4-byte Folded Reload
	s_waitcnt vmcnt(0)
	v_add_nc_u32_e32 v13, s0, v0
	s_delay_alu instid0(VALU_DEP_1) | instskip(SKIP_1) | instid1(SALU_CYCLE_1)
	v_cmp_le_i32_e32 vcc_lo, s8, v13
	s_or_b32 s1, vcc_lo, s2
	s_and_saveexec_b32 s3, s1
	s_delay_alu instid0(SALU_CYCLE_1)
	s_xor_b32 s1, exec_lo, s3
	s_cbranch_execz .LBB14_54
; %bb.53:                               ;   in Loop: Header=BB14_13 Depth=1
	ds_store_b32 v232, v194 offset:4992
.LBB14_54:                              ;   in Loop: Header=BB14_13 Depth=1
	s_and_not1_saveexec_b32 s1, s1
	s_cbranch_execz .LBB14_56
; %bb.55:                               ;   in Loop: Header=BB14_13 Depth=1
	v_mad_u64_u32 v[0:1], null, v13, s59, v[27:28]
	s_delay_alu instid0(VALU_DEP_1) | instskip(NEXT) | instid1(VALU_DEP_1)
	v_ashrrev_i32_e32 v1, 31, v0
	v_lshlrev_b64 v[0:1], 3, v[0:1]
	s_delay_alu instid0(VALU_DEP_1) | instskip(NEXT) | instid1(VALU_DEP_2)
	v_add_co_u32 v0, vcc_lo, s46, v0
	v_add_co_ci_u32_e32 v1, vcc_lo, s55, v1, vcc_lo
	global_load_b64 v[0:1], v[0:1], off
	s_waitcnt vmcnt(0)
	v_cvt_f16_f32_e32 v0, v0
	v_cvt_f16_f32_e32 v1, v1
	s_delay_alu instid0(VALU_DEP_1) | instskip(NEXT) | instid1(VALU_DEP_1)
	v_pack_b32_f16 v0, v0, v1
	v_pk_mul_f16 v0, v195, v0
	ds_store_b32 v232, v0 offset:4992
.LBB14_56:                              ;   in Loop: Header=BB14_13 Depth=1
	s_or_b32 exec_lo, exec_lo, s1
	scratch_load_b32 v0, off, off offset:96 ; 4-byte Folded Reload
	s_waitcnt vmcnt(0)
	v_add_nc_u32_e32 v12, s0, v0
	s_delay_alu instid0(VALU_DEP_1) | instskip(SKIP_1) | instid1(SALU_CYCLE_1)
	v_cmp_le_i32_e32 vcc_lo, s8, v12
	s_or_b32 s1, vcc_lo, s2
	s_and_saveexec_b32 s3, s1
	s_delay_alu instid0(SALU_CYCLE_1)
	;; [unrolled: 33-line block ×6, first 2 shown]
	s_xor_b32 s1, exec_lo, s3
	s_cbranch_execz .LBB14_74
; %bb.73:                               ;   in Loop: Header=BB14_13 Depth=1
	ds_store_b32 v232, v194 offset:9152
.LBB14_74:                              ;   in Loop: Header=BB14_13 Depth=1
	s_and_not1_saveexec_b32 s1, s1
	s_cbranch_execz .LBB14_76
; %bb.75:                               ;   in Loop: Header=BB14_13 Depth=1
	v_mad_u64_u32 v[0:1], null, v8, s59, v[27:28]
	s_delay_alu instid0(VALU_DEP_1) | instskip(NEXT) | instid1(VALU_DEP_1)
	v_ashrrev_i32_e32 v1, 31, v0
	v_lshlrev_b64 v[0:1], 3, v[0:1]
	s_delay_alu instid0(VALU_DEP_1) | instskip(NEXT) | instid1(VALU_DEP_2)
	v_add_co_u32 v0, vcc_lo, s46, v0
	v_add_co_ci_u32_e32 v1, vcc_lo, s55, v1, vcc_lo
	global_load_b64 v[0:1], v[0:1], off
	s_waitcnt vmcnt(0)
	v_cvt_f16_f32_e32 v0, v0
	v_cvt_f16_f32_e32 v1, v1
	s_delay_alu instid0(VALU_DEP_1) | instskip(NEXT) | instid1(VALU_DEP_1)
	v_pack_b32_f16 v0, v0, v1
	v_pk_mul_f16 v0, v195, v0
	ds_store_b32 v232, v0 offset:9152
.LBB14_76:                              ;   in Loop: Header=BB14_13 Depth=1
	s_or_b32 exec_lo, exec_lo, s1
	scratch_load_b32 v0, off, off offset:116 ; 4-byte Folded Reload
	s_waitcnt vmcnt(0)
	v_add_nc_u32_e32 v0, s0, v0
	s_delay_alu instid0(VALU_DEP_1) | instskip(SKIP_2) | instid1(SALU_CYCLE_1)
	v_cmp_le_i32_e32 vcc_lo, s8, v0
	scratch_store_b32 off, v0, off offset:140 ; 4-byte Folded Spill
	s_or_b32 s1, vcc_lo, s2
	s_and_saveexec_b32 s2, s1
	s_delay_alu instid0(SALU_CYCLE_1)
	s_xor_b32 s1, exec_lo, s2
	s_cbranch_execz .LBB14_78
; %bb.77:                               ;   in Loop: Header=BB14_13 Depth=1
	ds_store_b32 v232, v194 offset:9984
.LBB14_78:                              ;   in Loop: Header=BB14_13 Depth=1
	s_and_not1_saveexec_b32 s1, s1
	s_cbranch_execz .LBB14_80
; %bb.79:                               ;   in Loop: Header=BB14_13 Depth=1
	scratch_load_b32 v2, off, off offset:140 ; 4-byte Folded Reload
	s_waitcnt vmcnt(0)
	v_mad_u64_u32 v[0:1], null, v2, s59, v[27:28]
	s_delay_alu instid0(VALU_DEP_1) | instskip(NEXT) | instid1(VALU_DEP_1)
	v_ashrrev_i32_e32 v1, 31, v0
	v_lshlrev_b64 v[0:1], 3, v[0:1]
	s_delay_alu instid0(VALU_DEP_1) | instskip(NEXT) | instid1(VALU_DEP_2)
	v_add_co_u32 v0, vcc_lo, s46, v0
	v_add_co_ci_u32_e32 v1, vcc_lo, s55, v1, vcc_lo
	global_load_b64 v[0:1], v[0:1], off
	s_waitcnt vmcnt(0)
	v_cvt_f16_f32_e32 v0, v0
	v_cvt_f16_f32_e32 v1, v1
	s_delay_alu instid0(VALU_DEP_1) | instskip(NEXT) | instid1(VALU_DEP_1)
	v_pack_b32_f16 v0, v0, v1
	v_pk_mul_f16 v0, v195, v0
	ds_store_b32 v232, v0 offset:9984
.LBB14_80:                              ;   in Loop: Header=BB14_13 Depth=1
	s_or_b32 exec_lo, exec_lo, s1
	v_or_b32_e32 v188, s77, v244
	v_add_nc_u32_e32 v175, s0, v236
	s_delay_alu instid0(VALU_DEP_2) | instskip(NEXT) | instid1(VALU_DEP_2)
	v_cmp_gt_i32_e32 vcc_lo, s33, v188
	v_cmp_le_i32_e64 s1, s8, v175
	s_xor_b32 s2, vcc_lo, -1
	s_delay_alu instid0(VALU_DEP_1) | instid1(SALU_CYCLE_1)
	s_or_b32 s1, s1, s2
	s_delay_alu instid0(SALU_CYCLE_1) | instskip(NEXT) | instid1(SALU_CYCLE_1)
	s_and_saveexec_b32 s3, s1
	s_xor_b32 s1, exec_lo, s3
	s_cbranch_execz .LBB14_82
; %bb.81:                               ;   in Loop: Header=BB14_13 Depth=1
	ds_store_b32 v191, v194 offset:128
.LBB14_82:                              ;   in Loop: Header=BB14_13 Depth=1
	s_and_not1_saveexec_b32 s1, s1
	s_cbranch_execz .LBB14_84
; %bb.83:                               ;   in Loop: Header=BB14_13 Depth=1
	v_mad_u64_u32 v[0:1], null, v175, s59, v[26:27]
	s_delay_alu instid0(VALU_DEP_1) | instskip(NEXT) | instid1(VALU_DEP_1)
	v_ashrrev_i32_e32 v1, 31, v0
	v_lshlrev_b64 v[0:1], 3, v[0:1]
	s_delay_alu instid0(VALU_DEP_1) | instskip(NEXT) | instid1(VALU_DEP_2)
	v_add_co_u32 v0, vcc_lo, s46, v0
	v_add_co_ci_u32_e32 v1, vcc_lo, s55, v1, vcc_lo
	global_load_b64 v[0:1], v[0:1], off
	s_waitcnt vmcnt(0)
	v_cvt_f16_f32_e32 v0, v0
	v_cvt_f16_f32_e32 v1, v1
	s_delay_alu instid0(VALU_DEP_1) | instskip(NEXT) | instid1(VALU_DEP_1)
	v_pack_b32_f16 v0, v0, v1
	v_pk_mul_f16 v0, v195, v0
	ds_store_b32 v191, v0 offset:128
.LBB14_84:                              ;   in Loop: Header=BB14_13 Depth=1
	s_or_b32 exec_lo, exec_lo, s1
	v_add_nc_u32_e32 v174, s0, v153
	s_delay_alu instid0(VALU_DEP_1) | instskip(SKIP_1) | instid1(SALU_CYCLE_1)
	v_cmp_le_i32_e32 vcc_lo, s8, v174
	s_or_b32 s1, vcc_lo, s2
	s_and_saveexec_b32 s3, s1
	s_delay_alu instid0(SALU_CYCLE_1)
	s_xor_b32 s1, exec_lo, s3
	s_cbranch_execz .LBB14_86
; %bb.85:                               ;   in Loop: Header=BB14_13 Depth=1
	ds_store_b32 v191, v194 offset:1792
.LBB14_86:                              ;   in Loop: Header=BB14_13 Depth=1
	s_and_not1_saveexec_b32 s1, s1
	s_cbranch_execz .LBB14_88
; %bb.87:                               ;   in Loop: Header=BB14_13 Depth=1
	v_mad_u64_u32 v[0:1], null, v174, s59, v[26:27]
	s_delay_alu instid0(VALU_DEP_1) | instskip(NEXT) | instid1(VALU_DEP_1)
	v_ashrrev_i32_e32 v1, 31, v0
	v_lshlrev_b64 v[0:1], 3, v[0:1]
	s_delay_alu instid0(VALU_DEP_1) | instskip(NEXT) | instid1(VALU_DEP_2)
	v_add_co_u32 v0, vcc_lo, s46, v0
	v_add_co_ci_u32_e32 v1, vcc_lo, s55, v1, vcc_lo
	global_load_b64 v[0:1], v[0:1], off
	s_waitcnt vmcnt(0)
	v_cvt_f16_f32_e32 v0, v0
	v_cvt_f16_f32_e32 v1, v1
	s_delay_alu instid0(VALU_DEP_1) | instskip(NEXT) | instid1(VALU_DEP_1)
	v_pack_b32_f16 v0, v0, v1
	v_pk_mul_f16 v0, v195, v0
	ds_store_b32 v191, v0 offset:1792
.LBB14_88:                              ;   in Loop: Header=BB14_13 Depth=1
	s_or_b32 exec_lo, exec_lo, s1
	v_add_nc_u32_e32 v173, s0, v170
	s_delay_alu instid0(VALU_DEP_1) | instskip(SKIP_1) | instid1(SALU_CYCLE_1)
	v_cmp_le_i32_e32 vcc_lo, s8, v173
	s_or_b32 s1, vcc_lo, s2
	s_and_saveexec_b32 s3, s1
	s_delay_alu instid0(SALU_CYCLE_1)
	;; [unrolled: 31-line block ×4, first 2 shown]
	s_xor_b32 s1, exec_lo, s3
	s_cbranch_execz .LBB14_98
; %bb.97:                               ;   in Loop: Header=BB14_13 Depth=1
	ds_store_b32 v191, v194 offset:6784
.LBB14_98:                              ;   in Loop: Header=BB14_13 Depth=1
	s_and_not1_saveexec_b32 s1, s1
	s_cbranch_execz .LBB14_100
; %bb.99:                               ;   in Loop: Header=BB14_13 Depth=1
	v_mad_u64_u32 v[0:1], null, v7, s59, v[26:27]
	s_delay_alu instid0(VALU_DEP_1) | instskip(NEXT) | instid1(VALU_DEP_1)
	v_ashrrev_i32_e32 v1, 31, v0
	v_lshlrev_b64 v[0:1], 3, v[0:1]
	s_delay_alu instid0(VALU_DEP_1) | instskip(NEXT) | instid1(VALU_DEP_2)
	v_add_co_u32 v0, vcc_lo, s46, v0
	v_add_co_ci_u32_e32 v1, vcc_lo, s55, v1, vcc_lo
	global_load_b64 v[0:1], v[0:1], off
	s_waitcnt vmcnt(0)
	v_cvt_f16_f32_e32 v0, v0
	v_cvt_f16_f32_e32 v1, v1
	s_delay_alu instid0(VALU_DEP_1) | instskip(NEXT) | instid1(VALU_DEP_1)
	v_pack_b32_f16 v0, v0, v1
	v_pk_mul_f16 v0, v195, v0
	ds_store_b32 v191, v0 offset:6784
.LBB14_100:                             ;   in Loop: Header=BB14_13 Depth=1
	s_or_b32 exec_lo, exec_lo, s1
	v_add_nc_u32_e32 v6, s0, v187
	s_delay_alu instid0(VALU_DEP_1) | instskip(SKIP_1) | instid1(SALU_CYCLE_1)
	v_cmp_le_i32_e32 vcc_lo, s8, v6
	s_or_b32 s1, vcc_lo, s2
	s_and_saveexec_b32 s3, s1
	s_delay_alu instid0(SALU_CYCLE_1)
	s_xor_b32 s1, exec_lo, s3
	s_cbranch_execz .LBB14_102
; %bb.101:                              ;   in Loop: Header=BB14_13 Depth=1
	ds_store_b32 v191, v194 offset:8448
.LBB14_102:                             ;   in Loop: Header=BB14_13 Depth=1
	s_and_not1_saveexec_b32 s1, s1
	s_cbranch_execz .LBB14_104
; %bb.103:                              ;   in Loop: Header=BB14_13 Depth=1
	v_mad_u64_u32 v[0:1], null, v6, s59, v[26:27]
	s_delay_alu instid0(VALU_DEP_1) | instskip(NEXT) | instid1(VALU_DEP_1)
	v_ashrrev_i32_e32 v1, 31, v0
	v_lshlrev_b64 v[0:1], 3, v[0:1]
	s_delay_alu instid0(VALU_DEP_1) | instskip(NEXT) | instid1(VALU_DEP_2)
	v_add_co_u32 v0, vcc_lo, s46, v0
	v_add_co_ci_u32_e32 v1, vcc_lo, s55, v1, vcc_lo
	global_load_b64 v[0:1], v[0:1], off
	s_waitcnt vmcnt(0)
	v_cvt_f16_f32_e32 v0, v0
	v_cvt_f16_f32_e32 v1, v1
	s_delay_alu instid0(VALU_DEP_1) | instskip(NEXT) | instid1(VALU_DEP_1)
	v_pack_b32_f16 v0, v0, v1
	v_pk_mul_f16 v0, v195, v0
	ds_store_b32 v191, v0 offset:8448
.LBB14_104:                             ;   in Loop: Header=BB14_13 Depth=1
	s_or_b32 exec_lo, exec_lo, s1
	v_add_nc_u32_e32 v5, s0, v189
	s_delay_alu instid0(VALU_DEP_1) | instskip(SKIP_1) | instid1(SALU_CYCLE_1)
	v_cmp_le_i32_e32 vcc_lo, s8, v5
	s_or_b32 s1, vcc_lo, s2
	s_and_saveexec_b32 s3, s1
	s_delay_alu instid0(SALU_CYCLE_1)
	s_xor_b32 s1, exec_lo, s3
	s_cbranch_execz .LBB14_106
; %bb.105:                              ;   in Loop: Header=BB14_13 Depth=1
	ds_store_b32 v191, v194 offset:10112
.LBB14_106:                             ;   in Loop: Header=BB14_13 Depth=1
	s_and_not1_saveexec_b32 s1, s1
	s_cbranch_execz .LBB14_108
; %bb.107:                              ;   in Loop: Header=BB14_13 Depth=1
	v_mad_u64_u32 v[0:1], null, v5, s59, v[26:27]
	s_delay_alu instid0(VALU_DEP_1) | instskip(NEXT) | instid1(VALU_DEP_1)
	v_ashrrev_i32_e32 v1, 31, v0
	v_lshlrev_b64 v[0:1], 3, v[0:1]
	s_delay_alu instid0(VALU_DEP_1) | instskip(NEXT) | instid1(VALU_DEP_2)
	v_add_co_u32 v0, vcc_lo, s46, v0
	v_add_co_ci_u32_e32 v1, vcc_lo, s55, v1, vcc_lo
	global_load_b64 v[0:1], v[0:1], off
	s_waitcnt vmcnt(0)
	v_cvt_f16_f32_e32 v0, v0
	v_cvt_f16_f32_e32 v1, v1
	s_delay_alu instid0(VALU_DEP_1) | instskip(NEXT) | instid1(VALU_DEP_1)
	v_pack_b32_f16 v0, v0, v1
	v_pk_mul_f16 v0, v195, v0
	ds_store_b32 v191, v0 offset:10112
.LBB14_108:                             ;   in Loop: Header=BB14_13 Depth=1
	;; [unrolled: 31-line block ×3, first 2 shown]
	s_or_b32 exec_lo, exec_lo, s1
	s_waitcnt lgkmcnt(0)
	s_waitcnt_vscnt null, 0x0
	s_barrier
	buffer_gl0_inv
	ds_load_b128 v[64:67], v171
	ds_load_b128 v[68:71], v171 offset:16
	ds_load_b128 v[48:51], v171 offset:32
	;; [unrolled: 1-line block ×11, first 2 shown]
	v_add_nc_u32_e32 v75, s0, v177
	v_add_nc_u32_e32 v73, s0, v185
	;; [unrolled: 1-line block ×4, first 2 shown]
	s_add_i32 s0, s101, -1
	v_mul_hi_u32 v79, s34, v75
	v_mul_hi_u32 v78, s34, v73
	;; [unrolled: 1-line block ×4, first 2 shown]
	s_cmp_gt_i32 s0, s102
	s_waitcnt lgkmcnt(0)
	s_barrier
	buffer_gl0_inv
	s_cbranch_scc1 .LBB14_116
; %bb.113:                              ;   in Loop: Header=BB14_13 Depth=1
	v_dual_mov_b32 v183, 32 :: v_dual_add_nc_u32 v0, v75, v79
	v_add_nc_u32_e32 v1, v73, v78
	v_add_nc_u32_e32 v2, v74, v76
	;; [unrolled: 1-line block ×3, first 2 shown]
	s_delay_alu instid0(VALU_DEP_4)
	v_lshrrev_b32_e32 v0, s35, v0
	s_mov_b32 s1, 0
	v_lshrrev_b32_e32 v1, s35, v1
	v_lshrrev_b32_e32 v2, s35, v2
	;; [unrolled: 1-line block ×3, first 2 shown]
	v_mul_lo_u32 v0, v0, s8
	s_mov_b32 s2, 0xfeffffff
	v_mul_lo_u32 v1, v1, s8
	v_mul_lo_u32 v2, v2, s8
	;; [unrolled: 1-line block ×3, first 2 shown]
	s_delay_alu instid0(VALU_DEP_4) | instskip(NEXT) | instid1(VALU_DEP_4)
	v_sub_nc_u32_e32 v0, v75, v0
	v_sub_nc_u32_e32 v1, v73, v1
	s_delay_alu instid0(VALU_DEP_4) | instskip(NEXT) | instid1(VALU_DEP_4)
	v_sub_nc_u32_e32 v2, v74, v2
	v_sub_nc_u32_e32 v3, v72, v3
	s_delay_alu instid0(VALU_DEP_4)
	v_mad_i64_i32 v[125:126], null, v0, s48, 0
	scratch_load_b32 v0, off, off offset:36 ; 4-byte Folded Reload
	v_mad_i64_i32 v[123:124], null, v1, s48, 0
	v_mad_i64_i32 v[121:122], null, v2, s48, 0
	;; [unrolled: 1-line block ×3, first 2 shown]
	s_waitcnt vmcnt(0)
	v_xor_b32_e32 v182, 16, v0
	s_branch .LBB14_117
.LBB14_114:                             ;   in Loop: Header=BB14_13 Depth=1
                                        ; implicit-def: $vgpr1
                                        ; implicit-def: $vgpr2
	s_cbranch_execnz .LBB14_247
.LBB14_115:                             ;   in Loop: Header=BB14_13 Depth=1
	v_readlane_b32 s50, v255, 30
	v_readlane_b32 s51, v255, 31
	s_and_saveexec_b32 s0, s75
	s_cbranch_execz .LBB14_12
	s_branch .LBB14_476
.LBB14_116:                             ;   in Loop: Header=BB14_13 Depth=1
	s_mov_b32 s1, -1
                                        ; implicit-def: $sgpr2
                                        ; implicit-def: $vgpr125_vgpr126
                                        ; implicit-def: $vgpr123_vgpr124
                                        ; implicit-def: $vgpr121_vgpr122
                                        ; implicit-def: $vgpr119_vgpr120
                                        ; implicit-def: $vgpr182
                                        ; implicit-def: $vgpr183
.LBB14_117:                             ;   in Loop: Header=BB14_13 Depth=1
	s_delay_alu instid0(SALU_CYCLE_1)
	v_cndmask_b32_e64 v0, 0, 1, s1
	s_clause 0xc
	scratch_store_b32 off, v16, off offset:88
	scratch_store_b32 off, v15, off offset:84
	;; [unrolled: 1-line block ×13, first 2 shown]
	v_dual_mov_b32 v7, s1 :: v_dual_mov_b32 v6, s1
	v_dual_mov_b32 v243, s1 :: v_dual_mov_b32 v4, s1
	v_cmp_ne_u32_e32 vcc_lo, 1, v0
	v_dual_mov_b32 v181, s2 :: v_dual_mov_b32 v2, s1
	v_dual_mov_b32 v5, s1 :: v_dual_mov_b32 v0, s1
	;; [unrolled: 1-line block ×10, first 2 shown]
	v_mov_b32_e32 v19, s1
	v_mov_b32_e32 v17, s1
	s_cbranch_vccnz .LBB14_121
; %bb.118:                              ;   in Loop: Header=BB14_13 Depth=1
	scratch_load_b32 v5, off, off offset:36 ; 4-byte Folded Reload
	v_dual_mov_b32 v16, 0 :: v_dual_add_nc_u32 v1, v73, v78
	v_dual_mov_b32 v183, 32 :: v_dual_add_nc_u32 v2, v74, v76
	v_add_nc_u32_e32 v3, v72, v77
	s_delay_alu instid0(VALU_DEP_3) | instskip(SKIP_2) | instid1(VALU_DEP_3)
	v_lshrrev_b32_e32 v1, s35, v1
	v_dual_mov_b32 v243, 0 :: v_dual_lshlrev_b32 v4, 1, v172
	v_dual_mov_b32 v22, v16 :: v_dual_mov_b32 v171, v223
	v_mul_lo_u32 v1, v1, s8
	v_lshrrev_b32_e32 v2, s35, v2
	v_mov_b32_e32 v172, v224
	v_mov_b32_e32 v224, v222
	v_lshrrev_b32_e32 v3, s35, v3
	v_add_co_u32 v184, s1, s99, v4
	v_mul_lo_u32 v2, v2, s8
	v_sub_nc_u32_e32 v1, v73, v1
	s_delay_alu instid0(VALU_DEP_4) | instskip(SKIP_2) | instid1(VALU_DEP_4)
	v_mul_lo_u32 v3, v3, s8
	v_dual_mov_b32 v8, v16 :: v_dual_mov_b32 v223, v221
	v_mov_b32_e32 v222, v220
	v_mad_i64_i32 v[123:124], null, v1, s48, 0
	v_sub_nc_u32_e32 v2, v74, v2
	v_add_co_ci_u32_e64 v244, null, s100, 0, s1
	v_dual_mov_b32 v181, 0xfeffffff :: v_dual_mov_b32 v20, v16
	s_delay_alu instid0(VALU_DEP_3)
	v_mad_i64_i32 v[121:122], null, v2, s48, 0
	v_mov_b32_e32 v17, v16
	v_mov_b32_e32 v19, v16
	;; [unrolled: 1-line block ×5, first 2 shown]
	v_dual_mov_b32 v10, v16 :: v_dual_mov_b32 v221, v219
	v_mov_b32_e32 v11, v16
	v_mov_b32_e32 v12, v16
	;; [unrolled: 1-line block ×9, first 2 shown]
	s_lshl_b32 s74, s102, 6
	v_mov_b32_e32 v18, v16
	s_waitcnt vmcnt(0)
	v_xor_b32_e32 v182, 16, v5
	s_delay_alu instid0(VALU_DEP_1) | instskip(SKIP_1) | instid1(VALU_DEP_1)
	v_cmp_gt_i32_e32 vcc_lo, 32, v182
	v_dual_cndmask_b32 v1, v5, v182 :: v_dual_add_nc_u32 v0, v75, v79
	v_lshrrev_b32_e32 v0, s35, v0
	v_mov_b32_e32 v5, v16
	s_delay_alu instid0(VALU_DEP_3) | instskip(NEXT) | instid1(VALU_DEP_3)
	v_lshlrev_b32_e32 v185, 2, v1
	v_mul_lo_u32 v0, v0, s8
	v_mov_b32_e32 v1, v16
	s_delay_alu instid0(VALU_DEP_2) | instskip(NEXT) | instid1(VALU_DEP_1)
	v_sub_nc_u32_e32 v0, v75, v0
	v_mad_i64_i32 v[125:126], null, v0, s48, 0
	v_sub_nc_u32_e32 v0, v72, v3
	v_mov_b32_e32 v3, v16
	s_delay_alu instid0(VALU_DEP_2)
	v_mad_i64_i32 v[119:120], null, v0, s48, 0
	v_mov_b32_e32 v0, v16
.LBB14_119:                             ;   Parent Loop BB14_13 Depth=1
                                        ; =>  This Inner Loop Header: Depth=2
	s_ashr_i32 s75, s74, 31
	v_lshlrev_b64 v[72:73], 1, v[125:126]
	s_lshl_b64 s[2:3], s[74:75], 1
	v_lshlrev_b64 v[74:75], 1, v[123:124]
	v_add_co_u32 v80, vcc_lo, v184, s2
	v_add_co_ci_u32_e32 v81, vcc_lo, s3, v244, vcc_lo
	v_lshlrev_b64 v[76:77], 1, v[121:122]
	s_delay_alu instid0(VALU_DEP_3) | instskip(NEXT) | instid1(VALU_DEP_3)
	v_add_co_u32 v72, vcc_lo, v80, v72
	v_add_co_ci_u32_e32 v73, vcc_lo, v81, v73, vcc_lo
	v_add_co_u32 v74, vcc_lo, v80, v74
	v_lshlrev_b64 v[78:79], 1, v[119:120]
	v_add_co_ci_u32_e32 v75, vcc_lo, v81, v75, vcc_lo
	v_add_co_u32 v76, vcc_lo, v80, v76
	v_add_co_ci_u32_e32 v77, vcc_lo, v81, v77, vcc_lo
	s_delay_alu instid0(VALU_DEP_4)
	v_add_co_u32 v78, vcc_lo, v80, v78
	v_add_co_ci_u32_e32 v79, vcc_lo, v81, v79, vcc_lo
	s_clause 0x3
	global_load_b32 v72, v[72:73], off
	global_load_b32 v73, v[74:75], off
	;; [unrolled: 1-line block ×4, first 2 shown]
	v_add_nc_u32_e32 v76, v150, v228
	v_dual_mov_b32 v142, s43 :: v_dual_mov_b32 v137, s38
	v_mov_b32_e32 v141, s42
	s_mul_hi_i32 s3, s74, s12
	s_delay_alu instid0(VALU_DEP_3)
	v_dual_mov_b32 v140, s41 :: v_dual_add_nc_u32 v77, 0x3400, v76
	s_mul_i32 s2, s74, s12
	v_dual_mov_b32 v138, s39 :: v_dual_mov_b32 v135, s36
	s_lshl_b64 s[2:3], s[2:3], 2
	v_mov_b32_e32 v136, s37
	s_add_u32 s1, s97, s2
	s_addc_u32 s2, s98, s3
	s_mul_hi_i32 s3, s74, s10
	v_dual_mov_b32 v139, s40 :: v_dual_add_nc_u32 v228, 0xc00, v207
	s_waitcnt vmcnt(2)
	ds_store_2addr_b32 v77, v72, v73 offset1:144
	v_add_nc_u32_e32 v72, 0x3800, v76
	s_waitcnt vmcnt(0)
	ds_store_2addr_b32 v72, v74, v75 offset0:32 offset1:176
	v_add_co_u32 v72, vcc_lo, s1, v192
	v_add_co_ci_u32_e32 v73, vcc_lo, s2, v193, vcc_lo
	s_delay_alu instid0(VALU_DEP_2) | instskip(NEXT) | instid1(VALU_DEP_2)
	v_add_co_u32 v72, vcc_lo, v72, v251
	v_add_co_ci_u32_e32 v73, vcc_lo, 0, v73, vcc_lo
	v_add_co_u32 v74, vcc_lo, s1, v106
	v_add_co_ci_u32_e32 v75, vcc_lo, s2, v107, vcc_lo
	s_delay_alu instid0(VALU_DEP_2) | instskip(NEXT) | instid1(VALU_DEP_2)
	v_add_co_u32 v76, vcc_lo, v74, v251
	v_add_co_ci_u32_e32 v77, vcc_lo, 0, v75, vcc_lo
	s_clause 0x1
	global_load_b128 v[72:75], v[72:73], off offset:128
	global_load_b128 v[76:79], v[76:77], off offset:128
	s_waitcnt vmcnt(1)
	ds_store_b128 v203, v[72:75]
	s_waitcnt vmcnt(0)
	ds_store_b128 v204, v[76:79]
	v_add_co_u32 v72, vcc_lo, s1, v108
	v_add_co_ci_u32_e32 v73, vcc_lo, s2, v109, vcc_lo
	s_delay_alu instid0(VALU_DEP_2) | instskip(NEXT) | instid1(VALU_DEP_2)
	v_add_co_u32 v72, vcc_lo, v72, v252
	v_add_co_ci_u32_e32 v73, vcc_lo, 0, v73, vcc_lo
	v_add_co_u32 v74, vcc_lo, s1, v110
	v_add_co_ci_u32_e32 v75, vcc_lo, s2, v111, vcc_lo
	s_delay_alu instid0(VALU_DEP_2) | instskip(NEXT) | instid1(VALU_DEP_2)
	v_add_co_u32 v76, vcc_lo, v74, v252
	v_add_co_ci_u32_e32 v77, vcc_lo, 0, v75, vcc_lo
	s_clause 0x1
	global_load_b128 v[72:75], v[72:73], off
	global_load_b128 v[76:79], v[76:77], off
	s_waitcnt vmcnt(1)
	ds_store_b128 v205, v[72:75]
	s_waitcnt vmcnt(0)
	ds_store_b128 v240, v[76:79]
	v_add_co_u32 v72, vcc_lo, s1, v112
	v_add_co_ci_u32_e32 v73, vcc_lo, s2, v113, vcc_lo
	s_delay_alu instid0(VALU_DEP_2) | instskip(NEXT) | instid1(VALU_DEP_2)
	v_add_co_u32 v72, vcc_lo, v72, v252
	v_add_co_ci_u32_e32 v73, vcc_lo, 0, v73, vcc_lo
	v_add_co_u32 v74, vcc_lo, s1, v114
	v_add_co_ci_u32_e32 v75, vcc_lo, s2, v115, vcc_lo
	s_mul_i32 s2, s74, s10
	s_delay_alu instid0(VALU_DEP_2) | instskip(NEXT) | instid1(VALU_DEP_2)
	v_add_co_u32 v76, vcc_lo, v74, v252
	v_add_co_ci_u32_e32 v77, vcc_lo, 0, v75, vcc_lo
	s_clause 0x1
	global_load_b128 v[72:75], v[72:73], off
	global_load_b128 v[76:79], v[76:77], off
	s_lshl_b64 s[2:3], s[2:3], 2
	s_waitcnt vmcnt(1)
	ds_store_b128 v230, v[72:75]
	s_waitcnt vmcnt(0)
	ds_store_b128 v239, v[76:79]
	s_waitcnt lgkmcnt(0)
	s_waitcnt_vscnt null, 0x0
	s_barrier
	buffer_gl0_inv
	ds_load_b128 v[72:75], v253
	ds_load_b128 v[76:79], v253 offset:16
	ds_load_b128 v[80:83], v253 offset:3328
	;; [unrolled: 1-line block ×7, first 2 shown]
	s_add_u32 s1, s95, s2
	s_addc_u32 s2, s96, s3
	v_cmp_eq_u32_e64 s3, 0, v197
	s_add_i32 s102, s102, 1
	s_add_i32 s74, s74, 64
	s_cmp_lt_i32 s102, s0
	s_waitcnt lgkmcnt(6)
	v_wmma_f32_16x16x16_f16 v[143:150], v[72:79], v[64:71], v[135:142]
	ds_load_b128 v[72:75], v253 offset:32
	ds_load_b128 v[76:79], v253 offset:48
	s_waitcnt lgkmcnt(6)
	v_wmma_f32_16x16x16_f16 v[151:158], v[80:87], v[64:71], v[135:142]
	s_waitcnt lgkmcnt(4)
	v_wmma_f32_16x16x16_f16 v[80:87], v[88:95], v[64:71], v[135:142]
	;; [unrolled: 2-line block ×4, first 2 shown]
	ds_load_b128 v[72:75], v253 offset:3360
	ds_load_b128 v[76:79], v253 offset:3376
	s_waitcnt lgkmcnt(0)
	v_wmma_f32_16x16x16_f16 v[151:158], v[72:79], v[48:55], v[151:158]
	ds_load_b128 v[72:75], v253 offset:6688
	ds_load_b128 v[76:79], v253 offset:6704
	s_waitcnt lgkmcnt(0)
	v_wmma_f32_16x16x16_f16 v[80:87], v[72:79], v[48:55], v[80:87]
	;; [unrolled: 4-line block ×18, first 2 shown]
	ds_load_b128 v[72:75], v253 offset:10144
	ds_load_b128 v[76:79], v253 offset:10160
	s_waitcnt lgkmcnt(0)
	s_barrier
	buffer_gl0_inv
	v_wmma_f32_16x16x16_f16 v[91:98], v[72:79], v[40:47], v[91:98]
	ds_load_u16 v72, v206 offset:13312
	ds_load_u16 v73, v206 offset:13316
	;; [unrolled: 1-line block ×16, first 2 shown]
	s_waitcnt lgkmcnt(15)
	v_cvt_f32_f16_e32 v72, v72
	s_waitcnt lgkmcnt(7)
	v_cvt_f32_f16_e32 v88, v88
	;; [unrolled: 2-line block ×3, first 2 shown]
	v_cvt_f32_f16_e32 v75, v75
	s_waitcnt lgkmcnt(4)
	v_cvt_f32_f16_e32 v99, v99
	s_waitcnt lgkmcnt(3)
	v_cvt_f32_f16_e32 v100, v100
	v_cvt_f32_f16_e32 v78, v78
	s_waitcnt lgkmcnt(2)
	v_cvt_f32_f16_e32 v101, v101
	s_waitcnt lgkmcnt(1)
	;; [unrolled: 2-line block ×3, first 2 shown]
	v_cvt_f32_f16_e32 v103, v103
	v_add_f32_e32 v192, v151, v88
	v_dual_add_f32 v78, v149, v78 :: v_dual_add_f32 v231, v154, v99
	v_dual_add_f32 v170, v152, v89 :: v_dual_add_f32 v247, v157, v102
	;; [unrolled: 1-line block ×3, first 2 shown]
	v_add_f32_e32 v236, v158, v103
	ds_load_u16 v88, v206 offset:13376
	ds_load_u16 v89, v206 offset:13380
	ds_load_u16 v99, v206 offset:13384
	ds_load_u16 v100, v206 offset:13388
	ds_load_u16 v101, v206 offset:13392
	ds_load_u16 v102, v206 offset:13396
	ds_load_u16 v103, v206 offset:13400
	ds_load_u16 v104, v206 offset:13404
	v_cvt_f32_f16_e32 v90, v90
	v_dual_add_f32 v72, v143, v72 :: v_dual_add_f32 v75, v146, v75
	v_cvt_f32_f16_e32 v74, v74
	v_cvt_f32_f16_e32 v77, v77
	;; [unrolled: 1-line block ×5, first 2 shown]
	s_delay_alu instid0(VALU_DEP_4) | instskip(NEXT) | instid1(VALU_DEP_3)
	v_dual_add_f32 v74, v145, v74 :: v_dual_add_f32 v77, v148, v77
	v_dual_add_f32 v76, v147, v76 :: v_dual_add_f32 v79, v150, v79
	s_waitcnt lgkmcnt(7)
	v_cvt_f32_f16_e32 v88, v88
	s_waitcnt lgkmcnt(6)
	v_cvt_f32_f16_e32 v105, v89
	;; [unrolled: 2-line block ×8, first 2 shown]
	v_dual_add_f32 v90, v153, v90 :: v_dual_add_f32 v89, v80, v88
	v_dual_add_f32 v232, v81, v105 :: v_dual_add_f32 v117, v82, v99
	;; [unrolled: 1-line block ×3, first 2 shown]
	v_add_f32_e32 v198, v85, v102
	v_add_f32_e32 v196, v86, v103
	;; [unrolled: 1-line block ×3, first 2 shown]
	ds_load_u16 v80, v206 offset:13408
	ds_load_u16 v81, v206 offset:13412
	;; [unrolled: 1-line block ×8, first 2 shown]
	v_add_f32_e32 v73, v144, v73
	s_waitcnt lgkmcnt(7)
	v_cvt_f32_f16_e32 v80, v80
	s_waitcnt lgkmcnt(6)
	v_cvt_f32_f16_e32 v81, v81
	;; [unrolled: 2-line block ×5, first 2 shown]
	v_add_f32_e32 v190, v91, v80
	v_add_co_u32 v80, vcc_lo, s1, v200
	v_add_f32_e32 v191, v92, v81
	v_add_co_ci_u32_e32 v81, vcc_lo, s2, v201, vcc_lo
	s_delay_alu instid0(VALU_DEP_3) | instskip(SKIP_1) | instid1(VALU_DEP_3)
	v_add_co_u32 v80, vcc_lo, v80, v251
	v_add_f32_e32 v189, v93, v82
	v_add_co_ci_u32_e32 v81, vcc_lo, 0, v81, vcc_lo
	v_add_co_u32 v82, vcc_lo, s1, v233
	s_waitcnt lgkmcnt(2)
	v_cvt_f32_f16_e32 v85, v85
	v_add_f32_e32 v187, v94, v83
	v_add_co_ci_u32_e32 v83, vcc_lo, s2, v234, vcc_lo
	v_add_f32_e32 v186, v95, v84
	v_add_co_u32 v84, vcc_lo, v82, v251
	s_waitcnt lgkmcnt(1)
	v_cvt_f32_f16_e32 v86, v86
	s_waitcnt lgkmcnt(0)
	v_cvt_f32_f16_e32 v87, v87
	v_add_f32_e32 v177, v96, v85
	v_add_co_ci_u32_e32 v85, vcc_lo, 0, v83, vcc_lo
	v_add_f32_e32 v116, v97, v86
	s_delay_alu instid0(VALU_DEP_4)
	v_add_f32_e32 v88, v98, v87
	s_clause 0x1
	global_load_b128 v[80:83], v[80:81], off offset:128
	global_load_b128 v[84:87], v[84:85], off offset:128
	v_add_nc_u32_e32 v92, 0x400, v207
	s_waitcnt vmcnt(1)
	ds_store_b128 v203, v[80:83]
	s_waitcnt vmcnt(0)
	ds_store_b128 v204, v[84:87]
	v_add_co_u32 v80, vcc_lo, s1, v248
	v_add_co_ci_u32_e32 v81, vcc_lo, s2, v249, vcc_lo
	v_add_nc_u32_e32 v93, 0x800, v207
	s_delay_alu instid0(VALU_DEP_3) | instskip(NEXT) | instid1(VALU_DEP_3)
	v_add_co_u32 v80, vcc_lo, v80, v252
	v_add_co_ci_u32_e32 v81, vcc_lo, 0, v81, vcc_lo
	v_add_co_u32 v82, vcc_lo, s1, v221
	v_add_co_ci_u32_e32 v83, vcc_lo, s2, v222, vcc_lo
	s_delay_alu instid0(VALU_DEP_2) | instskip(NEXT) | instid1(VALU_DEP_2)
	v_add_co_u32 v84, vcc_lo, v82, v252
	v_add_co_ci_u32_e32 v85, vcc_lo, 0, v83, vcc_lo
	s_clause 0x1
	global_load_b128 v[80:83], v[80:81], off
	global_load_b128 v[84:87], v[84:85], off
	s_waitcnt vmcnt(1)
	ds_store_b128 v205, v[80:83]
	s_waitcnt vmcnt(0)
	ds_store_b128 v240, v[84:87]
	v_add_co_u32 v80, vcc_lo, s1, v223
	v_add_co_ci_u32_e32 v81, vcc_lo, s2, v224, vcc_lo
	s_delay_alu instid0(VALU_DEP_2) | instskip(NEXT) | instid1(VALU_DEP_2)
	v_add_co_u32 v80, vcc_lo, v80, v252
	v_add_co_ci_u32_e32 v81, vcc_lo, 0, v81, vcc_lo
	v_add_co_u32 v82, vcc_lo, s1, v171
	v_add_co_ci_u32_e32 v83, vcc_lo, s2, v172, vcc_lo
	v_cmp_eq_u32_e64 s2, 1, v197
	s_delay_alu instid0(VALU_DEP_3) | instskip(NEXT) | instid1(VALU_DEP_3)
	v_add_co_u32 v84, vcc_lo, v82, v252
	v_add_co_ci_u32_e32 v85, vcc_lo, 0, v83, vcc_lo
	s_clause 0x1
	global_load_b128 v[80:83], v[80:81], off
	global_load_b128 v[84:87], v[84:85], off
	s_waitcnt vmcnt(1)
	ds_store_b128 v230, v[80:83]
	s_waitcnt vmcnt(0)
	ds_store_b128 v239, v[84:87]
	v_dual_mov_b32 v80, v181 :: v_dual_add_f32 v81, 0x40051340, v72
	v_dual_add_f32 v82, 0x40051340, v73 :: v_dual_add_f32 v83, 0x40051340, v75
	s_waitcnt lgkmcnt(0)
	s_barrier
	buffer_gl0_inv
	v_max3_f32 v81, v80, v81, v82
	v_add_f32_e32 v82, 0x40051340, v74
	ds_load_2addr_b32 v[131:132], v207 offset1:16
	ds_load_2addr_b32 v[127:128], v207 offset0:32 offset1:52
	ds_load_2addr_b32 v[133:134], v207 offset0:104 offset1:120
	;; [unrolled: 1-line block ×3, first 2 shown]
	v_add_nc_u32_e32 v87, 0xa00, v207
	v_max3_f32 v81, v81, v82, v83
	v_dual_add_f32 v82, 0x40051340, v76 :: v_dual_add_f32 v83, 0x40051340, v77
	s_delay_alu instid0(VALU_DEP_1) | instskip(SKIP_1) | instid1(VALU_DEP_1)
	v_max3_f32 v81, v81, v82, v83
	v_dual_add_f32 v82, 0x40051340, v78 :: v_dual_add_f32 v83, 0x40051340, v79
	v_max3_f32 v81, v81, v82, v83
	v_dual_add_f32 v82, 0x40051340, v192 :: v_dual_add_f32 v83, 0x40051340, v170
	s_delay_alu instid0(VALU_DEP_1) | instskip(SKIP_1) | instid1(VALU_DEP_1)
	v_max3_f32 v81, v81, v82, v83
	v_dual_add_f32 v82, 0x40051340, v90 :: v_dual_add_f32 v83, 0x40051340, v231
	;; [unrolled: 5-line block ×4, first 2 shown]
	v_max3_f32 v81, v81, v82, v83
	v_add_f32_e32 v82, 0x40051340, v202
	v_add_f32_e32 v83, 0x40051340, v198
	s_delay_alu instid0(VALU_DEP_1) | instskip(SKIP_1) | instid1(VALU_DEP_1)
	v_max3_f32 v81, v81, v82, v83
	v_dual_add_f32 v82, 0x40051340, v196 :: v_dual_add_f32 v83, 0x40051340, v194
	v_max3_f32 v81, v81, v82, v83
	v_dual_add_f32 v82, 0x40051340, v190 :: v_dual_add_f32 v83, 0x40051340, v191
	s_delay_alu instid0(VALU_DEP_1) | instskip(SKIP_1) | instid1(VALU_DEP_1)
	v_max3_f32 v81, v81, v82, v83
	v_dual_add_f32 v82, 0x40051340, v189 :: v_dual_add_f32 v83, 0x40051340, v187
	v_max3_f32 v81, v81, v82, v83
	v_dual_add_f32 v82, 0x40051340, v186 :: v_dual_add_f32 v83, 0x40051340, v177
	s_delay_alu instid0(VALU_DEP_1) | instskip(SKIP_2) | instid1(VALU_DEP_1)
	v_max3_f32 v81, v81, v82, v83
	v_add_f32_e32 v82, 0x40051340, v116
	v_add_f32_e32 v83, 0x40051340, v88
	v_max3_f32 v81, v81, v82, v83
	ds_bpermute_b32 v82, v185, v81
	s_waitcnt lgkmcnt(0)
	v_max_f32_e32 v82, v82, v82
	s_delay_alu instid0(VALU_DEP_1) | instskip(NEXT) | instid1(VALU_DEP_1)
	v_max_f32_e32 v181, v81, v82
	v_sub_f32_e32 v73, v73, v181
	s_delay_alu instid0(VALU_DEP_1) | instskip(SKIP_1) | instid1(VALU_DEP_2)
	v_mul_f32_e32 v81, 0x3fb8aa3b, v73
	v_cmp_ngt_f32_e32 vcc_lo, 0xc2ce8ed0, v73
	v_fma_f32 v82, 0x3fb8aa3b, v73, -v81
	v_rndne_f32_e32 v83, v81
	s_delay_alu instid0(VALU_DEP_1)
	v_dual_fmac_f32 v82, 0x32a5705f, v73 :: v_dual_sub_f32 v81, v81, v83
	v_sub_f32_e32 v72, v72, v181
	v_cvt_i32_f32_e32 v83, v83
	v_sub_f32_e32 v75, v75, v181
	v_sub_f32_e32 v77, v77, v181
	v_add_f32_e32 v81, v81, v82
	v_cmp_ngt_f32_e64 s1, 0xc2ce8ed0, v72
	v_sub_f32_e32 v79, v79, v181
	v_sub_f32_e32 v78, v78, v181
	s_delay_alu instid0(VALU_DEP_4) | instskip(SKIP_2) | instid1(VALU_DEP_1)
	v_exp_f32_e32 v81, v81
	s_waitcnt_depctr 0xfff
	v_ldexp_f32 v81, v81, v83
	v_cndmask_b32_e32 v81, 0, v81, vcc_lo
	v_cmp_nlt_f32_e32 vcc_lo, 0x42b17218, v73
	s_delay_alu instid0(VALU_DEP_2)
	v_cndmask_b32_e32 v235, 0x7f800000, v81, vcc_lo
	v_cmp_eq_u32_e32 vcc_lo, 1, v241
	v_sub_f32_e32 v74, v74, v181
	v_mul_f32_e32 v82, 0x3fb8aa3b, v72
	v_sub_f32_e32 v80, v80, v181
	ds_bpermute_b32 v81, v185, v235
	v_sub_f32_e32 v76, v76, v181
	v_cmp_ngt_f32_e64 s4, 0xc2ce8ed0, v74
	v_fma_f32 v84, 0x3fb8aa3b, v72, -v82
	v_rndne_f32_e32 v85, v82
	s_delay_alu instid0(VALU_DEP_2) | instskip(NEXT) | instid1(VALU_DEP_2)
	v_fmac_f32_e32 v84, 0x32a5705f, v72
	v_sub_f32_e32 v82, v82, v85
	v_cvt_i32_f32_e32 v83, v85
	s_delay_alu instid0(VALU_DEP_2) | instskip(NEXT) | instid1(VALU_DEP_1)
	v_add_f32_e32 v82, v82, v84
	v_exp_f32_e32 v82, v82
	s_waitcnt_depctr 0xfff
	v_ldexp_f32 v82, v82, v83
	s_delay_alu instid0(VALU_DEP_1) | instskip(SKIP_1) | instid1(VALU_DEP_1)
	v_cndmask_b32_e64 v73, 0, v82, s1
	v_cmp_nlt_f32_e64 s1, 0x42b17218, v72
	v_cndmask_b32_e64 v234, 0x7f800000, v73, s1
	v_cmp_eq_u32_e64 s1, 0, v241
	ds_bpermute_b32 v72, v185, v234
	s_waitcnt lgkmcnt(0)
	v_cndmask_b32_e32 v73, v234, v72, vcc_lo
	v_cndmask_b32_e64 v72, v234, v72, s1
	s_delay_alu instid0(VALU_DEP_2) | instskip(NEXT) | instid1(VALU_DEP_2)
	v_cndmask_b32_e64 v83, v73, v235, s2
	v_cndmask_b32_e64 v82, v72, v235, s3
	v_cvt_f16_f32_e32 v72, v72
	v_cvt_f16_f32_e32 v73, v73
	s_delay_alu instid0(VALU_DEP_3) | instskip(SKIP_1) | instid1(VALU_DEP_3)
	v_cndmask_b32_e64 v82, v82, v81, s1
	v_cndmask_b32_e32 v81, v83, v81, vcc_lo
	v_pack_b32_f16 v72, v72, v73
	s_delay_alu instid0(VALU_DEP_3) | instskip(NEXT) | instid1(VALU_DEP_3)
	v_cvt_f16_f32_e32 v83, v82
	v_cvt_f16_f32_e32 v84, v81
	s_delay_alu instid0(VALU_DEP_1) | instskip(SKIP_1) | instid1(VALU_DEP_1)
	v_pack_b32_f16 v73, v83, v84
	v_mul_f32_e32 v83, 0x3fb8aa3b, v74
	v_fma_f32 v84, 0x3fb8aa3b, v74, -v83
	v_rndne_f32_e32 v85, v83
	s_delay_alu instid0(VALU_DEP_1) | instskip(NEXT) | instid1(VALU_DEP_1)
	v_dual_fmac_f32 v84, 0x32a5705f, v74 :: v_dual_sub_f32 v83, v83, v85
	v_add_f32_e32 v83, v83, v84
	v_cvt_i32_f32_e32 v84, v85
	s_delay_alu instid0(VALU_DEP_2) | instskip(SKIP_2) | instid1(VALU_DEP_1)
	v_exp_f32_e32 v83, v83
	s_waitcnt_depctr 0xfff
	v_ldexp_f32 v83, v83, v84
	v_cndmask_b32_e64 v83, 0, v83, s4
	v_cmp_nlt_f32_e64 s4, 0x42b17218, v74
	s_delay_alu instid0(VALU_DEP_1) | instskip(SKIP_1) | instid1(VALU_DEP_2)
	v_cndmask_b32_e64 v245, 0x7f800000, v83, s4
	v_cmp_ngt_f32_e64 s4, 0xc2ce8ed0, v75
	v_cndmask_b32_e64 v74, v82, v245, s3
	ds_bpermute_b32 v82, v185, v245
	v_cndmask_b32_e64 v81, v81, v245, s2
	s_waitcnt lgkmcnt(0)
	v_cndmask_b32_e64 v83, v74, v82, s1
	s_delay_alu instid0(VALU_DEP_2) | instskip(NEXT) | instid1(VALU_DEP_2)
	v_cndmask_b32_e32 v81, v81, v82, vcc_lo
	v_cvt_f16_f32_e32 v74, v83
	s_delay_alu instid0(VALU_DEP_2) | instskip(NEXT) | instid1(VALU_DEP_1)
	v_cvt_f16_f32_e32 v82, v81
	v_pack_b32_f16 v74, v74, v82
	v_mul_f32_e32 v82, 0x3fb8aa3b, v75
	s_delay_alu instid0(VALU_DEP_1) | instskip(SKIP_1) | instid1(VALU_DEP_2)
	v_fma_f32 v84, 0x3fb8aa3b, v75, -v82
	v_rndne_f32_e32 v85, v82
	v_fmac_f32_e32 v84, 0x32a5705f, v75
	s_delay_alu instid0(VALU_DEP_2) | instskip(NEXT) | instid1(VALU_DEP_1)
	v_sub_f32_e32 v82, v82, v85
	v_add_f32_e32 v82, v82, v84
	v_cvt_i32_f32_e32 v84, v85
	s_delay_alu instid0(VALU_DEP_2) | instskip(SKIP_2) | instid1(VALU_DEP_1)
	v_exp_f32_e32 v82, v82
	s_waitcnt_depctr 0xfff
	v_ldexp_f32 v82, v82, v84
	v_cndmask_b32_e64 v82, 0, v82, s4
	v_cmp_nlt_f32_e64 s4, 0x42b17218, v75
	s_delay_alu instid0(VALU_DEP_1)
	v_cndmask_b32_e64 v248, 0x7f800000, v82, s4
	v_cmp_ngt_f32_e64 s4, 0xc2ce8ed0, v76
	ds_bpermute_b32 v82, v185, v248
	v_cndmask_b32_e64 v75, v83, v248, s3
	v_cndmask_b32_e64 v81, v81, v248, s2
	s_waitcnt lgkmcnt(0)
	s_delay_alu instid0(VALU_DEP_2) | instskip(NEXT) | instid1(VALU_DEP_2)
	v_cndmask_b32_e64 v83, v75, v82, s1
	v_cndmask_b32_e32 v81, v81, v82, vcc_lo
	s_delay_alu instid0(VALU_DEP_2) | instskip(NEXT) | instid1(VALU_DEP_2)
	v_cvt_f16_f32_e32 v75, v83
	v_cvt_f16_f32_e32 v82, v81
	s_delay_alu instid0(VALU_DEP_1) | instskip(SKIP_1) | instid1(VALU_DEP_1)
	v_pack_b32_f16 v75, v75, v82
	v_mul_f32_e32 v82, 0x3fb8aa3b, v76
	v_fma_f32 v84, 0x3fb8aa3b, v76, -v82
	v_rndne_f32_e32 v85, v82
	s_delay_alu instid0(VALU_DEP_2) | instskip(NEXT) | instid1(VALU_DEP_2)
	v_fmac_f32_e32 v84, 0x32a5705f, v76
	v_sub_f32_e32 v82, v82, v85
	s_delay_alu instid0(VALU_DEP_1) | instskip(SKIP_1) | instid1(VALU_DEP_2)
	v_add_f32_e32 v82, v82, v84
	v_cvt_i32_f32_e32 v84, v85
	v_exp_f32_e32 v82, v82
	s_waitcnt_depctr 0xfff
	v_ldexp_f32 v82, v82, v84
	s_delay_alu instid0(VALU_DEP_1) | instskip(SKIP_1) | instid1(VALU_DEP_1)
	v_cndmask_b32_e64 v82, 0, v82, s4
	v_cmp_nlt_f32_e64 s4, 0x42b17218, v76
	v_cndmask_b32_e64 v249, 0x7f800000, v82, s4
	v_cmp_ngt_f32_e64 s4, 0xc2ce8ed0, v77
	ds_bpermute_b32 v82, v185, v249
	v_cndmask_b32_e64 v76, v83, v249, s3
	v_cndmask_b32_e64 v81, v81, v249, s2
	s_waitcnt lgkmcnt(0)
	s_delay_alu instid0(VALU_DEP_2) | instskip(NEXT) | instid1(VALU_DEP_2)
	v_cndmask_b32_e64 v83, v76, v82, s1
	v_cndmask_b32_e32 v81, v81, v82, vcc_lo
	s_delay_alu instid0(VALU_DEP_2) | instskip(NEXT) | instid1(VALU_DEP_2)
	v_cvt_f16_f32_e32 v76, v83
	v_cvt_f16_f32_e32 v82, v81
	s_delay_alu instid0(VALU_DEP_1) | instskip(SKIP_1) | instid1(VALU_DEP_1)
	v_pack_b32_f16 v76, v76, v82
	v_mul_f32_e32 v82, 0x3fb8aa3b, v77
	v_fma_f32 v84, 0x3fb8aa3b, v77, -v82
	v_rndne_f32_e32 v85, v82
	s_delay_alu instid0(VALU_DEP_2) | instskip(NEXT) | instid1(VALU_DEP_2)
	v_fmac_f32_e32 v84, 0x32a5705f, v77
	v_sub_f32_e32 v82, v82, v85
	s_delay_alu instid0(VALU_DEP_1) | instskip(SKIP_1) | instid1(VALU_DEP_2)
	v_add_f32_e32 v82, v82, v84
	v_cvt_i32_f32_e32 v84, v85
	v_exp_f32_e32 v82, v82
	s_waitcnt_depctr 0xfff
	v_ldexp_f32 v82, v82, v84
	s_delay_alu instid0(VALU_DEP_1) | instskip(SKIP_1) | instid1(VALU_DEP_1)
	v_cndmask_b32_e64 v82, 0, v82, s4
	v_cmp_nlt_f32_e64 s4, 0x42b17218, v77
	;; [unrolled: 29-line block ×4, first 2 shown]
	v_cndmask_b32_e64 v91, 0x7f800000, v82, s4
	v_cmp_ngt_f32_e64 s4, 0xc2ce8ed0, v80
	ds_bpermute_b32 v82, v185, v91
	v_cndmask_b32_e64 v79, v83, v91, s3
	v_cndmask_b32_e64 v81, v81, v91, s2
	s_waitcnt lgkmcnt(0)
	s_delay_alu instid0(VALU_DEP_2) | instskip(NEXT) | instid1(VALU_DEP_2)
	v_cndmask_b32_e64 v79, v79, v82, s1
	v_cndmask_b32_e32 v81, v81, v82, vcc_lo
	s_delay_alu instid0(VALU_DEP_2) | instskip(NEXT) | instid1(VALU_DEP_2)
	v_cvt_f16_f32_e32 v79, v79
	v_cvt_f16_f32_e32 v81, v81
	s_delay_alu instid0(VALU_DEP_1) | instskip(SKIP_1) | instid1(VALU_DEP_1)
	v_pack_b32_f16 v79, v79, v81
	v_mul_f32_e32 v81, 0x3fb8aa3b, v80
	v_fma_f32 v82, 0x3fb8aa3b, v80, -v81
	v_rndne_f32_e32 v83, v81
	s_delay_alu instid0(VALU_DEP_1) | instskip(NEXT) | instid1(VALU_DEP_1)
	v_dual_fmac_f32 v82, 0x32a5705f, v80 :: v_dual_sub_f32 v81, v81, v83
	v_add_f32_e32 v81, v81, v82
	v_cvt_i32_f32_e32 v82, v83
	s_delay_alu instid0(VALU_DEP_2) | instskip(SKIP_3) | instid1(VALU_DEP_2)
	v_exp_f32_e32 v81, v81
	s_waitcnt_depctr 0xfff
	v_ldexp_f32 v81, v81, v82
	v_add_nc_u32_e32 v82, 0x200, v207
	v_cndmask_b32_e64 v81, 0, v81, s4
	v_cmp_nlt_f32_e64 s4, 0x42b17218, v80
	ds_load_2addr_b32 v[145:146], v82 offset0:80 offset1:132
	ds_load_2addr_b32 v[141:142], v92 offset0:56 offset1:72
	ds_load_2addr_b32 v[135:136], v92 offset0:88 offset1:108
	ds_load_2addr_b32 v[149:150], v92 offset0:160 offset1:212
	ds_load_2addr_b32 v[143:144], v93 offset0:8 offset1:24
	ds_load_2addr_b32 v[137:138], v93 offset0:40 offset1:60
	ds_load_2addr_b32 v[155:156], v93 offset0:112 offset1:164
	ds_load_2addr_b32 v[139:140], v87 offset0:120 offset1:140
	ds_load_2addr_b32 v[147:148], v93 offset0:216 offset1:232
	v_cndmask_b32_e64 v81, 0x7f800000, v81, s4
	v_cmp_le_f32_e64 s4, 0xc1a00000, v80
	v_perm_b32 v80, v128, v131, 0x5040100
	ds_load_2addr_b32 v[151:152], v207 offset0:68 offset1:84
	ds_load_2addr_b32 v[153:154], v207 offset0:172 offset1:188
	v_cndmask_b32_e64 v176, 0, v81, s4
	v_perm_b32 v81, v130, v133, 0x5040100
	s_delay_alu instid0(VALU_DEP_2)
	v_cvt_f16_f32_e64 v179, v176
	s_waitcnt lgkmcnt(10)
	v_perm_b32 v82, v146, v145, 0x5040100
	s_waitcnt lgkmcnt(8)
	v_perm_b32 v83, v136, v141, 0x5040100
	v_pk_mul_f16 v16, v179, v16 op_sel_hi:[0,1]
	v_pk_mul_f16 v17, v179, v17 op_sel_hi:[0,1]
	v_pk_mul_f16 v18, v179, v18 op_sel_hi:[0,1]
	v_pk_mul_f16 v19, v179, v19 op_sel_hi:[0,1]
	v_pk_mul_f16 v20, v179, v20 op_sel_hi:[0,1]
	v_pk_mul_f16 v21, v179, v21 op_sel_hi:[0,1]
	v_pk_mul_f16 v22, v179, v22 op_sel_hi:[0,1]
	v_pk_mul_f16 v23, v179, v23 op_sel_hi:[0,1]
	s_waitcnt lgkmcnt(7)
	v_perm_b32 v84, v150, v149, 0x5040100
	s_waitcnt lgkmcnt(5)
	v_perm_b32 v85, v138, v143, 0x5040100
	;; [unrolled: 2-line block ×4, first 2 shown]
	v_pk_mul_f16 v8, v179, v8 op_sel_hi:[0,1]
	v_pk_mul_f16 v9, v179, v9 op_sel_hi:[0,1]
	;; [unrolled: 1-line block ×4, first 2 shown]
	v_wmma_f16_16x16x16_f16 v[16:23], v[80:87], v[72:79], v[16:23]
	v_add_nc_u32_e32 v82, 0x300, v211
	ds_load_2addr_b32 v[167:168], v82 offset0:16 offset1:224
	ds_load_2addr_b32 v[157:158], v92 offset0:20 offset1:36
	;; [unrolled: 1-line block ×6, first 2 shown]
	ds_load_b32 v193, v211 offset:2496
	ds_load_b32 v118, v212 offset:2496
	;; [unrolled: 1-line block ×5, first 2 shown]
	ds_load_2addr_b32 v[100:101], v228 offset0:28 offset1:44
	v_pk_mul_f16 v12, v179, v12 op_sel_hi:[0,1]
	v_pk_mul_f16 v13, v179, v13 op_sel_hi:[0,1]
	;; [unrolled: 1-line block ×4, first 2 shown]
	s_waitcnt lgkmcnt(13)
	v_perm_b32 v80, v151, v132, 0x5040100
	s_waitcnt lgkmcnt(12)
	v_perm_b32 v81, v153, v134, 0x5040100
	v_pk_mul_f16 v0, v179, v0 op_sel_hi:[0,1]
	v_pk_mul_f16 v1, v179, v1 op_sel_hi:[0,1]
	;; [unrolled: 1-line block ×8, first 2 shown]
	s_waitcnt lgkmcnt(10)
	v_perm_b32 v82, v157, v167, 0x5040100
	s_waitcnt lgkmcnt(9)
	v_perm_b32 v83, v159, v142, 0x5040100
	;; [unrolled: 2-line block ×6, first 2 shown]
	v_perm_b32 v92, v152, v127, 0x5040100
	v_perm_b32 v93, v154, v129, 0x5040100
	v_perm_b32 v95, v160, v135, 0x5040100
	v_perm_b32 v97, v164, v137, 0x5040100
	v_wmma_f16_16x16x16_f16 v[8:15], v[80:87], v[72:79], v[8:15]
	v_add_nc_u32_e32 v80, 0x300, v215
	v_perm_b32 v99, v101, v139, 0x5040100
	ds_load_2addr_b32 v[83:84], v80 offset0:16 offset1:224
	ds_load_b32 v81, v215 offset:2496
	ds_load_b32 v87, v216 offset:2496
	;; [unrolled: 1-line block ×4, first 2 shown]
	s_waitcnt lgkmcnt(3)
	v_perm_b32 v98, v166, v81, 0x5040100
	v_perm_b32 v94, v158, v83, 0x5040100
	;; [unrolled: 1-line block ×3, first 2 shown]
	s_delay_alu instid0(VALU_DEP_1)
	v_wmma_f16_16x16x16_f16 v[0:7], v[92:99], v[72:79], v[0:7]
	v_perm_b32 v94, v146, v145, 0x7060302
	v_perm_b32 v96, v150, v149, 0x7060302
	;; [unrolled: 1-line block ×8, first 2 shown]
	s_delay_alu instid0(VALU_DEP_1)
	v_wmma_f16_16x16x16_f16 v[16:23], v[92:99], v[72:79], v[16:23] op_sel:[0,0,1]
	v_perm_b32 v92, v151, v132, 0x7060302
	v_perm_b32 v93, v153, v134, 0x7060302
	;; [unrolled: 1-line block ×8, first 2 shown]
	v_add_nc_u32_e32 v163, 0x1400, v207
	s_delay_alu instid0(VALU_DEP_2)
	v_wmma_f16_16x16x16_f16 v[8:15], v[92:99], v[72:79], v[8:15] op_sel:[0,0,1]
	v_perm_b32 v92, v152, v127, 0x7060302
	v_perm_b32 v93, v154, v129, 0x7060302
	;; [unrolled: 1-line block ×8, first 2 shown]
	s_delay_alu instid0(VALU_DEP_1) | instskip(SKIP_1) | instid1(VALU_DEP_1)
	v_wmma_f16_16x16x16_f16 v[0:7], v[92:99], v[72:79], v[0:7] op_sel:[0,0,1]
	v_sub_f32_e32 v72, v170, v181
	v_mul_f32_e32 v73, 0x3fb8aa3b, v72
	v_cmp_ngt_f32_e64 s4, 0xc2ce8ed0, v72
	s_delay_alu instid0(VALU_DEP_2) | instskip(SKIP_1) | instid1(VALU_DEP_1)
	v_fma_f32 v74, 0x3fb8aa3b, v72, -v73
	v_rndne_f32_e32 v75, v73
	v_dual_fmac_f32 v74, 0x32a5705f, v72 :: v_dual_sub_f32 v73, v73, v75
	v_cvt_i32_f32_e32 v75, v75
	s_delay_alu instid0(VALU_DEP_2) | instskip(NEXT) | instid1(VALU_DEP_1)
	v_dual_add_f32 v73, v73, v74 :: v_dual_sub_f32 v74, v192, v181
	v_exp_f32_e32 v73, v73
	s_delay_alu instid0(VALU_DEP_1) | instskip(SKIP_1) | instid1(VALU_DEP_2)
	v_mul_f32_e32 v76, 0x3fb8aa3b, v74
	v_cmp_ngt_f32_e64 s5, 0xc2ce8ed0, v74
	v_fma_f32 v77, 0x3fb8aa3b, v74, -v76
	v_rndne_f32_e32 v78, v76
	s_waitcnt_depctr 0xfff
	v_ldexp_f32 v73, v73, v75
	v_fmac_f32_e32 v77, 0x32a5705f, v74
	v_sub_f32_e32 v76, v76, v78
	v_cvt_i32_f32_e32 v75, v78
	s_delay_alu instid0(VALU_DEP_4) | instskip(SKIP_1) | instid1(VALU_DEP_4)
	v_cndmask_b32_e64 v73, 0, v73, s4
	v_cmp_nlt_f32_e64 s4, 0x42b17218, v72
	v_add_f32_e32 v76, v76, v77
	s_delay_alu instid0(VALU_DEP_2) | instskip(NEXT) | instid1(VALU_DEP_2)
	v_cndmask_b32_e64 v73, 0x7f800000, v73, s4
	v_exp_f32_e32 v76, v76
	s_waitcnt_depctr 0xfff
	v_ldexp_f32 v75, v76, v75
	ds_bpermute_b32 v76, v185, v73
	v_cndmask_b32_e64 v72, 0, v75, s5
	v_cmp_nlt_f32_e64 s5, 0x42b17218, v74
	s_delay_alu instid0(VALU_DEP_1) | instskip(SKIP_4) | instid1(VALU_DEP_2)
	v_cndmask_b32_e64 v72, 0x7f800000, v72, s5
	ds_bpermute_b32 v74, v185, v72
	s_waitcnt lgkmcnt(0)
	v_cndmask_b32_e32 v75, v72, v74, vcc_lo
	v_cndmask_b32_e64 v74, v72, v74, s1
	v_cndmask_b32_e64 v78, v75, v73, s2
	s_delay_alu instid0(VALU_DEP_2) | instskip(SKIP_2) | instid1(VALU_DEP_3)
	v_cndmask_b32_e64 v77, v74, v73, s3
	v_cvt_f16_f32_e32 v74, v74
	v_cvt_f16_f32_e32 v75, v75
	v_cndmask_b32_e64 v77, v77, v76, s1
	v_cndmask_b32_e32 v76, v78, v76, vcc_lo
	s_delay_alu instid0(VALU_DEP_3) | instskip(SKIP_4) | instid1(VALU_DEP_4)
	v_pack_b32_f16 v92, v74, v75
	v_sub_f32_e32 v74, v90, v181
	v_add_nc_u32_e32 v90, 0x1000, v207
	v_cvt_f16_f32_e32 v78, v77
	v_cvt_f16_f32_e32 v79, v76
	v_mul_f32_e32 v75, 0x3fb8aa3b, v74
	v_cmp_ngt_f32_e64 s4, 0xc2ce8ed0, v74
	s_delay_alu instid0(VALU_DEP_3) | instskip(NEXT) | instid1(VALU_DEP_3)
	v_pack_b32_f16 v93, v78, v79
	v_fma_f32 v78, 0x3fb8aa3b, v74, -v75
	v_rndne_f32_e32 v79, v75
	s_delay_alu instid0(VALU_DEP_1) | instskip(NEXT) | instid1(VALU_DEP_1)
	v_dual_fmac_f32 v78, 0x32a5705f, v74 :: v_dual_sub_f32 v75, v75, v79
	v_add_f32_e32 v75, v75, v78
	v_cvt_i32_f32_e32 v78, v79
	s_delay_alu instid0(VALU_DEP_2) | instskip(SKIP_2) | instid1(VALU_DEP_1)
	v_exp_f32_e32 v75, v75
	s_waitcnt_depctr 0xfff
	v_ldexp_f32 v75, v75, v78
	v_cndmask_b32_e64 v75, 0, v75, s4
	v_cmp_nlt_f32_e64 s4, 0x42b17218, v74
	s_delay_alu instid0(VALU_DEP_1) | instskip(NEXT) | instid1(VALU_DEP_1)
	v_cndmask_b32_e64 v74, 0x7f800000, v75, s4
	v_cndmask_b32_e64 v75, v76, v74, s2
	;; [unrolled: 1-line block ×3, first 2 shown]
	ds_bpermute_b32 v77, v185, v74
	s_waitcnt lgkmcnt(0)
	v_cndmask_b32_e64 v76, v76, v77, s1
	v_cndmask_b32_e32 v77, v75, v77, vcc_lo
	s_delay_alu instid0(VALU_DEP_2) | instskip(NEXT) | instid1(VALU_DEP_2)
	v_cvt_f16_f32_e32 v75, v76
	v_cvt_f16_f32_e32 v78, v77
	s_delay_alu instid0(VALU_DEP_1) | instskip(SKIP_1) | instid1(VALU_DEP_1)
	v_pack_b32_f16 v94, v75, v78
	v_sub_f32_e32 v75, v231, v181
	v_mul_f32_e32 v78, 0x3fb8aa3b, v75
	v_cmp_ngt_f32_e64 s4, 0xc2ce8ed0, v75
	s_delay_alu instid0(VALU_DEP_2) | instskip(SKIP_1) | instid1(VALU_DEP_1)
	v_fma_f32 v79, 0x3fb8aa3b, v75, -v78
	v_rndne_f32_e32 v81, v78
	v_dual_fmac_f32 v79, 0x32a5705f, v75 :: v_dual_sub_f32 v78, v78, v81
	s_delay_alu instid0(VALU_DEP_1) | instskip(SKIP_1) | instid1(VALU_DEP_2)
	v_add_f32_e32 v78, v78, v79
	v_cvt_i32_f32_e32 v79, v81
	v_exp_f32_e32 v78, v78
	s_waitcnt_depctr 0xfff
	v_ldexp_f32 v78, v78, v79
	s_delay_alu instid0(VALU_DEP_1) | instskip(SKIP_1) | instid1(VALU_DEP_1)
	v_cndmask_b32_e64 v78, 0, v78, s4
	v_cmp_nlt_f32_e64 s4, 0x42b17218, v75
	v_cndmask_b32_e64 v75, 0x7f800000, v78, s4
	ds_bpermute_b32 v78, v185, v75
	v_cndmask_b32_e64 v76, v76, v75, s3
	v_cndmask_b32_e64 v77, v77, v75, s2
	s_waitcnt lgkmcnt(0)
	s_delay_alu instid0(VALU_DEP_2) | instskip(NEXT) | instid1(VALU_DEP_2)
	v_cndmask_b32_e64 v79, v76, v78, s1
	v_cndmask_b32_e32 v77, v77, v78, vcc_lo
	s_delay_alu instid0(VALU_DEP_2) | instskip(NEXT) | instid1(VALU_DEP_2)
	v_cvt_f16_f32_e32 v76, v79
	v_cvt_f16_f32_e32 v78, v77
	s_delay_alu instid0(VALU_DEP_1) | instskip(SKIP_1) | instid1(VALU_DEP_1)
	v_pack_b32_f16 v95, v76, v78
	v_sub_f32_e32 v76, v250, v181
	v_mul_f32_e32 v78, 0x3fb8aa3b, v76
	v_cmp_ngt_f32_e64 s4, 0xc2ce8ed0, v76
	s_delay_alu instid0(VALU_DEP_2) | instskip(SKIP_1) | instid1(VALU_DEP_1)
	v_fma_f32 v81, 0x3fb8aa3b, v76, -v78
	v_rndne_f32_e32 v83, v78
	v_dual_fmac_f32 v81, 0x32a5705f, v76 :: v_dual_sub_f32 v78, v78, v83
	s_delay_alu instid0(VALU_DEP_1) | instskip(SKIP_1) | instid1(VALU_DEP_2)
	v_add_f32_e32 v78, v78, v81
	v_cvt_i32_f32_e32 v81, v83
	v_exp_f32_e32 v78, v78
	s_waitcnt_depctr 0xfff
	v_ldexp_f32 v78, v78, v81
	s_delay_alu instid0(VALU_DEP_1) | instskip(SKIP_1) | instid1(VALU_DEP_1)
	v_cndmask_b32_e64 v78, 0, v78, s4
	v_cmp_nlt_f32_e64 s4, 0x42b17218, v76
	v_cndmask_b32_e64 v76, 0x7f800000, v78, s4
	s_delay_alu instid0(VALU_DEP_1) | instskip(SKIP_4) | instid1(VALU_DEP_2)
	v_cndmask_b32_e64 v78, v79, v76, s3
	ds_bpermute_b32 v79, v185, v76
	v_cndmask_b32_e64 v77, v77, v76, s2
	s_waitcnt lgkmcnt(0)
	v_cndmask_b32_e64 v78, v78, v79, s1
	v_cndmask_b32_e32 v79, v77, v79, vcc_lo
	s_delay_alu instid0(VALU_DEP_2) | instskip(NEXT) | instid1(VALU_DEP_2)
	v_cvt_f16_f32_e32 v77, v78
	v_cvt_f16_f32_e32 v81, v79
	s_delay_alu instid0(VALU_DEP_1) | instskip(SKIP_2) | instid1(VALU_DEP_2)
	v_pack_b32_f16 v96, v77, v81
	v_sub_f32_e32 v77, v229, v181
	v_add_nc_u32_e32 v229, 0x1800, v207
	v_mul_f32_e32 v81, 0x3fb8aa3b, v77
	v_cmp_ngt_f32_e64 s4, 0xc2ce8ed0, v77
	s_delay_alu instid0(VALU_DEP_2) | instskip(SKIP_1) | instid1(VALU_DEP_2)
	v_fma_f32 v83, 0x3fb8aa3b, v77, -v81
	v_rndne_f32_e32 v84, v81
	v_fmac_f32_e32 v83, 0x32a5705f, v77
	s_delay_alu instid0(VALU_DEP_2) | instskip(NEXT) | instid1(VALU_DEP_1)
	v_sub_f32_e32 v81, v81, v84
	v_add_f32_e32 v81, v81, v83
	v_cvt_i32_f32_e32 v83, v84
	s_delay_alu instid0(VALU_DEP_2) | instskip(SKIP_2) | instid1(VALU_DEP_1)
	v_exp_f32_e32 v81, v81
	s_waitcnt_depctr 0xfff
	v_ldexp_f32 v81, v81, v83
	v_cndmask_b32_e64 v81, 0, v81, s4
	v_cmp_nlt_f32_e64 s4, 0x42b17218, v77
	s_delay_alu instid0(VALU_DEP_1) | instskip(SKIP_4) | instid1(VALU_DEP_2)
	v_cndmask_b32_e64 v77, 0x7f800000, v81, s4
	ds_bpermute_b32 v81, v185, v77
	v_cndmask_b32_e64 v78, v78, v77, s3
	v_cndmask_b32_e64 v79, v79, v77, s2
	s_waitcnt lgkmcnt(0)
	v_cndmask_b32_e64 v83, v78, v81, s1
	s_delay_alu instid0(VALU_DEP_2) | instskip(NEXT) | instid1(VALU_DEP_2)
	v_cndmask_b32_e32 v79, v79, v81, vcc_lo
	v_cvt_f16_f32_e32 v78, v83
	s_delay_alu instid0(VALU_DEP_2) | instskip(NEXT) | instid1(VALU_DEP_1)
	v_cvt_f16_f32_e32 v81, v79
	v_pack_b32_f16 v97, v78, v81
	v_sub_f32_e32 v78, v247, v181
	s_delay_alu instid0(VALU_DEP_1) | instskip(SKIP_1) | instid1(VALU_DEP_2)
	v_mul_f32_e32 v81, 0x3fb8aa3b, v78
	v_cmp_ngt_f32_e64 s4, 0xc2ce8ed0, v78
	v_fma_f32 v84, 0x3fb8aa3b, v78, -v81
	v_rndne_f32_e32 v85, v81
	s_delay_alu instid0(VALU_DEP_1) | instskip(NEXT) | instid1(VALU_DEP_1)
	v_dual_fmac_f32 v84, 0x32a5705f, v78 :: v_dual_sub_f32 v81, v81, v85
	v_add_f32_e32 v81, v81, v84
	v_cvt_i32_f32_e32 v84, v85
	s_delay_alu instid0(VALU_DEP_2) | instskip(SKIP_2) | instid1(VALU_DEP_1)
	v_exp_f32_e32 v81, v81
	s_waitcnt_depctr 0xfff
	v_ldexp_f32 v81, v81, v84
	v_cndmask_b32_e64 v81, 0, v81, s4
	v_cmp_nlt_f32_e64 s4, 0x42b17218, v78
	s_delay_alu instid0(VALU_DEP_1) | instskip(NEXT) | instid1(VALU_DEP_1)
	v_cndmask_b32_e64 v78, 0x7f800000, v81, s4
	v_cndmask_b32_e64 v81, v83, v78, s3
	ds_bpermute_b32 v83, v185, v78
	v_cndmask_b32_e64 v79, v79, v78, s2
	s_waitcnt lgkmcnt(0)
	v_cndmask_b32_e64 v81, v81, v83, s1
	s_delay_alu instid0(VALU_DEP_2) | instskip(NEXT) | instid1(VALU_DEP_2)
	v_cndmask_b32_e32 v83, v79, v83, vcc_lo
	v_cvt_f16_f32_e32 v79, v81
	s_delay_alu instid0(VALU_DEP_2) | instskip(NEXT) | instid1(VALU_DEP_1)
	v_cvt_f16_f32_e32 v84, v83
	v_pack_b32_f16 v98, v79, v84
	v_sub_f32_e32 v79, v236, v181
	s_delay_alu instid0(VALU_DEP_1) | instskip(SKIP_1) | instid1(VALU_DEP_2)
	v_mul_f32_e32 v84, 0x3fb8aa3b, v79
	v_cmp_ngt_f32_e64 s4, 0xc2ce8ed0, v79
	v_fma_f32 v85, 0x3fb8aa3b, v79, -v84
	v_rndne_f32_e32 v86, v84
	s_delay_alu instid0(VALU_DEP_1) | instskip(NEXT) | instid1(VALU_DEP_1)
	v_dual_fmac_f32 v85, 0x32a5705f, v79 :: v_dual_sub_f32 v84, v84, v86
	v_add_f32_e32 v84, v84, v85
	v_cvt_i32_f32_e32 v85, v86
	s_delay_alu instid0(VALU_DEP_2) | instskip(SKIP_2) | instid1(VALU_DEP_1)
	v_exp_f32_e32 v84, v84
	s_waitcnt_depctr 0xfff
	v_ldexp_f32 v84, v84, v85
	v_cndmask_b32_e64 v84, 0, v84, s4
	v_cmp_nlt_f32_e64 s4, 0x42b17218, v79
	s_delay_alu instid0(VALU_DEP_1) | instskip(SKIP_4) | instid1(VALU_DEP_2)
	v_cndmask_b32_e64 v79, 0x7f800000, v84, s4
	ds_bpermute_b32 v84, v185, v79
	v_cndmask_b32_e64 v81, v81, v79, s3
	v_cndmask_b32_e64 v83, v83, v79, s2
	s_waitcnt lgkmcnt(0)
	v_cndmask_b32_e64 v81, v81, v84, s1
	s_delay_alu instid0(VALU_DEP_2) | instskip(NEXT) | instid1(VALU_DEP_2)
	v_cndmask_b32_e32 v83, v83, v84, vcc_lo
	v_cvt_f16_f32_e32 v81, v81
	s_delay_alu instid0(VALU_DEP_2) | instskip(NEXT) | instid1(VALU_DEP_1)
	v_cvt_f16_f32_e32 v83, v83
	v_pack_b32_f16 v99, v81, v83
	v_add_nc_u32_e32 v81, 0x300, v208
	ds_load_2addr_b32 v[83:84], v228 offset0:64 offset1:80
	ds_load_2addr_b32 v[85:86], v228 offset0:96 offset1:116
	;; [unrolled: 1-line block ×6, first 2 shown]
	v_add_nc_u32_e32 v81, 0x1200, v207
	ds_load_2addr_b32 v[137:138], v90 offset0:100 offset1:120
	ds_load_2addr_b32 v[139:140], v90 offset0:172 offset1:188
	;; [unrolled: 1-line block ×5, first 2 shown]
	ds_load_b32 v170, v209 offset:2496
	ds_load_b32 v179, v208 offset:2496
	;; [unrolled: 1-line block ×3, first 2 shown]
	ds_load_2addr_b32 v[147:148], v163 offset0:228 offset1:244
	ds_load_2addr_b32 v[149:150], v229 offset0:4 offset1:24
	;; [unrolled: 1-line block ×8, first 2 shown]
	s_waitcnt lgkmcnt(20)
	v_perm_b32 v127, v86, v83, 0x5040100
	ds_load_2addr_b32 v[165:166], v229 offset0:40 offset1:56
	s_waitcnt lgkmcnt(19)
	v_perm_b32 v128, v103, v100, 0x5040100
	v_add_nc_u32_e32 v90, 0x300, v216
	ds_load_2addr_b32 v[192:193], v229 offset0:108 offset1:128
	scratch_load_b32 v228, off, off         ; 4-byte Folded Reload
	s_waitcnt lgkmcnt(18)
	v_perm_b32 v129, v135, v104, 0x5040100
	s_waitcnt lgkmcnt(16)
	v_perm_b32 v130, v139, v138, 0x5040100
	ds_load_2addr_b32 v[167:168], v90 offset0:16 offset1:224
	s_waitcnt lgkmcnt(16)
	v_perm_b32 v131, v142, v105, 0x5040100
	s_waitcnt lgkmcnt(14)
	v_perm_b32 v132, v146, v143, 0x5040100
	;; [unrolled: 2-line block ×4, first 2 shown]
	s_delay_alu instid0(VALU_DEP_1)
	v_wmma_f16_16x16x16_f16 v[16:23], v[127:134], v[92:99], v[16:23]
	v_add_nc_u32_e32 v129, 0x300, v212
	s_waitcnt lgkmcnt(7)
	v_perm_b32 v127, v153, v84, 0x5040100
	s_waitcnt lgkmcnt(6)
	v_perm_b32 v128, v155, v101, 0x5040100
	;; [unrolled: 2-line block ×4, first 2 shown]
	ds_load_2addr_b32 v[157:158], v129 offset0:16 offset1:224
	v_perm_b32 v133, v148, v118, 0x5040100
	s_waitcnt lgkmcnt(3)
	v_perm_b32 v134, v152, v165, 0x5040100
	s_waitcnt lgkmcnt(0)
	v_perm_b32 v129, v136, v157, 0x5040100
	v_perm_b32 v131, v161, v158, 0x5040100
	s_delay_alu instid0(VALU_DEP_1)
	v_wmma_f16_16x16x16_f16 v[8:15], v[127:134], v[92:99], v[8:15]
	v_perm_b32 v127, v154, v85, 0x5040100
	v_perm_b32 v128, v156, v102, 0x5040100
	;; [unrolled: 1-line block ×8, first 2 shown]
	s_delay_alu instid0(VALU_DEP_1)
	v_wmma_f16_16x16x16_f16 v[0:7], v[127:134], v[92:99], v[0:7]
	v_perm_b32 v129, v135, v104, 0x7060302
	v_perm_b32 v131, v142, v105, 0x7060302
	;; [unrolled: 1-line block ×8, first 2 shown]
	v_sub_f32_e32 v83, v232, v181
	s_delay_alu instid0(VALU_DEP_2)
	v_wmma_f16_16x16x16_f16 v[16:23], v[127:134], v[92:99], v[16:23] op_sel:[0,0,1]
	v_perm_b32 v133, v148, v118, 0x7060302
	v_perm_b32 v127, v153, v84, 0x7060302
	;; [unrolled: 1-line block ×8, first 2 shown]
	v_mul_f32_e32 v84, 0x3fb8aa3b, v83
	v_cmp_ngt_f32_e64 s4, 0xc2ce8ed0, v83
	v_add_nc_u32_e32 v161, 0x2000, v207
	s_delay_alu instid0(VALU_DEP_4)
	v_wmma_f16_16x16x16_f16 v[8:15], v[127:134], v[92:99], v[8:15] op_sel:[0,0,1]
	v_perm_b32 v127, v154, v85, 0x7060302
	v_fma_f32 v85, 0x3fb8aa3b, v83, -v84
	v_rndne_f32_e32 v86, v84
	v_perm_b32 v133, v149, v87, 0x7060302
	v_perm_b32 v128, v156, v102, 0x7060302
	;; [unrolled: 1-line block ×3, first 2 shown]
	s_delay_alu instid0(VALU_DEP_4)
	v_dual_fmac_f32 v85, 0x32a5705f, v83 :: v_dual_sub_f32 v84, v84, v86
	v_cvt_i32_f32_e32 v86, v86
	v_perm_b32 v129, v137, v167, 0x7060302
	v_perm_b32 v131, v162, v168, 0x7060302
	;; [unrolled: 1-line block ×3, first 2 shown]
	v_add_f32_e32 v84, v84, v85
	v_sub_f32_e32 v85, v89, v181
	v_perm_b32 v134, v192, v166, 0x7060302
	v_add_nc_u32_e32 v102, 0x300, v209
	s_delay_alu instid0(VALU_DEP_4) | instskip(NEXT) | instid1(VALU_DEP_3)
	v_exp_f32_e32 v84, v84
	v_mul_f32_e32 v87, 0x3fb8aa3b, v85
	v_cmp_ngt_f32_e64 s5, 0xc2ce8ed0, v85
	v_wmma_f16_16x16x16_f16 v[0:7], v[127:134], v[92:99], v[0:7] op_sel:[0,0,1]
	v_add_nc_u32_e32 v133, 0x2200, v207
	s_delay_alu instid0(VALU_DEP_4) | instskip(SKIP_1) | instid1(TRANS32_DEP_1)
	v_fma_f32 v89, 0x3fb8aa3b, v85, -v87
	v_rndne_f32_e32 v90, v87
	v_ldexp_f32 v84, v84, v86
	s_delay_alu instid0(VALU_DEP_3) | instskip(NEXT) | instid1(VALU_DEP_3)
	v_fmac_f32_e32 v89, 0x32a5705f, v85
	v_sub_f32_e32 v87, v87, v90
	v_cvt_i32_f32_e32 v86, v90
	s_delay_alu instid0(VALU_DEP_4) | instskip(SKIP_1) | instid1(VALU_DEP_4)
	v_cndmask_b32_e64 v84, 0, v84, s4
	v_cmp_nlt_f32_e64 s4, 0x42b17218, v83
	v_add_f32_e32 v87, v87, v89
	s_delay_alu instid0(VALU_DEP_2) | instskip(NEXT) | instid1(VALU_DEP_2)
	v_cndmask_b32_e64 v84, 0x7f800000, v84, s4
	v_exp_f32_e32 v87, v87
	s_waitcnt_depctr 0xfff
	v_ldexp_f32 v86, v87, v86
	ds_bpermute_b32 v87, v185, v84
	v_cndmask_b32_e64 v83, 0, v86, s5
	v_cmp_nlt_f32_e64 s5, 0x42b17218, v85
	s_delay_alu instid0(VALU_DEP_1) | instskip(SKIP_4) | instid1(VALU_DEP_2)
	v_cndmask_b32_e64 v83, 0x7f800000, v83, s5
	ds_bpermute_b32 v85, v185, v83
	s_waitcnt lgkmcnt(0)
	v_cndmask_b32_e32 v86, v83, v85, vcc_lo
	v_cndmask_b32_e64 v85, v83, v85, s1
	v_cndmask_b32_e64 v90, v86, v84, s2
	s_delay_alu instid0(VALU_DEP_2) | instskip(SKIP_2) | instid1(VALU_DEP_3)
	v_cndmask_b32_e64 v89, v85, v84, s3
	v_cvt_f16_f32_e32 v85, v85
	v_cvt_f16_f32_e32 v86, v86
	v_cndmask_b32_e64 v89, v89, v87, s1
	v_cndmask_b32_e32 v87, v90, v87, vcc_lo
	s_delay_alu instid0(VALU_DEP_3) | instskip(SKIP_1) | instid1(VALU_DEP_4)
	v_pack_b32_f16 v92, v85, v86
	v_sub_f32_e32 v85, v117, v181
	v_cvt_f16_f32_e32 v90, v89
	s_delay_alu instid0(VALU_DEP_4) | instskip(NEXT) | instid1(VALU_DEP_3)
	v_cvt_f16_f32_e32 v93, v87
	v_mul_f32_e32 v86, 0x3fb8aa3b, v85
	v_cmp_ngt_f32_e64 s4, 0xc2ce8ed0, v85
	s_delay_alu instid0(VALU_DEP_3) | instskip(NEXT) | instid1(VALU_DEP_3)
	v_pack_b32_f16 v93, v90, v93
	v_fma_f32 v90, 0x3fb8aa3b, v85, -v86
	v_rndne_f32_e32 v94, v86
	s_delay_alu instid0(VALU_DEP_2) | instskip(NEXT) | instid1(VALU_DEP_2)
	v_fmac_f32_e32 v90, 0x32a5705f, v85
	v_sub_f32_e32 v86, v86, v94
	s_delay_alu instid0(VALU_DEP_1) | instskip(SKIP_1) | instid1(VALU_DEP_2)
	v_add_f32_e32 v86, v86, v90
	v_cvt_i32_f32_e32 v90, v94
	v_exp_f32_e32 v86, v86
	s_waitcnt_depctr 0xfff
	v_ldexp_f32 v86, v86, v90
	s_delay_alu instid0(VALU_DEP_1) | instskip(SKIP_1) | instid1(VALU_DEP_1)
	v_cndmask_b32_e64 v86, 0, v86, s4
	v_cmp_nlt_f32_e64 s4, 0x42b17218, v85
	v_cndmask_b32_e64 v167, 0x7f800000, v86, s4
	s_delay_alu instid0(VALU_DEP_1) | instskip(SKIP_3) | instid1(VALU_DEP_1)
	v_cndmask_b32_e64 v86, v87, v167, s2
	ds_bpermute_b32 v87, v185, v167
	v_cndmask_b32_e64 v85, v89, v167, s3
	s_waitcnt lgkmcnt(0)
	v_cndmask_b32_e64 v85, v85, v87, s1
	v_cndmask_b32_e32 v86, v86, v87, vcc_lo
	s_delay_alu instid0(VALU_DEP_2) | instskip(NEXT) | instid1(VALU_DEP_2)
	v_cvt_f16_f32_e32 v87, v85
	v_cvt_f16_f32_e32 v89, v86
	s_delay_alu instid0(VALU_DEP_1) | instskip(SKIP_1) | instid1(VALU_DEP_1)
	v_pack_b32_f16 v94, v87, v89
	v_sub_f32_e32 v87, v219, v181
	v_mul_f32_e32 v89, 0x3fb8aa3b, v87
	v_cmp_ngt_f32_e64 s4, 0xc2ce8ed0, v87
	s_delay_alu instid0(VALU_DEP_2) | instskip(SKIP_1) | instid1(VALU_DEP_2)
	v_fma_f32 v90, 0x3fb8aa3b, v87, -v89
	v_rndne_f32_e32 v95, v89
	v_fmac_f32_e32 v90, 0x32a5705f, v87
	s_delay_alu instid0(VALU_DEP_2) | instskip(NEXT) | instid1(VALU_DEP_1)
	v_sub_f32_e32 v89, v89, v95
	v_add_f32_e32 v89, v89, v90
	v_cvt_i32_f32_e32 v90, v95
	s_delay_alu instid0(VALU_DEP_2) | instskip(SKIP_2) | instid1(VALU_DEP_1)
	v_exp_f32_e32 v89, v89
	s_waitcnt_depctr 0xfff
	v_ldexp_f32 v89, v89, v90
	v_cndmask_b32_e64 v89, 0, v89, s4
	v_cmp_nlt_f32_e64 s4, 0x42b17218, v87
	s_delay_alu instid0(VALU_DEP_1) | instskip(SKIP_4) | instid1(VALU_DEP_2)
	v_cndmask_b32_e64 v168, 0x7f800000, v89, s4
	ds_bpermute_b32 v87, v185, v168
	v_cndmask_b32_e64 v85, v85, v168, s3
	v_cndmask_b32_e64 v86, v86, v168, s2
	s_waitcnt lgkmcnt(0)
	v_cndmask_b32_e64 v85, v85, v87, s1
	s_delay_alu instid0(VALU_DEP_2) | instskip(NEXT) | instid1(VALU_DEP_2)
	v_cndmask_b32_e32 v86, v86, v87, vcc_lo
	v_cvt_f16_f32_e32 v87, v85
	s_delay_alu instid0(VALU_DEP_2) | instskip(NEXT) | instid1(VALU_DEP_1)
	v_cvt_f16_f32_e32 v89, v86
	v_pack_b32_f16 v95, v87, v89
	v_sub_f32_e32 v87, v202, v181
	s_delay_alu instid0(VALU_DEP_1) | instskip(SKIP_1) | instid1(VALU_DEP_2)
	v_mul_f32_e32 v89, 0x3fb8aa3b, v87
	v_cmp_ngt_f32_e64 s4, 0xc2ce8ed0, v87
	v_fma_f32 v90, 0x3fb8aa3b, v87, -v89
	v_rndne_f32_e32 v96, v89
	s_delay_alu instid0(VALU_DEP_1) | instskip(NEXT) | instid1(VALU_DEP_1)
	v_dual_fmac_f32 v90, 0x32a5705f, v87 :: v_dual_sub_f32 v89, v89, v96
	v_add_f32_e32 v89, v89, v90
	v_cvt_i32_f32_e32 v90, v96
	s_delay_alu instid0(VALU_DEP_2) | instskip(SKIP_2) | instid1(VALU_DEP_1)
	v_exp_f32_e32 v89, v89
	s_waitcnt_depctr 0xfff
	v_ldexp_f32 v89, v89, v90
	v_cndmask_b32_e64 v89, 0, v89, s4
	v_cmp_nlt_f32_e64 s4, 0x42b17218, v87
	s_delay_alu instid0(VALU_DEP_1) | instskip(SKIP_4) | instid1(VALU_DEP_2)
	v_cndmask_b32_e64 v179, 0x7f800000, v89, s4
	ds_bpermute_b32 v87, v185, v179
	v_cndmask_b32_e64 v85, v85, v179, s3
	v_cndmask_b32_e64 v86, v86, v179, s2
	s_waitcnt lgkmcnt(0)
	v_cndmask_b32_e64 v85, v85, v87, s1
	s_delay_alu instid0(VALU_DEP_2) | instskip(NEXT) | instid1(VALU_DEP_2)
	v_cndmask_b32_e32 v86, v86, v87, vcc_lo
	v_cvt_f16_f32_e32 v87, v85
	s_delay_alu instid0(VALU_DEP_2) | instskip(NEXT) | instid1(VALU_DEP_1)
	v_cvt_f16_f32_e32 v89, v86
	v_pack_b32_f16 v96, v87, v89
	v_dual_sub_f32 v87, v198, v181 :: v_dual_add_nc_u32 v198, 0x2400, v207
	s_delay_alu instid0(VALU_DEP_1) | instskip(SKIP_1) | instid1(VALU_DEP_2)
	v_mul_f32_e32 v89, 0x3fb8aa3b, v87
	v_cmp_ngt_f32_e64 s4, 0xc2ce8ed0, v87
	v_fma_f32 v90, 0x3fb8aa3b, v87, -v89
	v_rndne_f32_e32 v97, v89
	s_delay_alu instid0(VALU_DEP_1) | instskip(NEXT) | instid1(VALU_DEP_1)
	v_dual_fmac_f32 v90, 0x32a5705f, v87 :: v_dual_sub_f32 v89, v89, v97
	v_add_f32_e32 v89, v89, v90
	v_cvt_i32_f32_e32 v90, v97
	s_delay_alu instid0(VALU_DEP_2) | instskip(SKIP_2) | instid1(VALU_DEP_1)
	v_exp_f32_e32 v89, v89
	s_waitcnt_depctr 0xfff
	v_ldexp_f32 v89, v89, v90
	v_cndmask_b32_e64 v89, 0, v89, s4
	v_cmp_nlt_f32_e64 s4, 0x42b17218, v87
	s_delay_alu instid0(VALU_DEP_1) | instskip(SKIP_4) | instid1(VALU_DEP_2)
	v_cndmask_b32_e64 v192, 0x7f800000, v89, s4
	ds_bpermute_b32 v87, v185, v192
	v_cndmask_b32_e64 v85, v85, v192, s3
	v_cndmask_b32_e64 v86, v86, v192, s2
	s_waitcnt lgkmcnt(0)
	v_cndmask_b32_e64 v85, v85, v87, s1
	s_delay_alu instid0(VALU_DEP_2) | instskip(NEXT) | instid1(VALU_DEP_2)
	v_cndmask_b32_e32 v86, v86, v87, vcc_lo
	v_cvt_f16_f32_e32 v87, v85
	s_delay_alu instid0(VALU_DEP_2) | instskip(NEXT) | instid1(VALU_DEP_1)
	v_cvt_f16_f32_e32 v89, v86
	v_pack_b32_f16 v97, v87, v89
	v_sub_f32_e32 v87, v196, v181
	s_delay_alu instid0(VALU_DEP_1) | instskip(SKIP_1) | instid1(VALU_DEP_2)
	v_mul_f32_e32 v89, 0x3fb8aa3b, v87
	v_cmp_ngt_f32_e64 s4, 0xc2ce8ed0, v87
	v_fma_f32 v90, 0x3fb8aa3b, v87, -v89
	v_rndne_f32_e32 v98, v89
	s_delay_alu instid0(VALU_DEP_1) | instskip(NEXT) | instid1(VALU_DEP_1)
	v_dual_fmac_f32 v90, 0x32a5705f, v87 :: v_dual_sub_f32 v89, v89, v98
	v_add_f32_e32 v89, v89, v90
	v_cvt_i32_f32_e32 v90, v98
	s_delay_alu instid0(VALU_DEP_2) | instskip(SKIP_2) | instid1(VALU_DEP_1)
	v_exp_f32_e32 v89, v89
	s_waitcnt_depctr 0xfff
	v_ldexp_f32 v89, v89, v90
	v_cndmask_b32_e64 v89, 0, v89, s4
	v_cmp_nlt_f32_e64 s4, 0x42b17218, v87
	s_delay_alu instid0(VALU_DEP_1) | instskip(SKIP_4) | instid1(VALU_DEP_2)
	v_cndmask_b32_e64 v196, 0x7f800000, v89, s4
	ds_bpermute_b32 v87, v185, v196
	v_cndmask_b32_e64 v85, v85, v196, s3
	v_cndmask_b32_e64 v86, v86, v196, s2
	s_waitcnt lgkmcnt(0)
	v_cndmask_b32_e64 v85, v85, v87, s1
	s_delay_alu instid0(VALU_DEP_2) | instskip(NEXT) | instid1(VALU_DEP_2)
	v_cndmask_b32_e32 v86, v86, v87, vcc_lo
	v_cvt_f16_f32_e32 v87, v85
	s_delay_alu instid0(VALU_DEP_2) | instskip(NEXT) | instid1(VALU_DEP_1)
	v_cvt_f16_f32_e32 v89, v86
	v_pack_b32_f16 v98, v87, v89
	v_sub_f32_e32 v87, v194, v181
	s_delay_alu instid0(VALU_DEP_1) | instskip(SKIP_1) | instid1(VALU_DEP_2)
	v_mul_f32_e32 v89, 0x3fb8aa3b, v87
	v_cmp_ngt_f32_e64 s4, 0xc2ce8ed0, v87
	v_fma_f32 v90, 0x3fb8aa3b, v87, -v89
	v_rndne_f32_e32 v99, v89
	s_delay_alu instid0(VALU_DEP_2) | instskip(NEXT) | instid1(VALU_DEP_2)
	v_fmac_f32_e32 v90, 0x32a5705f, v87
	v_sub_f32_e32 v89, v89, v99
	s_delay_alu instid0(VALU_DEP_1) | instskip(SKIP_1) | instid1(VALU_DEP_2)
	v_add_f32_e32 v89, v89, v90
	v_cvt_i32_f32_e32 v90, v99
	v_exp_f32_e32 v89, v89
	s_waitcnt_depctr 0xfff
	v_ldexp_f32 v89, v89, v90
	s_delay_alu instid0(VALU_DEP_1) | instskip(SKIP_1) | instid1(VALU_DEP_1)
	v_cndmask_b32_e64 v89, 0, v89, s4
	v_cmp_nlt_f32_e64 s4, 0x42b17218, v87
	v_cndmask_b32_e64 v194, 0x7f800000, v89, s4
	ds_bpermute_b32 v87, v185, v194
	v_cndmask_b32_e64 v85, v85, v194, s3
	v_cndmask_b32_e64 v86, v86, v194, s2
	s_waitcnt lgkmcnt(0)
	s_delay_alu instid0(VALU_DEP_2) | instskip(NEXT) | instid1(VALU_DEP_2)
	v_cndmask_b32_e64 v85, v85, v87, s1
	v_cndmask_b32_e32 v86, v86, v87, vcc_lo
	v_add_nc_u32_e32 v87, 0x1c00, v207
	s_delay_alu instid0(VALU_DEP_3) | instskip(NEXT) | instid1(VALU_DEP_3)
	v_cvt_f16_f32_e32 v85, v85
	v_cvt_f16_f32_e32 v86, v86
	s_delay_alu instid0(VALU_DEP_1)
	v_pack_b32_f16 v99, v85, v86
	ds_load_2addr_b32 v[85:86], v229 offset0:180 offset1:196
	ds_load_2addr_b32 v[89:90], v229 offset0:212 offset1:232
	;; [unrolled: 1-line block ×13, first 2 shown]
	s_waitcnt lgkmcnt(12)
	v_perm_b32 v127, v85, v193, 0x5040100
	s_waitcnt lgkmcnt(10)
	v_perm_b32 v128, v100, v90, 0x5040100
	;; [unrolled: 2-line block ×8, first 2 shown]
	s_delay_alu instid0(VALU_DEP_1)
	v_wmma_f16_16x16x16_f16 v[16:23], v[127:134], v[92:99], v[16:23]
	v_add_nc_u32_e32 v127, 0x1e00, v207
	v_add_nc_u32_e32 v128, 0x1a00, v207
	;; [unrolled: 1-line block ×3, first 2 shown]
	ds_load_2addr_b32 v[149:150], v127 offset0:124 offset1:140
	ds_load_2addr_b32 v[151:152], v198 offset0:156 offset1:172
	;; [unrolled: 1-line block ×8, first 2 shown]
	v_add_nc_u32_e32 v87, 0x300, v217
	ds_load_2addr_b32 v[165:166], v87 offset0:16 offset1:224
	s_waitcnt lgkmcnt(8)
	v_perm_b32 v130, v149, v118, 0x5040100
	s_waitcnt lgkmcnt(7)
	v_perm_b32 v134, v151, v146, 0x5040100
	;; [unrolled: 2-line block ×8, first 2 shown]
	s_delay_alu instid0(VALU_DEP_1)
	v_wmma_f16_16x16x16_f16 v[8:15], v[127:134], v[92:99], v[8:15]
	v_perm_b32 v130, v150, v135, 0x5040100
	v_perm_b32 v134, v152, v147, 0x5040100
	;; [unrolled: 1-line block ×4, first 2 shown]
	s_waitcnt lgkmcnt(0)
	v_perm_b32 v129, v160, v165, 0x5040100
	v_perm_b32 v131, v139, v166, 0x5040100
	;; [unrolled: 1-line block ×4, first 2 shown]
	s_delay_alu instid0(VALU_DEP_1)
	v_wmma_f16_16x16x16_f16 v[0:7], v[127:134], v[92:99], v[0:7]
	v_perm_b32 v127, v85, v193, 0x7060302
	v_perm_b32 v129, v105, v102, 0x7060302
	;; [unrolled: 1-line block ×8, first 2 shown]
	v_add_nc_u32_e32 v102, 0x300, v210
	s_delay_alu instid0(VALU_DEP_2)
	v_wmma_f16_16x16x16_f16 v[16:23], v[127:134], v[92:99], v[16:23] op_sel:[0,0,1]
	v_perm_b32 v130, v149, v118, 0x7060302
	v_perm_b32 v134, v151, v146, 0x7060302
	;; [unrolled: 1-line block ×8, first 2 shown]
	v_add_nc_u32_e32 v157, 0x2c00, v207
	v_add_nc_u32_e32 v161, 0x3000, v207
	;; [unrolled: 1-line block ×3, first 2 shown]
	s_delay_alu instid0(VALU_DEP_4)
	v_wmma_f16_16x16x16_f16 v[8:15], v[127:134], v[92:99], v[8:15] op_sel:[0,0,1]
	v_perm_b32 v133, v164, v82, 0x7060302
	v_sub_f32_e32 v82, v191, v181
	v_perm_b32 v130, v150, v135, 0x7060302
	v_perm_b32 v134, v152, v147, 0x7060302
	;; [unrolled: 1-line block ×4, first 2 shown]
	v_mul_f32_e32 v85, 0x3fb8aa3b, v82
	v_perm_b32 v129, v160, v165, 0x7060302
	v_perm_b32 v131, v139, v166, 0x7060302
	;; [unrolled: 1-line block ×3, first 2 shown]
	v_cmp_ngt_f32_e64 s4, 0xc2ce8ed0, v82
	v_fma_f32 v86, 0x3fb8aa3b, v82, -v85
	v_rndne_f32_e32 v87, v85
	s_delay_alu instid0(VALU_DEP_4) | instskip(NEXT) | instid1(VALU_DEP_2)
	v_wmma_f16_16x16x16_f16 v[0:7], v[127:134], v[92:99], v[0:7] op_sel:[0,0,1]
	v_dual_fmac_f32 v86, 0x32a5705f, v82 :: v_dual_sub_f32 v85, v85, v87
	v_cvt_i32_f32_e32 v87, v87
	s_delay_alu instid0(VALU_DEP_2) | instskip(NEXT) | instid1(VALU_DEP_1)
	v_dual_add_f32 v85, v85, v86 :: v_dual_sub_f32 v86, v190, v181
	v_exp_f32_e32 v85, v85
	s_delay_alu instid0(VALU_DEP_1) | instskip(SKIP_1) | instid1(VALU_DEP_2)
	v_mul_f32_e32 v89, 0x3fb8aa3b, v86
	v_cmp_ngt_f32_e64 s5, 0xc2ce8ed0, v86
	v_fma_f32 v90, 0x3fb8aa3b, v86, -v89
	v_rndne_f32_e32 v92, v89
	s_waitcnt_depctr 0xfff
	v_ldexp_f32 v85, v85, v87
	v_dual_fmac_f32 v90, 0x32a5705f, v86 :: v_dual_sub_f32 v89, v89, v92
	v_cvt_i32_f32_e32 v87, v92
	s_delay_alu instid0(VALU_DEP_3) | instskip(SKIP_1) | instid1(VALU_DEP_4)
	v_cndmask_b32_e64 v85, 0, v85, s4
	v_cmp_nlt_f32_e64 s4, 0x42b17218, v82
	v_add_f32_e32 v89, v89, v90
	s_delay_alu instid0(VALU_DEP_2) | instskip(NEXT) | instid1(VALU_DEP_2)
	v_cndmask_b32_e64 v118, 0x7f800000, v85, s4
	v_exp_f32_e32 v89, v89
	s_waitcnt_depctr 0xfff
	v_ldexp_f32 v87, v89, v87
	s_delay_alu instid0(VALU_DEP_1)
	v_cndmask_b32_e64 v82, 0, v87, s5
	v_cmp_nlt_f32_e64 s5, 0x42b17218, v86
	ds_bpermute_b32 v87, v185, v118
	v_cndmask_b32_e64 v82, 0x7f800000, v82, s5
	ds_bpermute_b32 v85, v185, v82
	s_waitcnt lgkmcnt(0)
	v_cndmask_b32_e32 v86, v82, v85, vcc_lo
	v_cndmask_b32_e64 v85, v82, v85, s1
	s_delay_alu instid0(VALU_DEP_2) | instskip(NEXT) | instid1(VALU_DEP_2)
	v_cndmask_b32_e64 v90, v86, v118, s2
	v_cndmask_b32_e64 v89, v85, v118, s3
	v_cvt_f16_f32_e32 v85, v85
	v_cvt_f16_f32_e32 v86, v86
	s_delay_alu instid0(VALU_DEP_3) | instskip(NEXT) | instid1(VALU_DEP_2)
	v_cndmask_b32_e64 v89, v89, v87, s1
	v_pack_b32_f16 v92, v85, v86
	v_sub_f32_e32 v85, v189, v181
	v_cndmask_b32_e32 v87, v90, v87, vcc_lo
	s_delay_alu instid0(VALU_DEP_4) | instskip(NEXT) | instid1(VALU_DEP_3)
	v_cvt_f16_f32_e32 v90, v89
	v_mul_f32_e32 v86, 0x3fb8aa3b, v85
	s_delay_alu instid0(VALU_DEP_3) | instskip(SKIP_1) | instid1(VALU_DEP_3)
	v_cvt_f16_f32_e32 v93, v87
	v_cmp_ngt_f32_e64 s4, 0xc2ce8ed0, v85
	v_rndne_f32_e32 v94, v86
	s_delay_alu instid0(VALU_DEP_3) | instskip(SKIP_1) | instid1(VALU_DEP_3)
	v_pack_b32_f16 v93, v90, v93
	v_fma_f32 v90, 0x3fb8aa3b, v85, -v86
	v_sub_f32_e32 v86, v86, v94
	s_delay_alu instid0(VALU_DEP_2) | instskip(NEXT) | instid1(VALU_DEP_1)
	v_fmac_f32_e32 v90, 0x32a5705f, v85
	v_add_f32_e32 v86, v86, v90
	v_cvt_i32_f32_e32 v90, v94
	s_delay_alu instid0(VALU_DEP_2) | instskip(SKIP_2) | instid1(VALU_DEP_1)
	v_exp_f32_e32 v86, v86
	s_waitcnt_depctr 0xfff
	v_ldexp_f32 v86, v86, v90
	v_cndmask_b32_e64 v86, 0, v86, s4
	v_cmp_nlt_f32_e64 s4, 0x42b17218, v85
	s_delay_alu instid0(VALU_DEP_1) | instskip(NEXT) | instid1(VALU_DEP_1)
	v_cndmask_b32_e64 v165, 0x7f800000, v86, s4
	v_cndmask_b32_e64 v86, v87, v165, s2
	ds_bpermute_b32 v87, v185, v165
	v_cndmask_b32_e64 v85, v89, v165, s3
	s_waitcnt lgkmcnt(0)
	s_delay_alu instid0(VALU_DEP_1) | instskip(SKIP_1) | instid1(VALU_DEP_2)
	v_cndmask_b32_e64 v85, v85, v87, s1
	v_cndmask_b32_e32 v86, v86, v87, vcc_lo
	v_cvt_f16_f32_e32 v87, v85
	s_delay_alu instid0(VALU_DEP_2) | instskip(NEXT) | instid1(VALU_DEP_1)
	v_cvt_f16_f32_e32 v89, v86
	v_pack_b32_f16 v94, v87, v89
	v_sub_f32_e32 v87, v187, v181
	s_delay_alu instid0(VALU_DEP_1) | instskip(SKIP_1) | instid1(VALU_DEP_2)
	v_mul_f32_e32 v89, 0x3fb8aa3b, v87
	v_cmp_ngt_f32_e64 s4, 0xc2ce8ed0, v87
	v_fma_f32 v90, 0x3fb8aa3b, v87, -v89
	v_rndne_f32_e32 v95, v89
	s_delay_alu instid0(VALU_DEP_2) | instskip(NEXT) | instid1(VALU_DEP_2)
	v_fmac_f32_e32 v90, 0x32a5705f, v87
	v_sub_f32_e32 v89, v89, v95
	s_delay_alu instid0(VALU_DEP_1) | instskip(SKIP_1) | instid1(VALU_DEP_2)
	v_add_f32_e32 v89, v89, v90
	v_cvt_i32_f32_e32 v90, v95
	v_exp_f32_e32 v89, v89
	s_waitcnt_depctr 0xfff
	v_ldexp_f32 v89, v89, v90
	s_delay_alu instid0(VALU_DEP_1) | instskip(SKIP_1) | instid1(VALU_DEP_1)
	v_cndmask_b32_e64 v89, 0, v89, s4
	v_cmp_nlt_f32_e64 s4, 0x42b17218, v87
	v_cndmask_b32_e64 v166, 0x7f800000, v89, s4
	ds_bpermute_b32 v87, v185, v166
	v_cndmask_b32_e64 v85, v85, v166, s3
	v_cndmask_b32_e64 v86, v86, v166, s2
	s_waitcnt lgkmcnt(0)
	s_delay_alu instid0(VALU_DEP_1) | instskip(NEXT) | instid1(VALU_DEP_3)
	v_cndmask_b32_e32 v86, v86, v87, vcc_lo
	v_cndmask_b32_e64 v85, v85, v87, s1
	s_delay_alu instid0(VALU_DEP_2) | instskip(NEXT) | instid1(VALU_DEP_2)
	v_cvt_f16_f32_e32 v89, v86
	v_cvt_f16_f32_e32 v87, v85
	s_delay_alu instid0(VALU_DEP_1) | instskip(SKIP_1) | instid1(VALU_DEP_1)
	v_pack_b32_f16 v95, v87, v89
	v_sub_f32_e32 v87, v186, v181
	v_mul_f32_e32 v89, 0x3fb8aa3b, v87
	v_cmp_ngt_f32_e64 s4, 0xc2ce8ed0, v87
	s_delay_alu instid0(VALU_DEP_2) | instskip(SKIP_1) | instid1(VALU_DEP_1)
	v_fma_f32 v90, 0x3fb8aa3b, v87, -v89
	v_rndne_f32_e32 v96, v89
	v_dual_fmac_f32 v90, 0x32a5705f, v87 :: v_dual_sub_f32 v89, v89, v96
	s_delay_alu instid0(VALU_DEP_1) | instskip(SKIP_1) | instid1(VALU_DEP_2)
	v_add_f32_e32 v89, v89, v90
	v_cvt_i32_f32_e32 v90, v96
	v_exp_f32_e32 v89, v89
	s_waitcnt_depctr 0xfff
	v_ldexp_f32 v89, v89, v90
	s_delay_alu instid0(VALU_DEP_1) | instskip(SKIP_1) | instid1(VALU_DEP_1)
	v_cndmask_b32_e64 v89, 0, v89, s4
	v_cmp_nlt_f32_e64 s4, 0x42b17218, v87
	v_cndmask_b32_e64 v170, 0x7f800000, v89, s4
	ds_bpermute_b32 v87, v185, v170
	v_cndmask_b32_e64 v85, v85, v170, s3
	v_cndmask_b32_e64 v86, v86, v170, s2
	s_waitcnt lgkmcnt(0)
	s_delay_alu instid0(VALU_DEP_1) | instskip(NEXT) | instid1(VALU_DEP_3)
	v_cndmask_b32_e32 v86, v86, v87, vcc_lo
	v_cndmask_b32_e64 v85, v85, v87, s1
	s_delay_alu instid0(VALU_DEP_2) | instskip(NEXT) | instid1(VALU_DEP_2)
	v_cvt_f16_f32_e32 v89, v86
	v_cvt_f16_f32_e32 v87, v85
	s_delay_alu instid0(VALU_DEP_1) | instskip(SKIP_1) | instid1(VALU_DEP_1)
	v_pack_b32_f16 v96, v87, v89
	v_sub_f32_e32 v87, v177, v181
	v_mul_f32_e32 v89, 0x3fb8aa3b, v87
	v_cmp_ngt_f32_e64 s4, 0xc2ce8ed0, v87
	s_delay_alu instid0(VALU_DEP_2) | instskip(SKIP_1) | instid1(VALU_DEP_1)
	v_fma_f32 v90, 0x3fb8aa3b, v87, -v89
	v_rndne_f32_e32 v97, v89
	v_dual_fmac_f32 v90, 0x32a5705f, v87 :: v_dual_sub_f32 v89, v89, v97
	s_delay_alu instid0(VALU_DEP_1) | instskip(SKIP_1) | instid1(VALU_DEP_2)
	v_add_f32_e32 v89, v89, v90
	v_cvt_i32_f32_e32 v90, v97
	v_exp_f32_e32 v89, v89
	s_waitcnt_depctr 0xfff
	v_ldexp_f32 v89, v89, v90
	s_delay_alu instid0(VALU_DEP_1) | instskip(SKIP_1) | instid1(VALU_DEP_1)
	v_cndmask_b32_e64 v89, 0, v89, s4
	v_cmp_nlt_f32_e64 s4, 0x42b17218, v87
	v_cndmask_b32_e64 v177, 0x7f800000, v89, s4
	ds_bpermute_b32 v87, v185, v177
	v_cndmask_b32_e64 v85, v85, v177, s3
	v_cndmask_b32_e64 v86, v86, v177, s2
	s_waitcnt lgkmcnt(0)
	s_delay_alu instid0(VALU_DEP_1) | instskip(NEXT) | instid1(VALU_DEP_3)
	v_cndmask_b32_e32 v86, v86, v87, vcc_lo
	v_cndmask_b32_e64 v85, v85, v87, s1
	s_delay_alu instid0(VALU_DEP_2) | instskip(NEXT) | instid1(VALU_DEP_2)
	v_cvt_f16_f32_e32 v89, v86
	v_cvt_f16_f32_e32 v87, v85
	s_delay_alu instid0(VALU_DEP_1) | instskip(SKIP_1) | instid1(VALU_DEP_1)
	v_pack_b32_f16 v97, v87, v89
	v_sub_f32_e32 v87, v116, v181
	v_mul_f32_e32 v89, 0x3fb8aa3b, v87
	v_cmp_ngt_f32_e64 s4, 0xc2ce8ed0, v87
	s_delay_alu instid0(VALU_DEP_2) | instskip(SKIP_1) | instid1(VALU_DEP_1)
	v_fma_f32 v90, 0x3fb8aa3b, v87, -v89
	v_rndne_f32_e32 v98, v89
	v_dual_fmac_f32 v90, 0x32a5705f, v87 :: v_dual_sub_f32 v89, v89, v98
	s_delay_alu instid0(VALU_DEP_1) | instskip(SKIP_1) | instid1(VALU_DEP_2)
	v_add_f32_e32 v89, v89, v90
	v_cvt_i32_f32_e32 v90, v98
	v_exp_f32_e32 v89, v89
	s_waitcnt_depctr 0xfff
	v_ldexp_f32 v89, v89, v90
	s_delay_alu instid0(VALU_DEP_1) | instskip(SKIP_1) | instid1(VALU_DEP_1)
	v_cndmask_b32_e64 v89, 0, v89, s4
	v_cmp_nlt_f32_e64 s4, 0x42b17218, v87
	v_cndmask_b32_e64 v186, 0x7f800000, v89, s4
	ds_bpermute_b32 v87, v185, v186
	v_cndmask_b32_e64 v85, v85, v186, s3
	v_cndmask_b32_e64 v86, v86, v186, s2
	s_waitcnt lgkmcnt(0)
	s_delay_alu instid0(VALU_DEP_1) | instskip(NEXT) | instid1(VALU_DEP_3)
	v_cndmask_b32_e32 v86, v86, v87, vcc_lo
	v_cndmask_b32_e64 v85, v85, v87, s1
	s_delay_alu instid0(VALU_DEP_2) | instskip(NEXT) | instid1(VALU_DEP_2)
	v_cvt_f16_f32_e32 v89, v86
	v_cvt_f16_f32_e32 v87, v85
	s_delay_alu instid0(VALU_DEP_1) | instskip(SKIP_1) | instid1(VALU_DEP_1)
	v_pack_b32_f16 v98, v87, v89
	v_sub_f32_e32 v87, v88, v181
	v_mul_f32_e32 v88, 0x3fb8aa3b, v87
	v_cmp_ngt_f32_e64 s4, 0xc2ce8ed0, v87
	s_delay_alu instid0(VALU_DEP_2) | instskip(SKIP_1) | instid1(VALU_DEP_1)
	v_fma_f32 v89, 0x3fb8aa3b, v87, -v88
	v_rndne_f32_e32 v90, v88
	v_dual_fmac_f32 v89, 0x32a5705f, v87 :: v_dual_sub_f32 v88, v88, v90
	s_delay_alu instid0(VALU_DEP_1) | instskip(SKIP_1) | instid1(VALU_DEP_2)
	v_add_f32_e32 v88, v88, v89
	v_cvt_i32_f32_e32 v89, v90
	v_exp_f32_e32 v88, v88
	s_waitcnt_depctr 0xfff
	v_ldexp_f32 v88, v88, v89
	s_delay_alu instid0(VALU_DEP_1) | instskip(SKIP_1) | instid1(VALU_DEP_1)
	v_cndmask_b32_e64 v88, 0, v88, s4
	v_cmp_nlt_f32_e64 s4, 0x42b17218, v87
	v_cndmask_b32_e64 v187, 0x7f800000, v88, s4
	ds_bpermute_b32 v87, v185, v187
	v_cndmask_b32_e64 v85, v85, v187, s3
	v_cndmask_b32_e64 v86, v86, v187, s2
	s_waitcnt lgkmcnt(0)
	s_delay_alu instid0(VALU_DEP_2) | instskip(NEXT) | instid1(VALU_DEP_2)
	v_cndmask_b32_e64 v85, v85, v87, s1
	v_cndmask_b32_e32 v86, v86, v87, vcc_lo
	s_delay_alu instid0(VALU_DEP_2) | instskip(NEXT) | instid1(VALU_DEP_2)
	v_cvt_f16_f32_e32 v85, v85
	v_cvt_f16_f32_e32 v86, v86
	s_delay_alu instid0(VALU_DEP_1)
	v_pack_b32_f16 v99, v85, v86
	ds_load_2addr_b32 v[85:86], v198 offset0:192 offset1:208
	ds_load_2addr_b32 v[87:88], v198 offset0:224 offset1:244
	;; [unrolled: 1-line block ×20, first 2 shown]
	s_waitcnt lgkmcnt(18)
	v_perm_b32 v127, v88, v85, 0x5040100
	s_waitcnt lgkmcnt(16)
	v_perm_b32 v128, v101, v89, 0x5040100
	;; [unrolled: 2-line block ×8, first 2 shown]
	s_delay_alu instid0(VALU_DEP_1)
	v_wmma_f16_16x16x16_f16 v[16:23], v[127:134], v[92:99], v[16:23]
	v_add_nc_u32_e32 v129, 0x300, v214
	s_waitcnt lgkmcnt(5)
	v_perm_b32 v127, v149, v86, 0x5040100
	s_waitcnt lgkmcnt(4)
	v_perm_b32 v128, v151, v90, 0x5040100
	;; [unrolled: 2-line block ×4, first 2 shown]
	ds_load_2addr_b32 v[155:156], v129 offset0:16 offset1:224
	v_perm_b32 v133, v144, v220, 0x5040100
	s_waitcnt lgkmcnt(1)
	v_perm_b32 v134, v148, v161, 0x5040100
	s_waitcnt lgkmcnt(0)
	v_perm_b32 v129, v105, v155, 0x5040100
	v_perm_b32 v131, v157, v156, 0x5040100
	s_delay_alu instid0(VALU_DEP_1)
	v_wmma_f16_16x16x16_f16 v[8:15], v[127:134], v[92:99], v[8:15]
	v_add_nc_u32_e32 v129, 0x300, v218
	v_perm_b32 v127, v150, v87, 0x5040100
	v_perm_b32 v128, v152, v100, 0x5040100
	;; [unrolled: 1-line block ×4, first 2 shown]
	ds_load_2addr_b32 v[163:164], v129 offset0:16 offset1:224
	v_perm_b32 v133, v145, v80, 0x5040100
	v_perm_b32 v134, v81, v162, 0x5040100
	s_waitcnt lgkmcnt(0)
	v_perm_b32 v129, v137, v163, 0x5040100
	v_perm_b32 v131, v158, v164, 0x5040100
	s_delay_alu instid0(VALU_DEP_1)
	v_wmma_f16_16x16x16_f16 v[0:7], v[127:134], v[92:99], v[0:7]
	v_perm_b32 v129, v104, v102, 0x7060302
	v_perm_b32 v131, v117, v103, 0x7060302
	;; [unrolled: 1-line block ×8, first 2 shown]
	scratch_load_b64 v[200:201], off, off offset:4 ; 8-byte Folded Reload
	v_wmma_f16_16x16x16_f16 v[16:23], v[127:134], v[92:99], v[16:23] op_sel:[0,0,1]
	v_perm_b32 v133, v144, v220, 0x7060302
	v_perm_b32 v127, v149, v86, 0x7060302
	;; [unrolled: 1-line block ×8, first 2 shown]
	s_delay_alu instid0(VALU_DEP_1)
	v_wmma_f16_16x16x16_f16 v[8:15], v[127:134], v[92:99], v[8:15] op_sel:[0,0,1]
	v_perm_b32 v133, v145, v80, 0x7060302
	v_add_f32_e32 v80, v234, v235
	v_perm_b32 v127, v150, v87, 0x7060302
	v_perm_b32 v128, v152, v100, 0x7060302
	v_perm_b32 v130, v116, v154, 0x7060302
	v_perm_b32 v129, v137, v163, 0x7060302
	v_add_f32_e32 v80, v245, v80
	v_perm_b32 v131, v158, v164, 0x7060302
	v_perm_b32 v132, v160, v141, 0x7060302
	;; [unrolled: 1-line block ×3, first 2 shown]
	v_add_nc_u32_e32 v150, 0, v199
	v_add_f32_e32 v80, v248, v80
	s_delay_alu instid0(VALU_DEP_3) | instskip(NEXT) | instid1(VALU_DEP_2)
	v_wmma_f16_16x16x16_f16 v[0:7], v[127:134], v[92:99], v[0:7] op_sel:[0,0,1]
	v_add_f32_e32 v80, v249, v80
	scratch_load_b64 v[248:249], off, off offset:28 ; 8-byte Folded Reload
	v_add_f32_e32 v80, v233, v80
	scratch_load_b64 v[233:234], off, off offset:12 ; 8-byte Folded Reload
	v_add_f32_e32 v80, v254, v80
	s_delay_alu instid0(VALU_DEP_1) | instskip(NEXT) | instid1(VALU_DEP_1)
	v_add_f32_e32 v80, v91, v80
	v_add_f32_e32 v72, v72, v80
	s_delay_alu instid0(VALU_DEP_1) | instskip(NEXT) | instid1(VALU_DEP_1)
	v_dual_add_f32 v72, v73, v72 :: v_dual_mov_b32 v73, v243
	v_add_f32_e32 v72, v74, v72
	s_delay_alu instid0(VALU_DEP_1) | instskip(NEXT) | instid1(VALU_DEP_1)
	v_add_f32_e32 v72, v75, v72
	v_add_f32_e32 v72, v76, v72
	s_delay_alu instid0(VALU_DEP_1) | instskip(NEXT) | instid1(VALU_DEP_1)
	v_add_f32_e32 v72, v77, v72
	;; [unrolled: 3-line block ×5, first 2 shown]
	v_add_f32_e32 v72, v179, v72
	s_delay_alu instid0(VALU_DEP_1)
	v_add_f32_e32 v72, v192, v72
	scratch_load_b64 v[192:193], off, off offset:20 ; 8-byte Folded Reload
	s_waitcnt vmcnt(0)
	s_barrier
	buffer_gl0_inv
	v_add_f32_e32 v72, v196, v72
	s_delay_alu instid0(VALU_DEP_1) | instskip(NEXT) | instid1(VALU_DEP_1)
	v_add_f32_e32 v72, v194, v72
	v_add_f32_e32 v72, v82, v72
	s_delay_alu instid0(VALU_DEP_1) | instskip(NEXT) | instid1(VALU_DEP_1)
	v_add_f32_e32 v72, v118, v72
	;; [unrolled: 3-line block ×5, first 2 shown]
	v_fmac_f32_e32 v243, v73, v176
	s_cbranch_scc1 .LBB14_119
; %bb.120:                              ;   in Loop: Header=BB14_13 Depth=1
	s_clause 0x11
	scratch_load_b32 v177, off, off offset:156
	scratch_load_b64 v[161:162], off, off offset:148
	scratch_load_b32 v179, off, off offset:160
	scratch_load_b32 v185, off, off offset:164
	;; [unrolled: 1-line block ×3, first 2 shown]
	scratch_load_b64 v[146:147], off, off offset:172
	scratch_load_b32 v147, off, off offset:180
	scratch_load_b32 v148, off, off offset:184
	;; [unrolled: 1-line block ×12, first 2 shown]
	v_lshl_add_u32 v151, v197, 1, 0
	v_dual_mov_b32 v219, v221 :: v_dual_mov_b32 v194, 0
	v_dual_mov_b32 v220, v222 :: v_dual_mov_b32 v221, v223
	v_mov_b32_e32 v222, v224
	v_dual_mov_b32 v224, v172 :: v_dual_mov_b32 v223, v171
	s_clause 0xe
	scratch_load_b32 v171, off, off offset:228
	scratch_load_b32 v172, off, off offset:232
	;; [unrolled: 1-line block ×10, first 2 shown]
	scratch_load_b64 v[244:245], off, off offset:268
	scratch_load_b32 v245, off, off offset:276
	scratch_load_b32 v247, off, off offset:280
	;; [unrolled: 1-line block ×4, first 2 shown]
	s_waitcnt vmcnt(32)
	v_add_nc_u32_e32 v154, 60, v177
	v_add_nc_u32_e32 v155, 56, v177
	;; [unrolled: 1-line block ×7, first 2 shown]
	s_waitcnt vmcnt(31)
	v_add_nc_u32_e32 v162, 28, v177
	v_add_nc_u32_e32 v163, 20, v177
	;; [unrolled: 1-line block ×3, first 2 shown]
	v_and_b32_e32 v165, 15, v177
	v_add_nc_u32_e32 v166, 12, v177
	v_add_nc_u32_e32 v167, 32, v177
	;; [unrolled: 1-line block ×3, first 2 shown]
.LBB14_121:                             ;   in Loop: Header=BB14_13 Depth=1
	s_lshl_b32 s2, s102, 6
	s_waitcnt vmcnt(13)
	v_lshlrev_b32_e32 v74, 1, v172
	s_ashr_i32 s3, s2, 31
	v_lshlrev_b64 v[72:73], 1, v[125:126]
	s_lshl_b64 s[0:1], s[2:3], 1
	v_cmp_eq_u32_e64 s3, 1, v197
	s_add_u32 s0, s99, s0
	s_addc_u32 s1, s100, s1
	v_add_co_u32 v80, s0, s0, v74
	s_delay_alu instid0(VALU_DEP_1) | instskip(SKIP_1) | instid1(VALU_DEP_3)
	v_add_co_ci_u32_e64 v81, null, s1, 0, s0
	v_lshlrev_b64 v[74:75], 1, v[119:120]
	v_add_co_u32 v76, vcc_lo, v80, v72
	s_delay_alu instid0(VALU_DEP_3)
	v_add_co_ci_u32_e32 v77, vcc_lo, v81, v73, vcc_lo
	v_lshlrev_b64 v[72:73], 1, v[123:124]
	v_mov_b32_e32 v131, s43
	s_mul_hi_i32 s1, s12, s2
	s_mul_i32 s0, s12, s2
	v_dual_mov_b32 v128, s40 :: v_dual_mov_b32 v125, s37
	s_delay_alu instid0(VALU_DEP_3)
	v_add_co_u32 v78, vcc_lo, v80, v72
	v_add_co_ci_u32_e32 v79, vcc_lo, v81, v73, vcc_lo
	v_lshlrev_b64 v[72:73], 1, v[121:122]
	s_lshl_b64 s[0:1], s[0:1], 2
	v_mov_b32_e32 v126, s38
	s_add_u32 s0, s97, s0
	s_addc_u32 s1, s98, s1
	v_mov_b32_e32 v124, s36
	v_add_co_u32 v72, vcc_lo, v80, v72
	v_add_co_ci_u32_e32 v73, vcc_lo, v81, v73, vcc_lo
	v_add_co_u32 v74, vcc_lo, v80, v74
	v_add_co_ci_u32_e32 v75, vcc_lo, v81, v75, vcc_lo
	s_clause 0x3
	global_load_b32 v76, v[76:77], off
	global_load_b32 v77, v[78:79], off
	global_load_b32 v72, v[72:73], off
	global_load_b32 v73, v[74:75], off
	v_dual_mov_b32 v129, s41 :: v_dual_add_nc_u32 v74, v150, v228
	v_dual_mov_b32 v127, s39 :: v_dual_mov_b32 v130, s42
	s_delay_alu instid0(VALU_DEP_2)
	v_add_nc_u32_e32 v75, 0x3400, v74
	v_add_nc_u32_e32 v74, 0x3800, v74
	s_waitcnt vmcnt(2)
	ds_store_2addr_b32 v75, v76, v77 offset1:144
	s_waitcnt vmcnt(0)
	ds_store_2addr_b32 v74, v72, v73 offset0:32 offset1:176
	v_add_co_u32 v72, vcc_lo, s0, v192
	v_add_co_ci_u32_e32 v73, vcc_lo, s1, v193, vcc_lo
	s_delay_alu instid0(VALU_DEP_2) | instskip(NEXT) | instid1(VALU_DEP_2)
	v_add_co_u32 v72, vcc_lo, v72, v251
	v_add_co_ci_u32_e32 v73, vcc_lo, 0, v73, vcc_lo
	v_add_co_u32 v74, vcc_lo, s0, v106
	v_add_co_ci_u32_e32 v75, vcc_lo, s1, v107, vcc_lo
	s_delay_alu instid0(VALU_DEP_2) | instskip(NEXT) | instid1(VALU_DEP_2)
	v_add_co_u32 v76, vcc_lo, v74, v251
	v_add_co_ci_u32_e32 v77, vcc_lo, 0, v75, vcc_lo
	s_clause 0x1
	global_load_b128 v[72:75], v[72:73], off offset:128
	global_load_b128 v[76:79], v[76:77], off offset:128
	s_waitcnt vmcnt(1)
	ds_store_b128 v203, v[72:75]
	s_waitcnt vmcnt(0)
	ds_store_b128 v204, v[76:79]
	v_add_co_u32 v72, vcc_lo, s0, v108
	v_add_co_ci_u32_e32 v73, vcc_lo, s1, v109, vcc_lo
	s_delay_alu instid0(VALU_DEP_2) | instskip(NEXT) | instid1(VALU_DEP_2)
	v_add_co_u32 v72, vcc_lo, v72, v252
	v_add_co_ci_u32_e32 v73, vcc_lo, 0, v73, vcc_lo
	v_add_co_u32 v74, vcc_lo, s0, v110
	v_add_co_ci_u32_e32 v75, vcc_lo, s1, v111, vcc_lo
	s_delay_alu instid0(VALU_DEP_2) | instskip(NEXT) | instid1(VALU_DEP_2)
	v_add_co_u32 v76, vcc_lo, v74, v252
	v_add_co_ci_u32_e32 v77, vcc_lo, 0, v75, vcc_lo
	s_clause 0x1
	global_load_b128 v[72:75], v[72:73], off
	global_load_b128 v[76:79], v[76:77], off
	s_waitcnt vmcnt(1)
	ds_store_b128 v205, v[72:75]
	s_waitcnt vmcnt(0)
	ds_store_b128 v240, v[76:79]
	v_add_co_u32 v72, vcc_lo, s0, v112
	v_add_co_ci_u32_e32 v73, vcc_lo, s1, v113, vcc_lo
	s_delay_alu instid0(VALU_DEP_2) | instskip(NEXT) | instid1(VALU_DEP_2)
	v_add_co_u32 v72, vcc_lo, v72, v252
	v_add_co_ci_u32_e32 v73, vcc_lo, 0, v73, vcc_lo
	v_add_co_u32 v74, vcc_lo, s0, v114
	v_add_co_ci_u32_e32 v75, vcc_lo, s1, v115, vcc_lo
	s_mul_hi_i32 s1, s10, s2
	s_delay_alu instid0(VALU_DEP_2) | instskip(NEXT) | instid1(VALU_DEP_2)
	v_add_co_u32 v76, vcc_lo, v74, v252
	v_add_co_ci_u32_e32 v77, vcc_lo, 0, v75, vcc_lo
	s_clause 0x1
	global_load_b128 v[72:75], v[72:73], off
	global_load_b128 v[76:79], v[76:77], off
	v_cmp_lt_i32_e32 vcc_lo, v182, v183
	s_mul_i32 s0, s10, s2
	v_cmp_eq_u32_e64 s2, 0, v197
	s_lshl_b64 s[0:1], s[0:1], 2
	s_waitcnt vmcnt(1)
	ds_store_b128 v230, v[72:75]
	s_waitcnt vmcnt(0)
	ds_store_b128 v239, v[76:79]
	s_waitcnt lgkmcnt(0)
	s_waitcnt_vscnt null, 0x0
	s_barrier
	buffer_gl0_inv
	ds_load_b128 v[72:75], v253
	ds_load_b128 v[76:79], v253 offset:16
	ds_load_b128 v[80:83], v253 offset:3328
	ds_load_b128 v[84:87], v253 offset:3344
	ds_load_b128 v[88:91], v253 offset:6656
	ds_load_b128 v[92:95], v253 offset:6672
	ds_load_b128 v[116:119], v253 offset:9984
	ds_load_b128 v[120:123], v253 offset:10000
	s_add_u32 s0, s95, s0
	s_addc_u32 s1, s96, s1
	s_cmp_eq_u64 s[72:73], 0
	s_waitcnt lgkmcnt(6)
	v_wmma_f32_16x16x16_f16 v[132:139], v[72:79], v[64:71], v[124:131]
	s_waitcnt lgkmcnt(4)
	v_wmma_f32_16x16x16_f16 v[72:79], v[80:87], v[64:71], v[124:131]
	;; [unrolled: 2-line block ×4, first 2 shown]
	ds_load_b128 v[64:67], v253 offset:32
	ds_load_b128 v[68:71], v253 offset:48
	s_waitcnt lgkmcnt(0)
	v_wmma_f32_16x16x16_f16 v[132:139], v[64:71], v[48:55], v[132:139]
	ds_load_b128 v[64:67], v253 offset:3360
	ds_load_b128 v[68:71], v253 offset:3376
	s_waitcnt lgkmcnt(0)
	v_wmma_f32_16x16x16_f16 v[72:79], v[64:71], v[48:55], v[72:79]
	;; [unrolled: 4-line block ×18, first 2 shown]
	ds_load_b128 v[24:27], v253 offset:6816
	ds_load_b128 v[28:31], v253 offset:6832
	v_add_nc_u32_e32 v32, v151, v149
	s_waitcnt lgkmcnt(0)
	v_wmma_f32_16x16x16_f16 v[80:87], v[24:31], v[40:47], v[80:87]
	ds_load_b128 v[24:27], v253 offset:10144
	ds_load_b128 v[28:31], v253 offset:10160
	s_waitcnt lgkmcnt(0)
	s_barrier
	buffer_gl0_inv
	v_wmma_f32_16x16x16_f16 v[88:95], v[24:31], v[40:47], v[88:95]
	ds_load_u16 v24, v32 offset:13312
	ds_load_u16 v25, v32 offset:13316
	ds_load_u16 v26, v32 offset:13320
	ds_load_u16 v27, v32 offset:13324
	ds_load_u16 v28, v32 offset:13328
	ds_load_u16 v29, v32 offset:13332
	ds_load_u16 v30, v32 offset:13336
	ds_load_u16 v31, v32 offset:13340
	ds_load_u16 v33, v32 offset:13344
	ds_load_u16 v34, v32 offset:13348
	ds_load_u16 v35, v32 offset:13352
	ds_load_u16 v36, v32 offset:13356
	ds_load_u16 v37, v32 offset:13360
	ds_load_u16 v38, v32 offset:13364
	ds_load_u16 v39, v32 offset:13368
	ds_load_u16 v40, v32 offset:13372
	s_waitcnt lgkmcnt(15)
	v_cvt_f32_f16_e32 v24, v24
	s_waitcnt lgkmcnt(14)
	v_cvt_f32_f16_e32 v25, v25
	s_waitcnt lgkmcnt(13)
	v_cvt_f32_f16_e32 v26, v26
	s_waitcnt lgkmcnt(12)
	v_cvt_f32_f16_e32 v27, v27
	s_waitcnt lgkmcnt(11)
	v_cvt_f32_f16_e32 v28, v28
	s_waitcnt lgkmcnt(7)
	v_cvt_f32_f16_e32 v33, v33
	v_cvt_f32_f16_e32 v30, v30
	s_waitcnt lgkmcnt(6)
	v_cvt_f32_f16_e32 v34, v34
	s_waitcnt lgkmcnt(5)
	v_cvt_f32_f16_e32 v35, v35
	s_waitcnt lgkmcnt(4)
	v_cvt_f32_f16_e32 v36, v36
	s_waitcnt lgkmcnt(3)
	v_cvt_f32_f16_e32 v37, v37
	s_waitcnt lgkmcnt(2)
	v_cvt_f32_f16_e32 v38, v38
	s_waitcnt lgkmcnt(1)
	v_cvt_f32_f16_e32 v39, v39
	s_waitcnt lgkmcnt(0)
	v_cvt_f32_f16_e32 v40, v40
	v_cvt_f32_f16_e32 v29, v29
	;; [unrolled: 1-line block ×3, first 2 shown]
	v_dual_add_f32 v131, v77, v38 :: v_dual_add_f32 v24, v132, v24
	v_add_f32_e32 v25, v133, v25
	s_delay_alu instid0(VALU_DEP_4) | instskip(NEXT) | instid1(VALU_DEP_4)
	v_dual_add_f32 v29, v137, v29 :: v_dual_add_f32 v26, v134, v26
	v_add_f32_e32 v31, v139, v31
	v_dual_add_f32 v27, v135, v27 :: v_dual_add_f32 v28, v136, v28
	v_dual_add_f32 v30, v138, v30 :: v_dual_add_f32 v135, v72, v33
	;; [unrolled: 1-line block ×4, first 2 shown]
	v_add_f32_e32 v132, v76, v37
	v_add_f32_e32 v130, v78, v39
	ds_load_u16 v33, v32 offset:13376
	ds_load_u16 v34, v32 offset:13380
	;; [unrolled: 1-line block ×8, first 2 shown]
	s_waitcnt lgkmcnt(7)
	v_cvt_f32_f16_e32 v33, v33
	s_waitcnt lgkmcnt(6)
	v_cvt_f32_f16_e32 v34, v34
	;; [unrolled: 2-line block ×5, first 2 shown]
	v_add_f32_e32 v127, v80, v33
	s_waitcnt lgkmcnt(2)
	v_cvt_f32_f16_e32 v38, v38
	s_waitcnt lgkmcnt(1)
	v_cvt_f32_f16_e32 v39, v39
	;; [unrolled: 2-line block ×3, first 2 shown]
	v_add_f32_e32 v128, v81, v34
	v_dual_add_f32 v126, v82, v35 :: v_dual_add_f32 v125, v83, v36
	v_dual_add_f32 v124, v84, v37 :: v_dual_add_f32 v123, v85, v38
	v_add_f32_e32 v122, v86, v39
	ds_load_u16 v33, v32 offset:13408
	ds_load_u16 v34, v32 offset:13412
	;; [unrolled: 1-line block ×8, first 2 shown]
	v_add_f32_e32 v121, v87, v40
	s_waitcnt lgkmcnt(7)
	v_cvt_f32_f16_e32 v33, v33
	s_waitcnt lgkmcnt(6)
	v_cvt_f32_f16_e32 v34, v34
	;; [unrolled: 2-line block ×5, first 2 shown]
	v_dual_add_f32 v119, v88, v33 :: v_dual_add_f32 v120, v89, v34
	v_add_f32_e32 v33, 0x40051340, v25
	s_waitcnt lgkmcnt(0)
	v_cvt_f32_f16_e32 v32, v32
	v_cvt_f32_f16_e32 v38, v38
	v_add_f32_e32 v116, v90, v35
	v_add_f32_e32 v34, 0x40051340, v27
	;; [unrolled: 1-line block ×6, first 2 shown]
	v_cvt_f32_f16_e32 v39, v39
	v_add_f32_e32 v87, v92, v37
	s_delay_alu instid0(VALU_DEP_4) | instskip(SKIP_1) | instid1(VALU_DEP_4)
	v_max3_f32 v32, v181, v32, v33
	v_add_f32_e32 v33, 0x40051340, v26
	v_add_f32_e32 v85, v94, v39
	v_add_nc_u32_e32 v94, 0xc00, v207
	s_delay_alu instid0(VALU_DEP_3) | instskip(SKIP_1) | instid1(VALU_DEP_1)
	v_max3_f32 v32, v32, v33, v34
	v_dual_add_f32 v33, 0x40051340, v28 :: v_dual_add_f32 v34, 0x40051340, v29
	v_max3_f32 v32, v32, v33, v34
	v_dual_add_f32 v33, 0x40051340, v30 :: v_dual_add_f32 v34, 0x40051340, v31
	s_delay_alu instid0(VALU_DEP_1) | instskip(SKIP_1) | instid1(VALU_DEP_1)
	v_max3_f32 v32, v32, v33, v34
	v_dual_add_f32 v33, 0x40051340, v135 :: v_dual_add_f32 v34, 0x40051340, v136
	v_max3_f32 v32, v32, v33, v34
	v_dual_add_f32 v33, 0x40051340, v134 :: v_dual_add_f32 v34, 0x40051340, v133
	s_delay_alu instid0(VALU_DEP_1) | instskip(SKIP_1) | instid1(VALU_DEP_1)
	;; [unrolled: 5-line block ×5, first 2 shown]
	v_max3_f32 v32, v32, v33, v34
	v_dual_add_f32 v33, 0x40051340, v119 :: v_dual_add_f32 v34, 0x40051340, v120
	v_max3_f32 v32, v32, v33, v34
	v_add_f32_e32 v33, 0x40051340, v116
	v_add_f32_e32 v34, 0x40051340, v88
	s_delay_alu instid0(VALU_DEP_1) | instskip(SKIP_1) | instid1(VALU_DEP_1)
	v_max3_f32 v32, v32, v33, v34
	v_dual_add_f32 v33, 0x40051340, v87 :: v_dual_add_f32 v34, 0x40051340, v86
	v_max3_f32 v32, v32, v33, v34
	v_dual_add_f32 v33, 0x40051340, v85 :: v_dual_add_f32 v34, 0x40051340, v84
	s_delay_alu instid0(VALU_DEP_1) | instskip(SKIP_3) | instid1(VALU_DEP_1)
	v_max3_f32 v32, v32, v33, v34
	scratch_load_b32 v33, off, off offset:36 ; 4-byte Folded Reload
	s_waitcnt vmcnt(0)
	v_cndmask_b32_e32 v33, v33, v182, vcc_lo
	v_lshlrev_b32_e32 v83, 2, v33
	ds_bpermute_b32 v33, v83, v32
	s_waitcnt lgkmcnt(0)
	v_max_f32_e32 v33, v33, v33
	s_delay_alu instid0(VALU_DEP_1) | instskip(NEXT) | instid1(VALU_DEP_1)
	v_max_f32_e32 v40, v32, v33
	v_sub_f32_e32 v32, v181, v40
	s_delay_alu instid0(VALU_DEP_1)
	v_mul_f32_e32 v33, 0x3fb8aa3b, v32
	v_sub_f32_e32 v25, v25, v40
	v_cmp_ngt_f32_e32 vcc_lo, 0xc2ce8ed0, v32
	v_sub_f32_e32 v27, v27, v40
	v_sub_f32_e32 v26, v26, v40
	v_fma_f32 v34, 0x3fb8aa3b, v32, -v33
	v_rndne_f32_e32 v35, v33
	v_sub_f32_e32 v28, v28, v40
	v_sub_f32_e32 v24, v24, v40
	v_cmp_ngt_f32_e64 s4, 0xc2ce8ed0, v26
	s_delay_alu instid0(VALU_DEP_4) | instskip(NEXT) | instid1(VALU_DEP_1)
	v_dual_fmac_f32 v34, 0x32a5705f, v32 :: v_dual_sub_f32 v33, v33, v35
	v_dual_sub_f32 v30, v30, v40 :: v_dual_add_f32 v33, v33, v34
	v_cvt_i32_f32_e32 v34, v35
	s_delay_alu instid0(VALU_DEP_2) | instskip(SKIP_2) | instid1(VALU_DEP_1)
	v_exp_f32_e32 v33, v33
	s_waitcnt_depctr 0xfff
	v_ldexp_f32 v33, v33, v34
	v_cndmask_b32_e32 v33, 0, v33, vcc_lo
	v_cmp_nlt_f32_e32 vcc_lo, 0x42b17218, v32
	s_delay_alu instid0(VALU_DEP_2) | instskip(SKIP_1) | instid1(VALU_DEP_2)
	v_cndmask_b32_e32 v33, 0x7f800000, v33, vcc_lo
	v_cmp_le_f32_e32 vcc_lo, 0xc1a00000, v32
	v_cndmask_b32_e32 v137, 0, v33, vcc_lo
	s_delay_alu instid0(VALU_DEP_1) | instskip(NEXT) | instid1(VALU_DEP_1)
	v_cvt_f16_f32_e64 v32, v137
	v_pk_mul_f16 v16, v32, v16 op_sel_hi:[0,1]
	v_pk_mul_f16 v17, v32, v17 op_sel_hi:[0,1]
	;; [unrolled: 1-line block ×24, first 2 shown]
	v_add_co_u32 v32, vcc_lo, s0, v200
	v_add_co_ci_u32_e32 v33, vcc_lo, s1, v201, vcc_lo
	s_delay_alu instid0(VALU_DEP_2) | instskip(NEXT) | instid1(VALU_DEP_2)
	v_add_co_u32 v32, vcc_lo, v32, v251
	v_add_co_ci_u32_e32 v33, vcc_lo, 0, v33, vcc_lo
	v_add_co_u32 v34, vcc_lo, s0, v233
	v_add_co_ci_u32_e32 v35, vcc_lo, s1, v234, vcc_lo
	s_delay_alu instid0(VALU_DEP_2) | instskip(NEXT) | instid1(VALU_DEP_2)
	v_add_co_u32 v36, vcc_lo, v34, v251
	v_add_co_ci_u32_e32 v37, vcc_lo, 0, v35, vcc_lo
	s_clause 0x1
	global_load_b128 v[32:35], v[32:33], off offset:128
	global_load_b128 v[36:39], v[36:37], off offset:128
	s_waitcnt vmcnt(1)
	ds_store_b128 v203, v[32:35]
	s_waitcnt vmcnt(0)
	ds_store_b128 v204, v[36:39]
	v_add_co_u32 v32, vcc_lo, s0, v248
	v_add_co_ci_u32_e32 v33, vcc_lo, s1, v249, vcc_lo
	s_delay_alu instid0(VALU_DEP_2) | instskip(NEXT) | instid1(VALU_DEP_2)
	v_add_co_u32 v32, vcc_lo, v32, v252
	v_add_co_ci_u32_e32 v33, vcc_lo, 0, v33, vcc_lo
	v_add_co_u32 v34, vcc_lo, s0, v219
	v_add_co_ci_u32_e32 v35, vcc_lo, s1, v220, vcc_lo
	s_delay_alu instid0(VALU_DEP_2) | instskip(NEXT) | instid1(VALU_DEP_2)
	v_add_co_u32 v36, vcc_lo, v34, v252
	v_add_co_ci_u32_e32 v37, vcc_lo, 0, v35, vcc_lo
	s_clause 0x1
	global_load_b128 v[32:35], v[32:33], off
	global_load_b128 v[36:39], v[36:37], off
	s_waitcnt vmcnt(1)
	ds_store_b128 v205, v[32:35]
	s_waitcnt vmcnt(0)
	ds_store_b128 v240, v[36:39]
	v_add_co_u32 v32, vcc_lo, s0, v221
	v_add_co_ci_u32_e32 v33, vcc_lo, s1, v222, vcc_lo
	s_delay_alu instid0(VALU_DEP_2) | instskip(NEXT) | instid1(VALU_DEP_2)
	v_add_co_u32 v32, vcc_lo, v32, v252
	v_add_co_ci_u32_e32 v33, vcc_lo, 0, v33, vcc_lo
	v_add_co_u32 v34, vcc_lo, s0, v223
	v_add_co_ci_u32_e32 v35, vcc_lo, s1, v224, vcc_lo
	v_cmp_ngt_f32_e64 s1, 0xc2ce8ed0, v24
	s_delay_alu instid0(VALU_DEP_3) | instskip(NEXT) | instid1(VALU_DEP_3)
	v_add_co_u32 v36, vcc_lo, v34, v252
	v_add_co_ci_u32_e32 v37, vcc_lo, 0, v35, vcc_lo
	s_clause 0x1
	global_load_b128 v[32:35], v[32:33], off
	global_load_b128 v[36:39], v[36:37], off
	s_waitcnt vmcnt(1)
	ds_store_b128 v230, v[32:35]
	s_waitcnt vmcnt(0)
	ds_store_b128 v239, v[36:39]
	v_mul_f32_e32 v32, 0x3fb8aa3b, v25
	s_waitcnt lgkmcnt(0)
	s_barrier
	buffer_gl0_inv
	ds_load_2addr_b32 v[49:50], v207 offset1:16
	ds_load_2addr_b32 v[41:42], v207 offset0:32 offset1:52
	ds_load_2addr_b32 v[51:52], v207 offset0:104 offset1:120
	;; [unrolled: 1-line block ×3, first 2 shown]
	v_fma_f32 v33, 0x3fb8aa3b, v25, -v32
	v_rndne_f32_e32 v34, v32
	v_add_nc_u32_e32 v38, 0x800, v207
	s_delay_alu instid0(VALU_DEP_2) | instskip(SKIP_2) | instid1(VALU_DEP_3)
	v_dual_sub_f32 v32, v32, v34 :: v_dual_fmac_f32 v33, 0x32a5705f, v25
	v_cvt_i32_f32_e32 v34, v34
	v_cmp_ngt_f32_e32 vcc_lo, 0xc2ce8ed0, v25
	v_dual_add_f32 v32, v32, v33 :: v_dual_mul_f32 v33, 0x3fb8aa3b, v24
	s_delay_alu instid0(VALU_DEP_1) | instskip(NEXT) | instid1(VALU_DEP_1)
	v_exp_f32_e32 v32, v32
	v_fma_f32 v35, 0x3fb8aa3b, v24, -v33
	v_rndne_f32_e32 v36, v33
	s_waitcnt lgkmcnt(2)
	v_perm_b32 v67, v42, v49, 0x5040100
	s_waitcnt lgkmcnt(0)
	v_perm_b32 v68, v44, v51, 0x5040100
	v_sub_f32_e32 v33, v33, v36
	s_waitcnt_depctr 0xfff
	v_ldexp_f32 v32, v32, v34
	v_cvt_i32_f32_e32 v34, v36
	s_delay_alu instid0(VALU_DEP_2) | instskip(SKIP_1) | instid1(VALU_DEP_2)
	v_cndmask_b32_e32 v32, 0, v32, vcc_lo
	v_cmp_nlt_f32_e32 vcc_lo, 0x42b17218, v25
	v_cndmask_b32_e32 v117, 0x7f800000, v32, vcc_lo
	v_cmp_eq_u32_e32 vcc_lo, 1, v241
	v_fmac_f32_e32 v35, 0x32a5705f, v24
	v_sub_f32_e32 v29, v29, v40
	v_sub_f32_e32 v31, v31, v40
	ds_bpermute_b32 v32, v83, v117
	v_add_f32_e32 v33, v33, v35
	s_delay_alu instid0(VALU_DEP_1) | instskip(SKIP_2) | instid1(VALU_DEP_1)
	v_exp_f32_e32 v33, v33
	s_waitcnt_depctr 0xfff
	v_ldexp_f32 v33, v33, v34
	v_cndmask_b32_e64 v25, 0, v33, s1
	v_cmp_nlt_f32_e64 s1, 0x42b17218, v24
	s_delay_alu instid0(VALU_DEP_1)
	v_cndmask_b32_e64 v89, 0x7f800000, v25, s1
	v_cmp_eq_u32_e64 s1, 0, v241
	ds_bpermute_b32 v24, v83, v89
	s_waitcnt lgkmcnt(0)
	v_cndmask_b32_e64 v25, v89, v24, s1
	v_cndmask_b32_e32 v24, v89, v24, vcc_lo
	s_delay_alu instid0(VALU_DEP_2) | instskip(NEXT) | instid1(VALU_DEP_2)
	v_cndmask_b32_e64 v33, v25, v117, s2
	v_cndmask_b32_e64 v34, v24, v117, s3
	v_cvt_f16_f32_e32 v25, v25
	v_cvt_f16_f32_e32 v24, v24
	s_delay_alu instid0(VALU_DEP_4) | instskip(NEXT) | instid1(VALU_DEP_4)
	v_cndmask_b32_e64 v33, v33, v32, s1
	v_cndmask_b32_e32 v32, v34, v32, vcc_lo
	s_delay_alu instid0(VALU_DEP_3) | instskip(NEXT) | instid1(VALU_DEP_3)
	v_pack_b32_f16 v24, v25, v24
	v_cvt_f16_f32_e32 v34, v33
	s_delay_alu instid0(VALU_DEP_3) | instskip(NEXT) | instid1(VALU_DEP_1)
	v_cvt_f16_f32_e32 v35, v32
	v_pack_b32_f16 v25, v34, v35
	v_mul_f32_e32 v34, 0x3fb8aa3b, v26
	s_delay_alu instid0(VALU_DEP_1) | instskip(SKIP_1) | instid1(VALU_DEP_1)
	v_fma_f32 v35, 0x3fb8aa3b, v26, -v34
	v_rndne_f32_e32 v36, v34
	v_dual_fmac_f32 v35, 0x32a5705f, v26 :: v_dual_sub_f32 v34, v34, v36
	s_delay_alu instid0(VALU_DEP_1) | instskip(SKIP_1) | instid1(VALU_DEP_2)
	v_add_f32_e32 v34, v34, v35
	v_cvt_i32_f32_e32 v35, v36
	v_exp_f32_e32 v34, v34
	s_waitcnt_depctr 0xfff
	v_ldexp_f32 v34, v34, v35
	s_delay_alu instid0(VALU_DEP_1) | instskip(SKIP_1) | instid1(VALU_DEP_1)
	v_cndmask_b32_e64 v34, 0, v34, s4
	v_cmp_nlt_f32_e64 s4, 0x42b17218, v26
	v_cndmask_b32_e64 v138, 0x7f800000, v34, s4
	v_cmp_ngt_f32_e64 s4, 0xc2ce8ed0, v27
	s_delay_alu instid0(VALU_DEP_2) | instskip(SKIP_4) | instid1(VALU_DEP_2)
	v_cndmask_b32_e64 v26, v33, v138, s2
	ds_bpermute_b32 v33, v83, v138
	v_cndmask_b32_e64 v32, v32, v138, s3
	s_waitcnt lgkmcnt(0)
	v_cndmask_b32_e64 v34, v26, v33, s1
	v_cndmask_b32_e32 v32, v32, v33, vcc_lo
	s_delay_alu instid0(VALU_DEP_2) | instskip(NEXT) | instid1(VALU_DEP_2)
	v_cvt_f16_f32_e32 v26, v34
	v_cvt_f16_f32_e32 v33, v32
	s_delay_alu instid0(VALU_DEP_1) | instskip(SKIP_1) | instid1(VALU_DEP_1)
	v_pack_b32_f16 v26, v26, v33
	v_mul_f32_e32 v33, 0x3fb8aa3b, v27
	v_fma_f32 v35, 0x3fb8aa3b, v27, -v33
	v_rndne_f32_e32 v36, v33
	s_delay_alu instid0(VALU_DEP_2) | instskip(NEXT) | instid1(VALU_DEP_2)
	v_fmac_f32_e32 v35, 0x32a5705f, v27
	v_sub_f32_e32 v33, v33, v36
	s_delay_alu instid0(VALU_DEP_1) | instskip(SKIP_1) | instid1(VALU_DEP_2)
	v_add_f32_e32 v33, v33, v35
	v_cvt_i32_f32_e32 v35, v36
	v_exp_f32_e32 v33, v33
	s_waitcnt_depctr 0xfff
	v_ldexp_f32 v33, v33, v35
	s_delay_alu instid0(VALU_DEP_1) | instskip(SKIP_1) | instid1(VALU_DEP_1)
	v_cndmask_b32_e64 v33, 0, v33, s4
	v_cmp_nlt_f32_e64 s4, 0x42b17218, v27
	v_cndmask_b32_e64 v139, 0x7f800000, v33, s4
	ds_bpermute_b32 v33, v83, v139
	v_cndmask_b32_e64 v27, v34, v139, s2
	v_cndmask_b32_e64 v32, v32, v139, s3
	s_waitcnt lgkmcnt(0)
	s_delay_alu instid0(VALU_DEP_2) | instskip(NEXT) | instid1(VALU_DEP_2)
	v_cndmask_b32_e64 v34, v27, v33, s1
	v_cndmask_b32_e32 v32, v32, v33, vcc_lo
	s_delay_alu instid0(VALU_DEP_2) | instskip(NEXT) | instid1(VALU_DEP_2)
	v_cvt_f16_f32_e32 v27, v34
	v_cvt_f16_f32_e32 v33, v32
	s_delay_alu instid0(VALU_DEP_1) | instskip(SKIP_1) | instid1(VALU_DEP_1)
	v_pack_b32_f16 v27, v27, v33
	v_mul_f32_e32 v33, 0x3fb8aa3b, v28
	v_fma_f32 v35, 0x3fb8aa3b, v28, -v33
	v_rndne_f32_e32 v36, v33
	s_delay_alu instid0(VALU_DEP_2) | instskip(NEXT) | instid1(VALU_DEP_2)
	v_fmac_f32_e32 v35, 0x32a5705f, v28
	v_sub_f32_e32 v33, v33, v36
	s_delay_alu instid0(VALU_DEP_1) | instskip(SKIP_2) | instid1(VALU_DEP_3)
	v_add_f32_e32 v33, v33, v35
	v_cvt_i32_f32_e32 v35, v36
	v_cmp_ngt_f32_e64 s4, 0xc2ce8ed0, v28
	v_exp_f32_e32 v33, v33
	s_waitcnt_depctr 0xfff
	v_ldexp_f32 v33, v33, v35
	s_delay_alu instid0(VALU_DEP_1) | instskip(SKIP_1) | instid1(VALU_DEP_1)
	v_cndmask_b32_e64 v33, 0, v33, s4
	v_cmp_nlt_f32_e64 s4, 0x42b17218, v28
	v_cndmask_b32_e64 v140, 0x7f800000, v33, s4
	v_cmp_ngt_f32_e64 s4, 0xc2ce8ed0, v29
	ds_bpermute_b32 v33, v83, v140
	v_cndmask_b32_e64 v28, v34, v140, s2
	v_cndmask_b32_e64 v32, v32, v140, s3
	s_waitcnt lgkmcnt(0)
	s_delay_alu instid0(VALU_DEP_2) | instskip(NEXT) | instid1(VALU_DEP_2)
	v_cndmask_b32_e64 v34, v28, v33, s1
	v_cndmask_b32_e32 v32, v32, v33, vcc_lo
	s_delay_alu instid0(VALU_DEP_2) | instskip(NEXT) | instid1(VALU_DEP_2)
	v_cvt_f16_f32_e32 v28, v34
	v_cvt_f16_f32_e32 v33, v32
	s_delay_alu instid0(VALU_DEP_1) | instskip(SKIP_1) | instid1(VALU_DEP_1)
	v_pack_b32_f16 v28, v28, v33
	v_mul_f32_e32 v33, 0x3fb8aa3b, v29
	v_fma_f32 v35, 0x3fb8aa3b, v29, -v33
	v_rndne_f32_e32 v36, v33
	s_delay_alu instid0(VALU_DEP_2) | instskip(NEXT) | instid1(VALU_DEP_2)
	v_fmac_f32_e32 v35, 0x32a5705f, v29
	v_sub_f32_e32 v33, v33, v36
	s_delay_alu instid0(VALU_DEP_1) | instskip(SKIP_1) | instid1(VALU_DEP_2)
	v_add_f32_e32 v33, v33, v35
	v_cvt_i32_f32_e32 v35, v36
	v_exp_f32_e32 v33, v33
	s_waitcnt_depctr 0xfff
	v_ldexp_f32 v33, v33, v35
	s_delay_alu instid0(VALU_DEP_1) | instskip(SKIP_1) | instid1(VALU_DEP_1)
	v_cndmask_b32_e64 v33, 0, v33, s4
	v_cmp_nlt_f32_e64 s4, 0x42b17218, v29
	v_cndmask_b32_e64 v141, 0x7f800000, v33, s4
	v_cmp_ngt_f32_e64 s4, 0xc2ce8ed0, v30
	ds_bpermute_b32 v33, v83, v141
	v_cndmask_b32_e64 v29, v34, v141, s2
	v_cndmask_b32_e64 v32, v32, v141, s3
	s_waitcnt lgkmcnt(0)
	s_delay_alu instid0(VALU_DEP_2) | instskip(NEXT) | instid1(VALU_DEP_2)
	v_cndmask_b32_e64 v34, v29, v33, s1
	v_cndmask_b32_e32 v32, v32, v33, vcc_lo
	s_delay_alu instid0(VALU_DEP_2) | instskip(NEXT) | instid1(VALU_DEP_2)
	v_cvt_f16_f32_e32 v29, v34
	v_cvt_f16_f32_e32 v33, v32
	s_delay_alu instid0(VALU_DEP_1) | instskip(SKIP_1) | instid1(VALU_DEP_1)
	v_pack_b32_f16 v29, v29, v33
	v_mul_f32_e32 v33, 0x3fb8aa3b, v30
	v_fma_f32 v35, 0x3fb8aa3b, v30, -v33
	v_rndne_f32_e32 v36, v33
	s_delay_alu instid0(VALU_DEP_2) | instskip(NEXT) | instid1(VALU_DEP_2)
	v_fmac_f32_e32 v35, 0x32a5705f, v30
	v_sub_f32_e32 v33, v33, v36
	s_delay_alu instid0(VALU_DEP_1) | instskip(SKIP_1) | instid1(VALU_DEP_2)
	v_add_f32_e32 v33, v33, v35
	v_cvt_i32_f32_e32 v35, v36
	v_exp_f32_e32 v33, v33
	s_waitcnt_depctr 0xfff
	v_ldexp_f32 v33, v33, v35
	s_delay_alu instid0(VALU_DEP_1) | instskip(SKIP_1) | instid1(VALU_DEP_1)
	v_cndmask_b32_e64 v33, 0, v33, s4
	v_cmp_nlt_f32_e64 s4, 0x42b17218, v30
	v_cndmask_b32_e64 v142, 0x7f800000, v33, s4
	v_cmp_ngt_f32_e64 s4, 0xc2ce8ed0, v31
	ds_bpermute_b32 v33, v83, v142
	v_cndmask_b32_e64 v30, v34, v142, s2
	v_cndmask_b32_e64 v32, v32, v142, s3
	s_waitcnt lgkmcnt(0)
	s_delay_alu instid0(VALU_DEP_2) | instskip(NEXT) | instid1(VALU_DEP_2)
	v_cndmask_b32_e64 v34, v30, v33, s1
	v_cndmask_b32_e32 v32, v32, v33, vcc_lo
	s_delay_alu instid0(VALU_DEP_2) | instskip(NEXT) | instid1(VALU_DEP_2)
	v_cvt_f16_f32_e32 v30, v34
	v_cvt_f16_f32_e32 v33, v32
	s_delay_alu instid0(VALU_DEP_1) | instskip(SKIP_1) | instid1(VALU_DEP_1)
	v_pack_b32_f16 v30, v30, v33
	v_mul_f32_e32 v33, 0x3fb8aa3b, v31
	v_fma_f32 v35, 0x3fb8aa3b, v31, -v33
	v_rndne_f32_e32 v36, v33
	s_delay_alu instid0(VALU_DEP_2) | instskip(NEXT) | instid1(VALU_DEP_2)
	v_fmac_f32_e32 v35, 0x32a5705f, v31
	v_sub_f32_e32 v33, v33, v36
	s_delay_alu instid0(VALU_DEP_1) | instskip(SKIP_2) | instid1(VALU_DEP_3)
	v_add_f32_e32 v33, v33, v35
	v_cvt_i32_f32_e32 v35, v36
	v_add_nc_u32_e32 v36, 0x400, v207
	v_exp_f32_e32 v33, v33
	s_waitcnt_depctr 0xfff
	v_ldexp_f32 v33, v33, v35
	s_delay_alu instid0(VALU_DEP_1) | instskip(SKIP_1) | instid1(VALU_DEP_1)
	v_cndmask_b32_e64 v33, 0, v33, s4
	v_cmp_nlt_f32_e64 s4, 0x42b17218, v31
	v_cndmask_b32_e64 v90, 0x7f800000, v33, s4
	ds_bpermute_b32 v33, v83, v90
	v_cndmask_b32_e64 v31, v34, v90, s2
	v_cndmask_b32_e64 v32, v32, v90, s3
	v_add_nc_u32_e32 v34, 0x300, v211
	s_waitcnt lgkmcnt(0)
	s_delay_alu instid0(VALU_DEP_3) | instskip(NEXT) | instid1(VALU_DEP_3)
	v_cndmask_b32_e64 v31, v31, v33, s1
	v_cndmask_b32_e32 v32, v32, v33, vcc_lo
	s_delay_alu instid0(VALU_DEP_2) | instskip(NEXT) | instid1(VALU_DEP_2)
	v_cvt_f16_f32_e32 v31, v31
	v_cvt_f16_f32_e32 v32, v32
	s_delay_alu instid0(VALU_DEP_1)
	v_pack_b32_f16 v31, v31, v32
	v_add_nc_u32_e32 v32, 0x200, v207
	ds_load_2addr_b32 v[59:60], v32 offset0:80 offset1:132
	v_add_nc_u32_e32 v32, 0xa00, v207
	ds_load_2addr_b32 v[55:56], v36 offset0:56 offset1:72
	ds_load_2addr_b32 v[45:46], v36 offset0:88 offset1:108
	;; [unrolled: 1-line block ×8, first 2 shown]
	s_waitcnt lgkmcnt(8)
	v_perm_b32 v69, v60, v59, 0x5040100
	s_waitcnt lgkmcnt(6)
	v_perm_b32 v70, v46, v55, 0x5040100
	;; [unrolled: 2-line block ×6, first 2 shown]
	s_delay_alu instid0(VALU_DEP_1)
	v_wmma_f16_16x16x16_f16 v[16:23], v[67:74], v[24:31], v[16:23]
	ds_load_2addr_b32 v[67:68], v207 offset0:68 offset1:84
	ds_load_2addr_b32 v[69:70], v207 offset0:172 offset1:188
	;; [unrolled: 1-line block ×8, first 2 shown]
	ds_load_b32 v91, v211 offset:2496
	ds_load_b32 v118, v212 offset:2496
	;; [unrolled: 1-line block ×5, first 2 shown]
	ds_load_2addr_b32 v[92:93], v94 offset0:28 offset1:44
	s_waitcnt lgkmcnt(13)
	v_perm_b32 v32, v67, v50, 0x5040100
	s_waitcnt lgkmcnt(12)
	v_perm_b32 v33, v69, v52, 0x5040100
	;; [unrolled: 2-line block ×8, first 2 shown]
	s_delay_alu instid0(VALU_DEP_1)
	v_wmma_f16_16x16x16_f16 v[8:15], v[32:39], v[24:31], v[8:15]
	v_perm_b32 v34, v60, v59, 0x7060302
	v_perm_b32 v36, v62, v61, 0x7060302
	;; [unrolled: 1-line block ×12, first 2 shown]
	v_wmma_f16_16x16x16_f16 v[16:23], v[32:39], v[24:31], v[16:23] op_sel:[0,0,1]
	v_perm_b32 v32, v67, v50, 0x7060302
	v_perm_b32 v33, v69, v52, 0x7060302
	v_perm_b32 v35, v73, v56, 0x7060302
	v_perm_b32 v34, v71, v81, 0x7060302
	v_perm_b32 v36, v75, v82, 0x7060302
	v_perm_b32 v37, v77, v58, 0x7060302
	v_perm_b32 v39, v92, v66, 0x7060302
	v_perm_b32 v38, v79, v91, 0x7060302
	v_perm_b32 v61, v93, v53, 0x5040100
	v_perm_b32 v41, v68, v41, 0x7060302
	v_perm_b32 v42, v70, v43, 0x7060302
	v_perm_b32 v44, v74, v45, 0x7060302
	v_wmma_f16_16x16x16_f16 v[8:15], v[32:39], v[24:31], v[8:15] op_sel:[0,0,1]
	v_add_nc_u32_e32 v32, 0x300, v215
	v_perm_b32 v46, v78, v47, 0x7060302
	v_perm_b32 v48, v93, v53, 0x7060302
	v_add_nc_u32_e32 v91, 0x1400, v207
	v_add_nc_u32_e32 v93, 0x1800, v207
	ds_load_2addr_b32 v[35:36], v32 offset0:16 offset1:224
	ds_load_b32 v33, v215 offset:2496
	ds_load_b32 v81, v216 offset:2496
	;; [unrolled: 1-line block ×4, first 2 shown]
	v_add_nc_u32_e32 v82, 0x1000, v207
	s_waitcnt lgkmcnt(3)
	v_perm_b32 v60, v80, v33, 0x5040100
	v_perm_b32 v47, v80, v33, 0x7060302
	;; [unrolled: 1-line block ×6, first 2 shown]
	s_delay_alu instid0(VALU_DEP_3) | instskip(NEXT) | instid1(VALU_DEP_1)
	v_wmma_f16_16x16x16_f16 v[0:7], v[54:61], v[24:31], v[0:7]
	v_wmma_f16_16x16x16_f16 v[0:7], v[41:48], v[24:31], v[0:7] op_sel:[0,0,1]
	v_sub_f32_e32 v24, v136, v40
	s_delay_alu instid0(VALU_DEP_1) | instskip(SKIP_1) | instid1(VALU_DEP_2)
	v_mul_f32_e32 v25, 0x3fb8aa3b, v24
	v_cmp_ngt_f32_e64 s4, 0xc2ce8ed0, v24
	v_fma_f32 v26, 0x3fb8aa3b, v24, -v25
	v_rndne_f32_e32 v27, v25
	s_delay_alu instid0(VALU_DEP_1) | instskip(SKIP_1) | instid1(VALU_DEP_2)
	v_dual_fmac_f32 v26, 0x32a5705f, v24 :: v_dual_sub_f32 v25, v25, v27
	v_cvt_i32_f32_e32 v27, v27
	v_dual_add_f32 v25, v25, v26 :: v_dual_sub_f32 v26, v135, v40
	s_delay_alu instid0(VALU_DEP_1) | instskip(NEXT) | instid1(VALU_DEP_1)
	v_exp_f32_e32 v25, v25
	v_mul_f32_e32 v28, 0x3fb8aa3b, v26
	v_cmp_ngt_f32_e64 s5, 0xc2ce8ed0, v26
	s_delay_alu instid0(VALU_DEP_2)
	v_fma_f32 v29, 0x3fb8aa3b, v26, -v28
	v_rndne_f32_e32 v30, v28
	s_waitcnt_depctr 0xfff
	v_ldexp_f32 v25, v25, v27
	v_fmac_f32_e32 v29, 0x32a5705f, v26
	v_sub_f32_e32 v28, v28, v30
	s_delay_alu instid0(VALU_DEP_3) | instskip(SKIP_1) | instid1(VALU_DEP_3)
	v_cndmask_b32_e64 v25, 0, v25, s4
	v_cmp_nlt_f32_e64 s4, 0x42b17218, v24
	v_add_f32_e32 v28, v28, v29
	s_delay_alu instid0(VALU_DEP_2) | instskip(NEXT) | instid1(VALU_DEP_2)
	v_cndmask_b32_e64 v25, 0x7f800000, v25, s4
	v_exp_f32_e32 v27, v28
	v_cvt_i32_f32_e32 v28, v30
	s_waitcnt_depctr 0xfff
	v_ldexp_f32 v27, v27, v28
	ds_bpermute_b32 v28, v83, v25
	v_cndmask_b32_e64 v24, 0, v27, s5
	v_cmp_nlt_f32_e64 s5, 0x42b17218, v26
	s_delay_alu instid0(VALU_DEP_1) | instskip(SKIP_4) | instid1(VALU_DEP_2)
	v_cndmask_b32_e64 v24, 0x7f800000, v24, s5
	ds_bpermute_b32 v26, v83, v24
	s_waitcnt lgkmcnt(0)
	v_cndmask_b32_e64 v27, v24, v26, s1
	v_cndmask_b32_e32 v26, v24, v26, vcc_lo
	v_cndmask_b32_e64 v29, v27, v25, s2
	s_delay_alu instid0(VALU_DEP_2) | instskip(SKIP_2) | instid1(VALU_DEP_4)
	v_cndmask_b32_e64 v30, v26, v25, s3
	v_cvt_f16_f32_e32 v27, v27
	v_cvt_f16_f32_e32 v26, v26
	v_cndmask_b32_e64 v29, v29, v28, s1
	s_delay_alu instid0(VALU_DEP_4) | instskip(NEXT) | instid1(VALU_DEP_3)
	v_cndmask_b32_e32 v28, v30, v28, vcc_lo
	v_pack_b32_f16 v41, v27, v26
	v_sub_f32_e32 v26, v134, v40
	s_delay_alu instid0(VALU_DEP_4) | instskip(NEXT) | instid1(VALU_DEP_4)
	v_cvt_f16_f32_e32 v30, v29
	v_cvt_f16_f32_e32 v31, v28
	s_delay_alu instid0(VALU_DEP_3) | instskip(SKIP_1) | instid1(VALU_DEP_3)
	v_mul_f32_e32 v27, 0x3fb8aa3b, v26
	v_cmp_ngt_f32_e64 s4, 0xc2ce8ed0, v26
	v_pack_b32_f16 v42, v30, v31
	s_delay_alu instid0(VALU_DEP_3) | instskip(SKIP_1) | instid1(VALU_DEP_1)
	v_fma_f32 v30, 0x3fb8aa3b, v26, -v27
	v_rndne_f32_e32 v31, v27
	v_dual_fmac_f32 v30, 0x32a5705f, v26 :: v_dual_sub_f32 v27, v27, v31
	s_delay_alu instid0(VALU_DEP_1) | instskip(SKIP_1) | instid1(VALU_DEP_2)
	v_add_f32_e32 v27, v27, v30
	v_cvt_i32_f32_e32 v30, v31
	v_exp_f32_e32 v27, v27
	s_waitcnt_depctr 0xfff
	v_ldexp_f32 v27, v27, v30
	s_delay_alu instid0(VALU_DEP_1) | instskip(SKIP_1) | instid1(VALU_DEP_1)
	v_cndmask_b32_e64 v27, 0, v27, s4
	v_cmp_nlt_f32_e64 s4, 0x42b17218, v26
	v_cndmask_b32_e64 v26, 0x7f800000, v27, s4
	s_delay_alu instid0(VALU_DEP_1) | instskip(SKIP_4) | instid1(VALU_DEP_2)
	v_cndmask_b32_e64 v27, v29, v26, s2
	ds_bpermute_b32 v29, v83, v26
	v_cndmask_b32_e64 v28, v28, v26, s3
	s_waitcnt lgkmcnt(0)
	v_cndmask_b32_e64 v30, v27, v29, s1
	v_cndmask_b32_e32 v28, v28, v29, vcc_lo
	s_delay_alu instid0(VALU_DEP_2) | instskip(NEXT) | instid1(VALU_DEP_2)
	v_cvt_f16_f32_e32 v27, v30
	v_cvt_f16_f32_e32 v29, v28
	s_delay_alu instid0(VALU_DEP_1) | instskip(SKIP_1) | instid1(VALU_DEP_1)
	v_pack_b32_f16 v43, v27, v29
	v_sub_f32_e32 v27, v133, v40
	v_mul_f32_e32 v29, 0x3fb8aa3b, v27
	v_cmp_ngt_f32_e64 s4, 0xc2ce8ed0, v27
	s_delay_alu instid0(VALU_DEP_2) | instskip(SKIP_1) | instid1(VALU_DEP_2)
	v_fma_f32 v31, 0x3fb8aa3b, v27, -v29
	v_rndne_f32_e32 v33, v29
	v_fmac_f32_e32 v31, 0x32a5705f, v27
	s_delay_alu instid0(VALU_DEP_2) | instskip(NEXT) | instid1(VALU_DEP_1)
	v_sub_f32_e32 v29, v29, v33
	v_add_f32_e32 v29, v29, v31
	v_cvt_i32_f32_e32 v31, v33
	s_delay_alu instid0(VALU_DEP_2) | instskip(SKIP_2) | instid1(VALU_DEP_1)
	v_exp_f32_e32 v29, v29
	s_waitcnt_depctr 0xfff
	v_ldexp_f32 v29, v29, v31
	v_cndmask_b32_e64 v29, 0, v29, s4
	v_cmp_nlt_f32_e64 s4, 0x42b17218, v27
	s_delay_alu instid0(VALU_DEP_1) | instskip(NEXT) | instid1(VALU_DEP_1)
	v_cndmask_b32_e64 v27, 0x7f800000, v29, s4
	v_cndmask_b32_e64 v29, v30, v27, s2
	ds_bpermute_b32 v30, v83, v27
	v_cndmask_b32_e64 v28, v28, v27, s3
	s_waitcnt lgkmcnt(0)
	v_cndmask_b32_e64 v29, v29, v30, s1
	s_delay_alu instid0(VALU_DEP_2) | instskip(NEXT) | instid1(VALU_DEP_2)
	v_cndmask_b32_e32 v30, v28, v30, vcc_lo
	v_cvt_f16_f32_e32 v28, v29
	s_delay_alu instid0(VALU_DEP_2) | instskip(NEXT) | instid1(VALU_DEP_1)
	v_cvt_f16_f32_e32 v31, v30
	v_pack_b32_f16 v44, v28, v31
	v_sub_f32_e32 v28, v132, v40
	s_delay_alu instid0(VALU_DEP_1) | instskip(SKIP_1) | instid1(VALU_DEP_2)
	v_mul_f32_e32 v31, 0x3fb8aa3b, v28
	v_cmp_ngt_f32_e64 s4, 0xc2ce8ed0, v28
	v_fma_f32 v33, 0x3fb8aa3b, v28, -v31
	v_rndne_f32_e32 v35, v31
	s_delay_alu instid0(VALU_DEP_2) | instskip(NEXT) | instid1(VALU_DEP_2)
	v_fmac_f32_e32 v33, 0x32a5705f, v28
	v_sub_f32_e32 v31, v31, v35
	s_delay_alu instid0(VALU_DEP_1) | instskip(SKIP_1) | instid1(VALU_DEP_2)
	v_add_f32_e32 v31, v31, v33
	v_cvt_i32_f32_e32 v33, v35
	v_exp_f32_e32 v31, v31
	s_waitcnt_depctr 0xfff
	v_ldexp_f32 v31, v31, v33
	s_delay_alu instid0(VALU_DEP_1) | instskip(SKIP_1) | instid1(VALU_DEP_1)
	v_cndmask_b32_e64 v31, 0, v31, s4
	v_cmp_nlt_f32_e64 s4, 0x42b17218, v28
	v_cndmask_b32_e64 v28, 0x7f800000, v31, s4
	ds_bpermute_b32 v31, v83, v28
	v_cndmask_b32_e64 v29, v29, v28, s2
	v_cndmask_b32_e64 v30, v30, v28, s3
	s_waitcnt lgkmcnt(0)
	s_delay_alu instid0(VALU_DEP_2) | instskip(NEXT) | instid1(VALU_DEP_2)
	v_cndmask_b32_e64 v33, v29, v31, s1
	v_cndmask_b32_e32 v30, v30, v31, vcc_lo
	s_delay_alu instid0(VALU_DEP_2) | instskip(NEXT) | instid1(VALU_DEP_2)
	v_cvt_f16_f32_e32 v29, v33
	v_cvt_f16_f32_e32 v31, v30
	s_delay_alu instid0(VALU_DEP_1) | instskip(SKIP_1) | instid1(VALU_DEP_1)
	v_pack_b32_f16 v45, v29, v31
	v_sub_f32_e32 v29, v131, v40
	v_mul_f32_e32 v31, 0x3fb8aa3b, v29
	v_cmp_ngt_f32_e64 s4, 0xc2ce8ed0, v29
	s_delay_alu instid0(VALU_DEP_2) | instskip(SKIP_1) | instid1(VALU_DEP_2)
	v_fma_f32 v35, 0x3fb8aa3b, v29, -v31
	v_rndne_f32_e32 v36, v31
	v_fmac_f32_e32 v35, 0x32a5705f, v29
	s_delay_alu instid0(VALU_DEP_2) | instskip(NEXT) | instid1(VALU_DEP_1)
	v_sub_f32_e32 v31, v31, v36
	v_add_f32_e32 v31, v31, v35
	v_cvt_i32_f32_e32 v35, v36
	s_delay_alu instid0(VALU_DEP_2) | instskip(SKIP_2) | instid1(VALU_DEP_1)
	v_exp_f32_e32 v31, v31
	s_waitcnt_depctr 0xfff
	v_ldexp_f32 v31, v31, v35
	v_cndmask_b32_e64 v31, 0, v31, s4
	v_cmp_nlt_f32_e64 s4, 0x42b17218, v29
	s_delay_alu instid0(VALU_DEP_1) | instskip(NEXT) | instid1(VALU_DEP_1)
	v_cndmask_b32_e64 v29, 0x7f800000, v31, s4
	v_cndmask_b32_e64 v31, v33, v29, s2
	ds_bpermute_b32 v33, v83, v29
	v_cndmask_b32_e64 v30, v30, v29, s3
	s_waitcnt lgkmcnt(0)
	v_cndmask_b32_e64 v31, v31, v33, s1
	s_delay_alu instid0(VALU_DEP_2) | instskip(NEXT) | instid1(VALU_DEP_2)
	v_cndmask_b32_e32 v33, v30, v33, vcc_lo
	v_cvt_f16_f32_e32 v30, v31
	s_delay_alu instid0(VALU_DEP_2) | instskip(NEXT) | instid1(VALU_DEP_1)
	v_cvt_f16_f32_e32 v35, v33
	v_pack_b32_f16 v46, v30, v35
	v_sub_f32_e32 v30, v130, v40
	s_delay_alu instid0(VALU_DEP_1) | instskip(SKIP_1) | instid1(VALU_DEP_2)
	v_mul_f32_e32 v35, 0x3fb8aa3b, v30
	v_cmp_ngt_f32_e64 s4, 0xc2ce8ed0, v30
	v_fma_f32 v36, 0x3fb8aa3b, v30, -v35
	v_rndne_f32_e32 v37, v35
	s_delay_alu instid0(VALU_DEP_1) | instskip(NEXT) | instid1(VALU_DEP_1)
	v_dual_fmac_f32 v36, 0x32a5705f, v30 :: v_dual_sub_f32 v35, v35, v37
	v_add_f32_e32 v35, v35, v36
	v_cvt_i32_f32_e32 v36, v37
	s_delay_alu instid0(VALU_DEP_2) | instskip(SKIP_2) | instid1(VALU_DEP_1)
	v_exp_f32_e32 v35, v35
	s_waitcnt_depctr 0xfff
	v_ldexp_f32 v35, v35, v36
	v_cndmask_b32_e64 v35, 0, v35, s4
	v_cmp_nlt_f32_e64 s4, 0x42b17218, v30
	s_delay_alu instid0(VALU_DEP_1) | instskip(SKIP_4) | instid1(VALU_DEP_2)
	v_cndmask_b32_e64 v30, 0x7f800000, v35, s4
	ds_bpermute_b32 v35, v83, v30
	v_cndmask_b32_e64 v31, v31, v30, s2
	v_cndmask_b32_e64 v33, v33, v30, s3
	s_waitcnt lgkmcnt(0)
	v_cndmask_b32_e64 v36, v31, v35, s1
	s_delay_alu instid0(VALU_DEP_2) | instskip(NEXT) | instid1(VALU_DEP_2)
	v_cndmask_b32_e32 v33, v33, v35, vcc_lo
	v_cvt_f16_f32_e32 v31, v36
	s_delay_alu instid0(VALU_DEP_2) | instskip(NEXT) | instid1(VALU_DEP_1)
	v_cvt_f16_f32_e32 v35, v33
	v_pack_b32_f16 v47, v31, v35
	v_sub_f32_e32 v31, v129, v40
	s_delay_alu instid0(VALU_DEP_1) | instskip(SKIP_1) | instid1(VALU_DEP_2)
	v_mul_f32_e32 v35, 0x3fb8aa3b, v31
	v_cmp_ngt_f32_e64 s4, 0xc2ce8ed0, v31
	v_fma_f32 v37, 0x3fb8aa3b, v31, -v35
	v_rndne_f32_e32 v38, v35
	s_delay_alu instid0(VALU_DEP_2) | instskip(NEXT) | instid1(VALU_DEP_2)
	v_fmac_f32_e32 v37, 0x32a5705f, v31
	v_sub_f32_e32 v35, v35, v38
	s_delay_alu instid0(VALU_DEP_1) | instskip(SKIP_1) | instid1(VALU_DEP_2)
	v_add_f32_e32 v35, v35, v37
	v_cvt_i32_f32_e32 v37, v38
	v_exp_f32_e32 v35, v35
	s_waitcnt_depctr 0xfff
	v_ldexp_f32 v35, v35, v37
	s_delay_alu instid0(VALU_DEP_1) | instskip(SKIP_1) | instid1(VALU_DEP_1)
	v_cndmask_b32_e64 v35, 0, v35, s4
	v_cmp_nlt_f32_e64 s4, 0x42b17218, v31
	v_cndmask_b32_e64 v31, 0x7f800000, v35, s4
	s_delay_alu instid0(VALU_DEP_1) | instskip(SKIP_4) | instid1(VALU_DEP_2)
	v_cndmask_b32_e64 v35, v36, v31, s2
	ds_bpermute_b32 v36, v83, v31
	v_cndmask_b32_e64 v33, v33, v31, s3
	s_waitcnt lgkmcnt(0)
	v_cndmask_b32_e64 v35, v35, v36, s1
	v_cndmask_b32_e32 v33, v33, v36, vcc_lo
	s_delay_alu instid0(VALU_DEP_2) | instskip(NEXT) | instid1(VALU_DEP_2)
	v_cvt_f16_f32_e32 v35, v35
	v_cvt_f16_f32_e32 v33, v33
	s_delay_alu instid0(VALU_DEP_1)
	v_pack_b32_f16 v48, v35, v33
	v_add_nc_u32_e32 v33, 0x300, v208
	ds_load_2addr_b32 v[35:36], v94 offset0:64 offset1:80
	ds_load_2addr_b32 v[37:38], v94 offset0:96 offset1:116
	;; [unrolled: 1-line block ×6, first 2 shown]
	v_add_nc_u32_e32 v33, 0x1200, v207
	ds_load_2addr_b32 v[65:66], v82 offset0:100 offset1:120
	ds_load_2addr_b32 v[67:68], v82 offset0:172 offset1:188
	;; [unrolled: 1-line block ×5, first 2 shown]
	ds_load_b32 v92, v209 offset:2496
	ds_load_b32 v39, v208 offset:2496
	;; [unrolled: 1-line block ×3, first 2 shown]
	ds_load_2addr_b32 v[75:76], v91 offset0:228 offset1:244
	ds_load_2addr_b32 v[77:78], v93 offset0:4 offset1:24
	;; [unrolled: 1-line block ×3, first 2 shown]
	s_waitcnt lgkmcnt(15)
	v_perm_b32 v49, v38, v35, 0x5040100
	s_waitcnt lgkmcnt(13)
	v_perm_b32 v50, v60, v57, 0x5040100
	;; [unrolled: 2-line block ×8, first 2 shown]
	s_delay_alu instid0(VALU_DEP_1)
	v_wmma_f16_16x16x16_f16 v[16:23], v[49:56], v[41:48], v[16:23]
	v_perm_b32 v49, v38, v35, 0x7060302
	v_add_nc_u32_e32 v35, 0x300, v212
	v_perm_b32 v51, v63, v61, 0x7060302
	v_perm_b32 v53, v70, v62, 0x7060302
	;; [unrolled: 1-line block ×7, first 2 shown]
	ds_load_2addr_b32 v[38:39], v94 offset0:132 offset1:148
	ds_load_2addr_b32 v[60:61], v94 offset0:236 offset1:252
	;; [unrolled: 1-line block ×7, first 2 shown]
	v_wmma_f16_16x16x16_f16 v[16:23], v[49:56], v[41:48], v[16:23] op_sel:[0,0,1]
	v_perm_b32 v55, v76, v118, 0x5040100
	v_add_nc_u32_e32 v35, 0x300, v216
	v_add_nc_u32_e32 v82, 0x2000, v207
	;; [unrolled: 1-line block ×3, first 2 shown]
	s_waitcnt lgkmcnt(6)
	v_perm_b32 v49, v38, v36, 0x5040100
	s_waitcnt lgkmcnt(5)
	v_perm_b32 v50, v60, v58, 0x5040100
	;; [unrolled: 2-line block ×7, first 2 shown]
	s_delay_alu instid0(VALU_DEP_1)
	v_wmma_f16_16x16x16_f16 v[8:15], v[49:56], v[41:48], v[8:15]
	v_perm_b32 v49, v38, v36, 0x7060302
	v_perm_b32 v50, v60, v58, 0x7060302
	ds_load_2addr_b32 v[35:36], v35 offset0:16 offset1:224
	ds_load_2addr_b32 v[57:58], v93 offset0:108 offset1:128
	v_perm_b32 v55, v76, v118, 0x7060302
	v_perm_b32 v51, v64, v62, 0x7060302
	;; [unrolled: 1-line block ×6, first 2 shown]
	s_delay_alu instid0(VALU_DEP_1)
	v_wmma_f16_16x16x16_f16 v[8:15], v[49:56], v[41:48], v[8:15] op_sel:[0,0,1]
	v_perm_b32 v49, v39, v37, 0x5040100
	v_perm_b32 v50, v61, v59, 0x5040100
	v_perm_b32 v52, v69, v67, 0x5040100
	v_perm_b32 v54, v75, v73, 0x5040100
	v_perm_b32 v55, v77, v81, 0x5040100
	s_waitcnt lgkmcnt(1)
	v_perm_b32 v51, v65, v35, 0x5040100
	v_perm_b32 v53, v71, v36, 0x5040100
	s_waitcnt lgkmcnt(0)
	v_perm_b32 v56, v57, v79, 0x5040100
	s_delay_alu instid0(VALU_DEP_1)
	v_wmma_f16_16x16x16_f16 v[0:7], v[49:56], v[41:48], v[0:7]
	v_perm_b32 v51, v65, v35, 0x7060302
	v_sub_f32_e32 v35, v128, v40
	v_perm_b32 v53, v71, v36, 0x7060302
	v_perm_b32 v49, v39, v37, 0x7060302
	;; [unrolled: 1-line block ×4, first 2 shown]
	v_mul_f32_e32 v36, 0x3fb8aa3b, v35
	v_perm_b32 v54, v75, v73, 0x7060302
	v_perm_b32 v55, v77, v81, 0x7060302
	;; [unrolled: 1-line block ×3, first 2 shown]
	v_cmp_ngt_f32_e64 s4, 0xc2ce8ed0, v35
	v_fma_f32 v37, 0x3fb8aa3b, v35, -v36
	v_rndne_f32_e32 v38, v36
	v_add_nc_u32_e32 v81, 0x1c00, v207
	v_wmma_f16_16x16x16_f16 v[0:7], v[49:56], v[41:48], v[0:7] op_sel:[0,0,1]
	s_delay_alu instid0(VALU_DEP_3) | instskip(SKIP_1) | instid1(VALU_DEP_2)
	v_dual_fmac_f32 v37, 0x32a5705f, v35 :: v_dual_sub_f32 v36, v36, v38
	v_cvt_i32_f32_e32 v38, v38
	v_dual_add_f32 v36, v36, v37 :: v_dual_sub_f32 v37, v127, v40
	s_delay_alu instid0(VALU_DEP_1) | instskip(NEXT) | instid1(VALU_DEP_1)
	v_exp_f32_e32 v36, v36
	v_mul_f32_e32 v39, 0x3fb8aa3b, v37
	v_cmp_ngt_f32_e64 s5, 0xc2ce8ed0, v37
	s_delay_alu instid0(VALU_DEP_2)
	v_fma_f32 v41, 0x3fb8aa3b, v37, -v39
	v_rndne_f32_e32 v42, v39
	s_waitcnt_depctr 0xfff
	v_ldexp_f32 v36, v36, v38
	v_fmac_f32_e32 v41, 0x32a5705f, v37
	v_sub_f32_e32 v39, v39, v42
	s_delay_alu instid0(VALU_DEP_3) | instskip(SKIP_1) | instid1(VALU_DEP_3)
	v_cndmask_b32_e64 v36, 0, v36, s4
	v_cmp_nlt_f32_e64 s4, 0x42b17218, v35
	v_add_f32_e32 v39, v39, v41
	s_delay_alu instid0(VALU_DEP_2) | instskip(NEXT) | instid1(VALU_DEP_2)
	v_cndmask_b32_e64 v100, 0x7f800000, v36, s4
	v_exp_f32_e32 v38, v39
	v_cvt_i32_f32_e32 v39, v42
	s_waitcnt_depctr 0xfff
	v_ldexp_f32 v38, v38, v39
	s_delay_alu instid0(VALU_DEP_1)
	v_cndmask_b32_e64 v35, 0, v38, s5
	v_cmp_nlt_f32_e64 s5, 0x42b17218, v37
	ds_bpermute_b32 v37, v83, v100
	v_cndmask_b32_e64 v99, 0x7f800000, v35, s5
	ds_bpermute_b32 v35, v83, v99
	s_waitcnt lgkmcnt(0)
	v_cndmask_b32_e64 v36, v99, v35, s1
	v_cndmask_b32_e32 v35, v99, v35, vcc_lo
	s_delay_alu instid0(VALU_DEP_2) | instskip(NEXT) | instid1(VALU_DEP_2)
	v_cndmask_b32_e64 v38, v36, v100, s2
	v_cndmask_b32_e64 v39, v35, v100, s3
	v_cvt_f16_f32_e32 v36, v36
	v_cvt_f16_f32_e32 v35, v35
	s_delay_alu instid0(VALU_DEP_4) | instskip(NEXT) | instid1(VALU_DEP_4)
	v_cndmask_b32_e64 v38, v38, v37, s1
	v_cndmask_b32_e32 v37, v39, v37, vcc_lo
	s_delay_alu instid0(VALU_DEP_3) | instskip(SKIP_1) | instid1(VALU_DEP_4)
	v_pack_b32_f16 v41, v36, v35
	v_sub_f32_e32 v35, v126, v40
	v_cvt_f16_f32_e32 v39, v38
	s_delay_alu instid0(VALU_DEP_4) | instskip(NEXT) | instid1(VALU_DEP_3)
	v_cvt_f16_f32_e32 v42, v37
	v_mul_f32_e32 v36, 0x3fb8aa3b, v35
	v_cmp_ngt_f32_e64 s4, 0xc2ce8ed0, v35
	s_delay_alu instid0(VALU_DEP_3) | instskip(NEXT) | instid1(VALU_DEP_3)
	v_pack_b32_f16 v42, v39, v42
	v_fma_f32 v39, 0x3fb8aa3b, v35, -v36
	v_rndne_f32_e32 v43, v36
	s_delay_alu instid0(VALU_DEP_2) | instskip(NEXT) | instid1(VALU_DEP_2)
	v_fmac_f32_e32 v39, 0x32a5705f, v35
	v_sub_f32_e32 v36, v36, v43
	s_delay_alu instid0(VALU_DEP_1) | instskip(SKIP_1) | instid1(VALU_DEP_2)
	v_add_f32_e32 v36, v36, v39
	v_cvt_i32_f32_e32 v39, v43
	v_exp_f32_e32 v36, v36
	s_waitcnt_depctr 0xfff
	v_ldexp_f32 v36, v36, v39
	s_delay_alu instid0(VALU_DEP_1) | instskip(SKIP_1) | instid1(VALU_DEP_1)
	v_cndmask_b32_e64 v36, 0, v36, s4
	v_cmp_nlt_f32_e64 s4, 0x42b17218, v35
	v_cndmask_b32_e64 v101, 0x7f800000, v36, s4
	s_delay_alu instid0(VALU_DEP_1) | instskip(SKIP_3) | instid1(VALU_DEP_1)
	v_cndmask_b32_e64 v36, v37, v101, s3
	ds_bpermute_b32 v37, v83, v101
	v_cndmask_b32_e64 v35, v38, v101, s2
	s_waitcnt lgkmcnt(0)
	v_cndmask_b32_e64 v35, v35, v37, s1
	v_cndmask_b32_e32 v36, v36, v37, vcc_lo
	s_delay_alu instid0(VALU_DEP_2) | instskip(NEXT) | instid1(VALU_DEP_2)
	v_cvt_f16_f32_e32 v37, v35
	v_cvt_f16_f32_e32 v38, v36
	s_delay_alu instid0(VALU_DEP_1) | instskip(SKIP_1) | instid1(VALU_DEP_1)
	v_pack_b32_f16 v43, v37, v38
	v_sub_f32_e32 v37, v125, v40
	v_mul_f32_e32 v38, 0x3fb8aa3b, v37
	v_cmp_ngt_f32_e64 s4, 0xc2ce8ed0, v37
	s_delay_alu instid0(VALU_DEP_2) | instskip(SKIP_1) | instid1(VALU_DEP_1)
	v_fma_f32 v39, 0x3fb8aa3b, v37, -v38
	v_rndne_f32_e32 v44, v38
	v_dual_fmac_f32 v39, 0x32a5705f, v37 :: v_dual_sub_f32 v38, v38, v44
	s_delay_alu instid0(VALU_DEP_1) | instskip(SKIP_1) | instid1(VALU_DEP_2)
	v_add_f32_e32 v38, v38, v39
	v_cvt_i32_f32_e32 v39, v44
	v_exp_f32_e32 v38, v38
	s_waitcnt_depctr 0xfff
	v_ldexp_f32 v38, v38, v39
	s_delay_alu instid0(VALU_DEP_1) | instskip(SKIP_1) | instid1(VALU_DEP_1)
	v_cndmask_b32_e64 v38, 0, v38, s4
	v_cmp_nlt_f32_e64 s4, 0x42b17218, v37
	v_cndmask_b32_e64 v102, 0x7f800000, v38, s4
	ds_bpermute_b32 v37, v83, v102
	v_cndmask_b32_e64 v35, v35, v102, s2
	v_cndmask_b32_e64 v36, v36, v102, s3
	s_waitcnt lgkmcnt(0)
	s_delay_alu instid0(VALU_DEP_2) | instskip(NEXT) | instid1(VALU_DEP_2)
	v_cndmask_b32_e64 v35, v35, v37, s1
	v_cndmask_b32_e32 v36, v36, v37, vcc_lo
	s_delay_alu instid0(VALU_DEP_2) | instskip(NEXT) | instid1(VALU_DEP_2)
	v_cvt_f16_f32_e32 v37, v35
	v_cvt_f16_f32_e32 v38, v36
	s_delay_alu instid0(VALU_DEP_1) | instskip(SKIP_1) | instid1(VALU_DEP_1)
	v_pack_b32_f16 v44, v37, v38
	v_sub_f32_e32 v37, v124, v40
	v_mul_f32_e32 v38, 0x3fb8aa3b, v37
	v_cmp_ngt_f32_e64 s4, 0xc2ce8ed0, v37
	s_delay_alu instid0(VALU_DEP_2) | instskip(SKIP_1) | instid1(VALU_DEP_2)
	v_fma_f32 v39, 0x3fb8aa3b, v37, -v38
	v_rndne_f32_e32 v45, v38
	v_fmac_f32_e32 v39, 0x32a5705f, v37
	s_delay_alu instid0(VALU_DEP_2) | instskip(NEXT) | instid1(VALU_DEP_1)
	v_sub_f32_e32 v38, v38, v45
	v_add_f32_e32 v38, v38, v39
	v_cvt_i32_f32_e32 v39, v45
	s_delay_alu instid0(VALU_DEP_2) | instskip(SKIP_2) | instid1(VALU_DEP_1)
	v_exp_f32_e32 v38, v38
	s_waitcnt_depctr 0xfff
	v_ldexp_f32 v38, v38, v39
	v_cndmask_b32_e64 v38, 0, v38, s4
	v_cmp_nlt_f32_e64 s4, 0x42b17218, v37
	s_delay_alu instid0(VALU_DEP_1) | instskip(SKIP_4) | instid1(VALU_DEP_2)
	v_cndmask_b32_e64 v103, 0x7f800000, v38, s4
	ds_bpermute_b32 v37, v83, v103
	v_cndmask_b32_e64 v35, v35, v103, s2
	v_cndmask_b32_e64 v36, v36, v103, s3
	s_waitcnt lgkmcnt(0)
	v_cndmask_b32_e64 v35, v35, v37, s1
	s_delay_alu instid0(VALU_DEP_2) | instskip(NEXT) | instid1(VALU_DEP_2)
	v_cndmask_b32_e32 v36, v36, v37, vcc_lo
	v_cvt_f16_f32_e32 v37, v35
	s_delay_alu instid0(VALU_DEP_2) | instskip(NEXT) | instid1(VALU_DEP_1)
	v_cvt_f16_f32_e32 v38, v36
	v_pack_b32_f16 v45, v37, v38
	v_sub_f32_e32 v37, v123, v40
	s_delay_alu instid0(VALU_DEP_1) | instskip(SKIP_1) | instid1(VALU_DEP_2)
	v_mul_f32_e32 v38, 0x3fb8aa3b, v37
	v_cmp_ngt_f32_e64 s4, 0xc2ce8ed0, v37
	v_fma_f32 v39, 0x3fb8aa3b, v37, -v38
	v_rndne_f32_e32 v46, v38
	s_delay_alu instid0(VALU_DEP_1) | instskip(NEXT) | instid1(VALU_DEP_1)
	v_dual_fmac_f32 v39, 0x32a5705f, v37 :: v_dual_sub_f32 v38, v38, v46
	v_add_f32_e32 v38, v38, v39
	v_cvt_i32_f32_e32 v39, v46
	s_delay_alu instid0(VALU_DEP_2) | instskip(SKIP_2) | instid1(VALU_DEP_1)
	v_exp_f32_e32 v38, v38
	s_waitcnt_depctr 0xfff
	v_ldexp_f32 v38, v38, v39
	v_cndmask_b32_e64 v38, 0, v38, s4
	v_cmp_nlt_f32_e64 s4, 0x42b17218, v37
	s_delay_alu instid0(VALU_DEP_1) | instskip(SKIP_4) | instid1(VALU_DEP_2)
	v_cndmask_b32_e64 v104, 0x7f800000, v38, s4
	ds_bpermute_b32 v37, v83, v104
	v_cndmask_b32_e64 v35, v35, v104, s2
	v_cndmask_b32_e64 v36, v36, v104, s3
	s_waitcnt lgkmcnt(0)
	v_cndmask_b32_e64 v35, v35, v37, s1
	s_delay_alu instid0(VALU_DEP_2) | instskip(NEXT) | instid1(VALU_DEP_2)
	v_cndmask_b32_e32 v36, v36, v37, vcc_lo
	v_cvt_f16_f32_e32 v37, v35
	s_delay_alu instid0(VALU_DEP_2) | instskip(NEXT) | instid1(VALU_DEP_1)
	v_cvt_f16_f32_e32 v38, v36
	v_pack_b32_f16 v46, v37, v38
	v_sub_f32_e32 v37, v122, v40
	s_delay_alu instid0(VALU_DEP_1) | instskip(SKIP_1) | instid1(VALU_DEP_2)
	v_mul_f32_e32 v38, 0x3fb8aa3b, v37
	v_cmp_ngt_f32_e64 s4, 0xc2ce8ed0, v37
	v_fma_f32 v39, 0x3fb8aa3b, v37, -v38
	v_rndne_f32_e32 v47, v38
	s_delay_alu instid0(VALU_DEP_1) | instskip(NEXT) | instid1(VALU_DEP_1)
	v_dual_fmac_f32 v39, 0x32a5705f, v37 :: v_dual_sub_f32 v38, v38, v47
	;; [unrolled: 29-line block ×3, first 2 shown]
	v_add_f32_e32 v38, v38, v39
	v_cvt_i32_f32_e32 v39, v48
	s_delay_alu instid0(VALU_DEP_2) | instskip(SKIP_3) | instid1(VALU_DEP_2)
	v_exp_f32_e32 v38, v38
	s_waitcnt_depctr 0xfff
	v_ldexp_f32 v38, v38, v39
	v_add_nc_u32_e32 v39, 0x300, v209
	v_cndmask_b32_e64 v38, 0, v38, s4
	v_cmp_nlt_f32_e64 s4, 0x42b17218, v37
	s_delay_alu instid0(VALU_DEP_1)
	v_cndmask_b32_e64 v118, 0x7f800000, v38, s4
	v_add_nc_u32_e32 v95, 0x3000, v207
	ds_bpermute_b32 v37, v83, v118
	v_cndmask_b32_e64 v35, v35, v118, s2
	v_cndmask_b32_e64 v36, v36, v118, s3
	s_waitcnt lgkmcnt(0)
	s_delay_alu instid0(VALU_DEP_2) | instskip(NEXT) | instid1(VALU_DEP_2)
	v_cndmask_b32_e64 v35, v35, v37, s1
	v_cndmask_b32_e32 v36, v36, v37, vcc_lo
	s_delay_alu instid0(VALU_DEP_2) | instskip(NEXT) | instid1(VALU_DEP_2)
	v_cvt_f16_f32_e32 v35, v35
	v_cvt_f16_f32_e32 v36, v36
	s_delay_alu instid0(VALU_DEP_1)
	v_pack_b32_f16 v48, v35, v36
	ds_load_2addr_b32 v[35:36], v93 offset0:180 offset1:196
	ds_load_2addr_b32 v[37:38], v93 offset0:212 offset1:232
	;; [unrolled: 1-line block ×5, first 2 shown]
	v_add_nc_u32_e32 v39, 0x2200, v207
	ds_load_2addr_b32 v[65:66], v81 offset0:184 offset1:200
	ds_load_2addr_b32 v[67:68], v81 offset0:216 offset1:236
	;; [unrolled: 1-line block ×8, first 2 shown]
	s_waitcnt lgkmcnt(12)
	v_perm_b32 v49, v35, v58, 0x5040100
	s_waitcnt lgkmcnt(10)
	v_perm_b32 v50, v59, v38, 0x5040100
	;; [unrolled: 2-line block ×8, first 2 shown]
	s_delay_alu instid0(VALU_DEP_1)
	v_wmma_f16_16x16x16_f16 v[16:23], v[49:56], v[41:48], v[16:23]
	v_perm_b32 v49, v35, v58, 0x7060302
	v_add_nc_u32_e32 v35, 0x1a00, v207
	v_perm_b32 v50, v59, v38, 0x7060302
	ds_load_2addr_b32 v[38:39], v93 offset0:144 offset1:160
	ds_load_2addr_b32 v[57:58], v35 offset0:120 offset1:136
	v_add_nc_u32_e32 v35, 0x300, v213
	v_perm_b32 v51, v64, v61, 0x7060302
	v_perm_b32 v53, v69, v62, 0x7060302
	v_perm_b32 v52, v68, v65, 0x7060302
	ds_load_2addr_b32 v[61:62], v35 offset0:16 offset1:224
	ds_load_2addr_b32 v[64:65], v81 offset0:148 offset1:164
	v_add_nc_u32_e32 v35, 0x1e00, v207
	v_perm_b32 v55, v76, v92, 0x7060302
	v_perm_b32 v54, v73, v72, 0x7060302
	;; [unrolled: 1-line block ×3, first 2 shown]
	ds_load_2addr_b32 v[72:73], v82 offset0:152 offset1:168
	ds_load_2addr_b32 v[68:69], v35 offset0:124 offset1:140
	ds_load_2addr_b32 v[76:77], v91 offset0:52 offset1:68
	ds_load_2addr_b32 v[80:81], v91 offset0:156 offset1:172
	v_wmma_f16_16x16x16_f16 v[16:23], v[49:56], v[41:48], v[16:23] op_sel:[0,0,1]
	v_add_nc_u32_e32 v35, 0x300, v217
	s_waitcnt lgkmcnt(7)
	v_perm_b32 v49, v36, v38, 0x5040100
	s_waitcnt lgkmcnt(6)
	v_perm_b32 v50, v60, v57, 0x5040100
	s_waitcnt lgkmcnt(5)
	v_perm_b32 v53, v70, v62, 0x5040100
	s_waitcnt lgkmcnt(4)
	v_perm_b32 v51, v64, v61, 0x5040100
	s_waitcnt lgkmcnt(3)
	v_perm_b32 v54, v74, v72, 0x5040100
	s_waitcnt lgkmcnt(2)
	v_perm_b32 v52, v68, v66, 0x5040100
	s_waitcnt lgkmcnt(1)
	v_perm_b32 v55, v76, v143, 0x5040100
	s_waitcnt lgkmcnt(0)
	v_perm_b32 v56, v80, v78, 0x5040100
	s_delay_alu instid0(VALU_DEP_1)
	v_wmma_f16_16x16x16_f16 v[8:15], v[49:56], v[41:48], v[8:15]
	v_perm_b32 v49, v36, v38, 0x7060302
	ds_load_2addr_b32 v[35:36], v35 offset0:16 offset1:224
	v_perm_b32 v50, v60, v57, 0x7060302
	v_perm_b32 v53, v70, v62, 0x7060302
	;; [unrolled: 1-line block ×7, first 2 shown]
	s_delay_alu instid0(VALU_DEP_1)
	v_wmma_f16_16x16x16_f16 v[8:15], v[49:56], v[41:48], v[8:15] op_sel:[0,0,1]
	v_perm_b32 v49, v37, v39, 0x5040100
	v_perm_b32 v50, v63, v58, 0x5040100
	;; [unrolled: 1-line block ×6, first 2 shown]
	s_waitcnt lgkmcnt(0)
	v_perm_b32 v51, v65, v35, 0x5040100
	v_perm_b32 v53, v71, v36, 0x5040100
	s_delay_alu instid0(VALU_DEP_1)
	v_wmma_f16_16x16x16_f16 v[0:7], v[49:56], v[41:48], v[0:7]
	v_perm_b32 v55, v77, v34, 0x7060302
	v_sub_f32_e32 v34, v120, v40
	v_perm_b32 v51, v65, v35, 0x7060302
	v_perm_b32 v49, v37, v39, 0x7060302
	v_perm_b32 v53, v71, v36, 0x7060302
	v_perm_b32 v50, v63, v58, 0x7060302
	v_mul_f32_e32 v35, 0x3fb8aa3b, v34
	v_perm_b32 v52, v69, v67, 0x7060302
	v_perm_b32 v54, v75, v73, 0x7060302
	;; [unrolled: 1-line block ×3, first 2 shown]
	v_cmp_ngt_f32_e64 s4, 0xc2ce8ed0, v34
	v_fma_f32 v36, 0x3fb8aa3b, v34, -v35
	v_rndne_f32_e32 v37, v35
	v_add_nc_u32_e32 v81, 0x2800, v207
	v_wmma_f16_16x16x16_f16 v[0:7], v[49:56], v[41:48], v[0:7] op_sel:[0,0,1]
	v_add_nc_u32_e32 v51, 0x300, v210
	s_delay_alu instid0(VALU_DEP_4) | instskip(SKIP_1) | instid1(VALU_DEP_2)
	v_dual_fmac_f32 v36, 0x32a5705f, v34 :: v_dual_sub_f32 v35, v35, v37
	v_cvt_i32_f32_e32 v37, v37
	v_add_f32_e32 v35, v35, v36
	v_sub_f32_e32 v36, v119, v40
	s_delay_alu instid0(VALU_DEP_2) | instskip(NEXT) | instid1(VALU_DEP_1)
	v_exp_f32_e32 v35, v35
	v_mul_f32_e32 v38, 0x3fb8aa3b, v36
	v_cmp_ngt_f32_e64 s5, 0xc2ce8ed0, v36
	s_delay_alu instid0(VALU_DEP_2) | instskip(SKIP_4) | instid1(VALU_DEP_2)
	v_fma_f32 v39, 0x3fb8aa3b, v36, -v38
	v_rndne_f32_e32 v41, v38
	s_waitcnt_depctr 0xfff
	v_ldexp_f32 v35, v35, v37
	v_dual_fmac_f32 v39, 0x32a5705f, v36 :: v_dual_sub_f32 v38, v38, v41
	v_cndmask_b32_e64 v35, 0, v35, s4
	v_cmp_nlt_f32_e64 s4, 0x42b17218, v34
	s_delay_alu instid0(VALU_DEP_3) | instskip(NEXT) | instid1(VALU_DEP_2)
	v_add_f32_e32 v38, v38, v39
	v_cndmask_b32_e64 v120, 0x7f800000, v35, s4
	s_delay_alu instid0(VALU_DEP_2) | instskip(SKIP_3) | instid1(VALU_DEP_1)
	v_exp_f32_e32 v37, v38
	v_cvt_i32_f32_e32 v38, v41
	s_waitcnt_depctr 0xfff
	v_ldexp_f32 v37, v37, v38
	v_cndmask_b32_e64 v34, 0, v37, s5
	v_cmp_nlt_f32_e64 s5, 0x42b17218, v36
	ds_bpermute_b32 v36, v83, v120
	v_cndmask_b32_e64 v119, 0x7f800000, v34, s5
	ds_bpermute_b32 v34, v83, v119
	s_waitcnt lgkmcnt(0)
	v_cndmask_b32_e64 v35, v119, v34, s1
	v_cndmask_b32_e32 v34, v119, v34, vcc_lo
	s_delay_alu instid0(VALU_DEP_2) | instskip(NEXT) | instid1(VALU_DEP_2)
	v_cndmask_b32_e64 v37, v35, v120, s2
	v_cndmask_b32_e64 v38, v34, v120, s3
	v_cvt_f16_f32_e32 v35, v35
	v_cvt_f16_f32_e32 v34, v34
	s_delay_alu instid0(VALU_DEP_4) | instskip(NEXT) | instid1(VALU_DEP_4)
	v_cndmask_b32_e64 v37, v37, v36, s1
	v_cndmask_b32_e32 v36, v38, v36, vcc_lo
	s_delay_alu instid0(VALU_DEP_3) | instskip(SKIP_1) | instid1(VALU_DEP_4)
	v_pack_b32_f16 v41, v35, v34
	v_sub_f32_e32 v34, v116, v40
	v_cvt_f16_f32_e32 v38, v37
	s_delay_alu instid0(VALU_DEP_4) | instskip(NEXT) | instid1(VALU_DEP_3)
	v_cvt_f16_f32_e32 v39, v36
	v_mul_f32_e32 v35, 0x3fb8aa3b, v34
	v_cmp_ngt_f32_e64 s4, 0xc2ce8ed0, v34
	s_delay_alu instid0(VALU_DEP_3) | instskip(NEXT) | instid1(VALU_DEP_3)
	v_pack_b32_f16 v42, v38, v39
	v_fma_f32 v38, 0x3fb8aa3b, v34, -v35
	v_rndne_f32_e32 v39, v35
	s_delay_alu instid0(VALU_DEP_1) | instskip(NEXT) | instid1(VALU_DEP_1)
	v_dual_fmac_f32 v38, 0x32a5705f, v34 :: v_dual_sub_f32 v35, v35, v39
	v_add_f32_e32 v35, v35, v38
	v_cvt_i32_f32_e32 v38, v39
	s_delay_alu instid0(VALU_DEP_2) | instskip(SKIP_2) | instid1(VALU_DEP_1)
	v_exp_f32_e32 v35, v35
	s_waitcnt_depctr 0xfff
	v_ldexp_f32 v35, v35, v38
	v_cndmask_b32_e64 v35, 0, v35, s4
	v_cmp_nlt_f32_e64 s4, 0x42b17218, v34
	s_delay_alu instid0(VALU_DEP_1) | instskip(NEXT) | instid1(VALU_DEP_1)
	v_cndmask_b32_e64 v116, 0x7f800000, v35, s4
	v_cndmask_b32_e64 v35, v36, v116, s3
	ds_bpermute_b32 v36, v83, v116
	v_cndmask_b32_e64 v34, v37, v116, s2
	s_waitcnt lgkmcnt(0)
	s_delay_alu instid0(VALU_DEP_1) | instskip(SKIP_1) | instid1(VALU_DEP_2)
	v_cndmask_b32_e64 v34, v34, v36, s1
	v_cndmask_b32_e32 v35, v35, v36, vcc_lo
	v_cvt_f16_f32_e32 v36, v34
	s_delay_alu instid0(VALU_DEP_2) | instskip(NEXT) | instid1(VALU_DEP_1)
	v_cvt_f16_f32_e32 v37, v35
	v_pack_b32_f16 v43, v36, v37
	v_sub_f32_e32 v36, v88, v40
	s_delay_alu instid0(VALU_DEP_1) | instskip(SKIP_1) | instid1(VALU_DEP_2)
	v_mul_f32_e32 v37, 0x3fb8aa3b, v36
	v_cmp_ngt_f32_e64 s4, 0xc2ce8ed0, v36
	v_fma_f32 v38, 0x3fb8aa3b, v36, -v37
	v_rndne_f32_e32 v39, v37
	s_delay_alu instid0(VALU_DEP_1) | instskip(NEXT) | instid1(VALU_DEP_1)
	v_dual_fmac_f32 v38, 0x32a5705f, v36 :: v_dual_sub_f32 v37, v37, v39
	v_add_f32_e32 v37, v37, v38
	v_cvt_i32_f32_e32 v38, v39
	s_delay_alu instid0(VALU_DEP_2) | instskip(SKIP_2) | instid1(VALU_DEP_1)
	v_exp_f32_e32 v37, v37
	s_waitcnt_depctr 0xfff
	v_ldexp_f32 v37, v37, v38
	v_cndmask_b32_e64 v37, 0, v37, s4
	v_cmp_nlt_f32_e64 s4, 0x42b17218, v36
	s_delay_alu instid0(VALU_DEP_1) | instskip(SKIP_4) | instid1(VALU_DEP_2)
	v_cndmask_b32_e64 v88, 0x7f800000, v37, s4
	ds_bpermute_b32 v36, v83, v88
	v_cndmask_b32_e64 v34, v34, v88, s2
	v_cndmask_b32_e64 v35, v35, v88, s3
	s_waitcnt lgkmcnt(0)
	v_cndmask_b32_e64 v34, v34, v36, s1
	s_delay_alu instid0(VALU_DEP_2) | instskip(NEXT) | instid1(VALU_DEP_2)
	v_cndmask_b32_e32 v35, v35, v36, vcc_lo
	v_cvt_f16_f32_e32 v36, v34
	s_delay_alu instid0(VALU_DEP_2) | instskip(NEXT) | instid1(VALU_DEP_1)
	v_cvt_f16_f32_e32 v37, v35
	v_pack_b32_f16 v44, v36, v37
	v_sub_f32_e32 v36, v87, v40
	s_delay_alu instid0(VALU_DEP_1) | instskip(SKIP_1) | instid1(VALU_DEP_2)
	v_mul_f32_e32 v37, 0x3fb8aa3b, v36
	v_cmp_ngt_f32_e64 s4, 0xc2ce8ed0, v36
	v_fma_f32 v38, 0x3fb8aa3b, v36, -v37
	v_rndne_f32_e32 v39, v37
	s_delay_alu instid0(VALU_DEP_1) | instskip(NEXT) | instid1(VALU_DEP_1)
	v_dual_fmac_f32 v38, 0x32a5705f, v36 :: v_dual_sub_f32 v37, v37, v39
	v_add_f32_e32 v37, v37, v38
	v_cvt_i32_f32_e32 v38, v39
	s_delay_alu instid0(VALU_DEP_2) | instskip(SKIP_2) | instid1(VALU_DEP_1)
	v_exp_f32_e32 v37, v37
	s_waitcnt_depctr 0xfff
	v_ldexp_f32 v37, v37, v38
	v_cndmask_b32_e64 v37, 0, v37, s4
	v_cmp_nlt_f32_e64 s4, 0x42b17218, v36
	s_delay_alu instid0(VALU_DEP_1) | instskip(SKIP_4) | instid1(VALU_DEP_2)
	v_cndmask_b32_e64 v121, 0x7f800000, v37, s4
	ds_bpermute_b32 v36, v83, v121
	v_cndmask_b32_e64 v34, v34, v121, s2
	v_cndmask_b32_e64 v35, v35, v121, s3
	s_waitcnt lgkmcnt(0)
	v_cndmask_b32_e64 v34, v34, v36, s1
	s_delay_alu instid0(VALU_DEP_2) | instskip(NEXT) | instid1(VALU_DEP_2)
	;; [unrolled: 29-line block ×5, first 2 shown]
	v_cndmask_b32_e32 v35, v35, v36, vcc_lo
	v_cvt_f16_f32_e32 v34, v34
	s_delay_alu instid0(VALU_DEP_2) | instskip(NEXT) | instid1(VALU_DEP_1)
	v_cvt_f16_f32_e32 v35, v35
	v_pack_b32_f16 v48, v34, v35
	ds_load_2addr_b32 v[34:35], v91 offset0:192 offset1:208
	ds_load_2addr_b32 v[36:37], v91 offset0:224 offset1:244
	;; [unrolled: 1-line block ×4, first 2 shown]
	v_add_nc_u32_e32 v91, 0x2c00, v207
	ds_load_2addr_b32 v[59:60], v51 offset0:16 offset1:224
	ds_load_2addr_b32 v[61:62], v81 offset0:196 offset1:212
	;; [unrolled: 1-line block ×16, first 2 shown]
	s_waitcnt lgkmcnt(18)
	v_perm_b32 v49, v37, v34, 0x5040100
	s_waitcnt lgkmcnt(16)
	v_perm_b32 v50, v58, v38, 0x5040100
	;; [unrolled: 2-line block ×8, first 2 shown]
	s_delay_alu instid0(VALU_DEP_1)
	v_wmma_f16_16x16x16_f16 v[16:23], v[49:56], v[41:48], v[16:23]
	v_add_nc_u32_e32 v51, 0x300, v214
	s_waitcnt lgkmcnt(5)
	v_perm_b32 v49, v79, v35, 0x5040100
	s_waitcnt lgkmcnt(4)
	v_perm_b32 v50, v81, v39, 0x5040100
	;; [unrolled: 2-line block ×4, first 2 shown]
	ds_load_2addr_b32 v[84:85], v51 offset0:16 offset1:224
	v_perm_b32 v55, v74, v144, 0x5040100
	s_waitcnt lgkmcnt(1)
	v_perm_b32 v56, v78, v95, 0x5040100
	s_waitcnt lgkmcnt(0)
	v_perm_b32 v51, v62, v84, 0x5040100
	v_perm_b32 v53, v91, v85, 0x5040100
	s_delay_alu instid0(VALU_DEP_1)
	v_wmma_f16_16x16x16_f16 v[8:15], v[49:56], v[41:48], v[8:15]
	v_add_nc_u32_e32 v51, 0x300, v218
	v_perm_b32 v49, v80, v36, 0x5040100
	v_perm_b32 v50, v82, v57, 0x5040100
	;; [unrolled: 1-line block ×4, first 2 shown]
	ds_load_2addr_b32 v[97:98], v51 offset0:16 offset1:224
	v_perm_b32 v55, v75, v32, 0x5040100
	v_perm_b32 v56, v33, v96, 0x5040100
	s_waitcnt lgkmcnt(0)
	s_barrier
	buffer_gl0_inv
	v_perm_b32 v51, v63, v97, 0x5040100
	v_perm_b32 v53, v92, v98, 0x5040100
	s_delay_alu instid0(VALU_DEP_1)
	v_wmma_f16_16x16x16_f16 v[0:7], v[49:56], v[41:48], v[0:7]
	v_perm_b32 v51, v61, v59, 0x7060302
	v_perm_b32 v53, v68, v60, 0x7060302
	;; [unrolled: 1-line block ×8, first 2 shown]
	s_delay_alu instid0(VALU_DEP_1)
	v_wmma_f16_16x16x16_f16 v[16:23], v[49:56], v[41:48], v[16:23] op_sel:[0,0,1]
	v_perm_b32 v55, v74, v144, 0x7060302
	v_perm_b32 v49, v79, v35, 0x7060302
	;; [unrolled: 1-line block ×8, first 2 shown]
	s_delay_alu instid0(VALU_DEP_1)
	v_wmma_f16_16x16x16_f16 v[8:15], v[49:56], v[41:48], v[8:15] op_sel:[0,0,1]
	v_perm_b32 v55, v75, v32, 0x7060302
	v_add_f32_e32 v32, v89, v117
	v_perm_b32 v49, v80, v36, 0x7060302
	v_perm_b32 v50, v82, v57, 0x7060302
	;; [unrolled: 1-line block ×4, first 2 shown]
	v_add_f32_e32 v32, v138, v32
	v_perm_b32 v53, v92, v98, 0x7060302
	v_perm_b32 v54, v94, v71, 0x7060302
	;; [unrolled: 1-line block ×3, first 2 shown]
	s_delay_alu instid0(VALU_DEP_4) | instskip(NEXT) | instid1(VALU_DEP_2)
	v_add_f32_e32 v32, v139, v32
	v_wmma_f16_16x16x16_f16 v[0:7], v[49:56], v[41:48], v[0:7] op_sel:[0,0,1]
	s_delay_alu instid0(VALU_DEP_2) | instskip(NEXT) | instid1(VALU_DEP_1)
	v_add_f32_e32 v32, v140, v32
	v_add_f32_e32 v32, v141, v32
	s_delay_alu instid0(VALU_DEP_1) | instskip(NEXT) | instid1(VALU_DEP_1)
	v_add_f32_e32 v32, v142, v32
	v_add_f32_e32 v32, v90, v32
	s_delay_alu instid0(VALU_DEP_1) | instskip(NEXT) | instid1(VALU_DEP_1)
	;; [unrolled: 3-line block ×13, first 2 shown]
	v_add_f32_e32 v24, v123, v24
	v_add_f32_e32 v24, v124, v24
	s_delay_alu instid0(VALU_DEP_1)
	v_fmac_f32_e32 v24, v243, v137
	ds_bpermute_b32 v25, v83, v24
	s_waitcnt lgkmcnt(0)
	v_add_f32_e32 v41, v24, v25
	s_cbranch_scc1 .LBB14_123
; %bb.122:                              ;   in Loop: Header=BB14_13 Depth=1
	scratch_load_b32 v24, off, off offset:144 ; 4-byte Folded Reload
	v_max_f32_e32 v25, v40, v40
	s_waitcnt vmcnt(0)
	v_lshlrev_b32_e32 v24, 2, v24
	global_load_b32 v24, v24, s[72:73]
	s_waitcnt vmcnt(0)
	v_max_f32_e32 v26, v24, v24
	s_delay_alu instid0(VALU_DEP_1) | instskip(NEXT) | instid1(VALU_DEP_1)
	v_max_f32_e32 v25, v25, v26
	v_sub_f32_e32 v26, v40, v25
	v_mov_b32_e32 v40, v25
	s_delay_alu instid0(VALU_DEP_2) | instskip(NEXT) | instid1(VALU_DEP_1)
	v_dual_sub_f32 v24, v24, v25 :: v_dual_mul_f32 v27, 0x3fb8aa3b, v26
	v_fma_f32 v28, 0x3fb8aa3b, v26, -v27
	v_rndne_f32_e32 v29, v27
	s_delay_alu instid0(VALU_DEP_1) | instskip(SKIP_1) | instid1(VALU_DEP_2)
	v_dual_fmac_f32 v28, 0x32a5705f, v26 :: v_dual_sub_f32 v27, v27, v29
	v_cvt_i32_f32_e32 v29, v29
	v_add_f32_e32 v27, v27, v28
	v_cmp_ngt_f32_e32 vcc_lo, 0xc2ce8ed0, v26
	s_delay_alu instid0(VALU_DEP_2) | instskip(SKIP_2) | instid1(VALU_DEP_1)
	v_exp_f32_e32 v27, v27
	s_waitcnt_depctr 0xfff
	v_ldexp_f32 v27, v27, v29
	v_dual_mul_f32 v30, 0x3fb8aa3b, v24 :: v_dual_cndmask_b32 v27, 0, v27
	s_delay_alu instid0(VALU_DEP_1) | instskip(SKIP_2) | instid1(VALU_DEP_2)
	v_fma_f32 v31, 0x3fb8aa3b, v24, -v30
	v_rndne_f32_e32 v32, v30
	v_cmp_nlt_f32_e32 vcc_lo, 0x42b17218, v26
	v_dual_sub_f32 v28, v30, v32 :: v_dual_cndmask_b32 v27, 0x7f800000, v27
	s_delay_alu instid0(VALU_DEP_4) | instskip(SKIP_2) | instid1(VALU_DEP_3)
	v_fmac_f32_e32 v31, 0x32a5705f, v24
	v_cvt_i32_f32_e32 v29, v32
	v_cmp_ngt_f32_e32 vcc_lo, 0xc2ce8ed0, v24
	v_add_f32_e32 v28, v28, v31
	s_delay_alu instid0(VALU_DEP_1) | instskip(SKIP_2) | instid1(VALU_DEP_1)
	v_exp_f32_e32 v28, v28
	s_waitcnt_depctr 0xfff
	v_ldexp_f32 v28, v28, v29
	v_cndmask_b32_e32 v28, 0, v28, vcc_lo
	v_cmp_le_f32_e32 vcc_lo, 0xc1a00000, v26
	v_cndmask_b32_e32 v26, 0, v27, vcc_lo
	v_cmp_nlt_f32_e32 vcc_lo, 0x42b17218, v24
	s_delay_alu instid0(VALU_DEP_2) | instskip(SKIP_1) | instid1(VALU_DEP_2)
	v_cvt_f16_f32_e32 v27, v26
	v_cndmask_b32_e32 v24, 0x7f800000, v28, vcc_lo
	v_pk_mul_f16 v16, v27, v16 op_sel_hi:[0,1]
	s_delay_alu instid0(VALU_DEP_2)
	v_fmac_f32_e32 v24, v41, v26
	v_pk_mul_f16 v17, v27, v17 op_sel_hi:[0,1]
	v_pk_mul_f16 v18, v27, v18 op_sel_hi:[0,1]
	;; [unrolled: 1-line block ×4, first 2 shown]
	v_mov_b32_e32 v41, v24
	v_pk_mul_f16 v21, v27, v21 op_sel_hi:[0,1]
	v_pk_mul_f16 v22, v27, v22 op_sel_hi:[0,1]
	;; [unrolled: 1-line block ×19, first 2 shown]
.LBB14_123:                             ;   in Loop: Header=BB14_13 Depth=1
	s_clause 0xa
	scratch_load_b64 v[26:27], off, off offset:120
	scratch_load_b64 v[27:28], off, off offset:132
	scratch_load_b32 v32, off, off offset:56
	scratch_load_b32 v33, off, off offset:60
	;; [unrolled: 1-line block ×9, first 2 shown]
	s_waitcnt vmcnt(0)
	s_barrier
	buffer_gl0_inv
	s_mov_b32 s0, exec_lo
	s_clause 0x3
	scratch_load_b32 v28, off, off offset:40
	scratch_load_b32 v29, off, off offset:44
	;; [unrolled: 1-line block ×4, first 2 shown]
	v_readlane_b32 s1, v255, 20
	s_delay_alu instid0(VALU_DEP_1) | instskip(NEXT) | instid1(SALU_CYCLE_1)
	s_and_b32 s1, s0, s1
	s_mov_b32 exec_lo, s1
	s_cbranch_execz .LBB14_125
; %bb.124:                              ;   in Loop: Header=BB14_13 Depth=1
	scratch_load_b64 v[24:25], off, off offset:376 ; 8-byte Folded Reload
	s_waitcnt vmcnt(0)
	global_store_b64 v[24:25], v[40:41], off
.LBB14_125:                             ;   in Loop: Header=BB14_13 Depth=1
	s_or_b32 exec_lo, exec_lo, s0
	scratch_load_b32 v24, off, off offset:128 ; 4-byte Folded Reload
	v_cmp_gt_i32_e64 s1, s8, v238
	v_cmp_gt_i32_e64 s2, s33, v169
	v_cmp_le_i32_e32 vcc_lo, s33, v169
	s_waitcnt vmcnt(0)
	ds_store_2addr_b32 v24, v16, v17 offset1:2
	ds_store_2addr_b32 v24, v18, v19 offset0:4 offset1:6
	ds_store_2addr_b32 v24, v20, v21 offset0:8 offset1:10
	;; [unrolled: 1-line block ×11, first 2 shown]
	v_mov_b32_e32 v0, 50
	s_and_b32 s1, s1, s2
	s_waitcnt lgkmcnt(0)
	s_waitcnt_vscnt null, 0x0
	s_barrier
	buffer_gl0_inv
	s_and_saveexec_b32 s0, s1
	s_cbranch_execz .LBB14_127
; %bb.126:                              ;   in Loop: Header=BB14_13 Depth=1
	ds_load_b32 v3, v152
	v_mad_u64_u32 v[0:1], null, v238, s9, v[146:147]
	s_delay_alu instid0(VALU_DEP_1) | instskip(NEXT) | instid1(VALU_DEP_1)
	v_mad_u64_u32 v[1:2], null, v0, 48, v[161:162]
	v_ashrrev_i32_e32 v2, 31, v1
	s_waitcnt lgkmcnt(0)
	v_lshrrev_b32_e32 v0, 16, v3
	v_cvt_f32_f16_e32 v3, v3
	s_delay_alu instid0(VALU_DEP_2) | instskip(SKIP_1) | instid1(VALU_DEP_2)
	v_cvt_f32_f16_e32 v4, v0
	v_lshlrev_b64 v[0:1], 3, v[1:2]
	v_dual_add_f32 v2, 0, v3 :: v_dual_add_f32 v3, 0, v4
	s_delay_alu instid0(VALU_DEP_2) | instskip(NEXT) | instid1(VALU_DEP_1)
	v_add_co_u32 v4, s1, s49, v0
	v_add_co_ci_u32_e64 v5, s1, s67, v1, s1
	v_mov_b32_e32 v0, 0
	global_store_b64 v[4:5], v[2:3], off
.LBB14_127:                             ;   in Loop: Header=BB14_13 Depth=1
	s_or_b32 exec_lo, exec_lo, s0
	s_mov_b32 s2, -1
	s_mov_b32 s0, exec_lo
	v_cmpx_gt_i32_e32 50, v0
; %bb.128:                              ;   in Loop: Header=BB14_13 Depth=1
	v_cmp_eq_u32_e64 s1, 0, v0
	s_delay_alu instid0(VALU_DEP_1)
	s_or_not1_b32 s2, s1, exec_lo
; %bb.129:                              ;   in Loop: Header=BB14_13 Depth=1
	s_or_b32 exec_lo, exec_lo, s0
	s_and_saveexec_b32 s0, s2
	s_cbranch_execz .LBB14_202
; %bb.130:                              ;   in Loop: Header=BB14_13 Depth=1
	v_cmp_gt_i32_e64 s1, s8, v237
	v_mov_b32_e32 v0, 50
	s_xor_b32 s2, vcc_lo, -1
	s_delay_alu instid0(VALU_DEP_2) | instid1(SALU_CYCLE_1)
	s_and_b32 s3, s1, s2
	s_delay_alu instid0(SALU_CYCLE_1)
	s_and_saveexec_b32 s1, s3
	s_cbranch_execz .LBB14_132
; %bb.131:                              ;   in Loop: Header=BB14_13 Depth=1
	ds_load_b32 v3, v198
	v_mad_u64_u32 v[0:1], null, v237, s9, v[146:147]
	s_delay_alu instid0(VALU_DEP_1) | instskip(NEXT) | instid1(VALU_DEP_1)
	v_mad_u64_u32 v[1:2], null, v0, 48, v[161:162]
	v_ashrrev_i32_e32 v2, 31, v1
	s_waitcnt lgkmcnt(0)
	v_lshrrev_b32_e32 v0, 16, v3
	v_cvt_f32_f16_e32 v3, v3
	s_delay_alu instid0(VALU_DEP_2) | instskip(SKIP_1) | instid1(VALU_DEP_2)
	v_cvt_f32_f16_e32 v4, v0
	v_lshlrev_b64 v[0:1], 3, v[1:2]
	v_dual_add_f32 v2, 0, v3 :: v_dual_add_f32 v3, 0, v4
	s_delay_alu instid0(VALU_DEP_2) | instskip(NEXT) | instid1(VALU_DEP_3)
	v_add_co_u32 v4, vcc_lo, s49, v0
	v_add_co_ci_u32_e32 v5, vcc_lo, s67, v1, vcc_lo
	v_mov_b32_e32 v0, 0
	global_store_b64 v[4:5], v[2:3], off
.LBB14_132:                             ;   in Loop: Header=BB14_13 Depth=1
	s_or_b32 exec_lo, exec_lo, s1
	s_mov_b32 s1, -1
	s_mov_b32 s3, exec_lo
	v_cmpx_gt_i32_e32 50, v0
; %bb.133:                              ;   in Loop: Header=BB14_13 Depth=1
	v_cmp_eq_u32_e32 vcc_lo, 0, v0
	s_or_not1_b32 s1, vcc_lo, exec_lo
; %bb.134:                              ;   in Loop: Header=BB14_13 Depth=1
	s_or_b32 exec_lo, exec_lo, s3
	s_delay_alu instid0(SALU_CYCLE_1)
	s_and_b32 exec_lo, exec_lo, s1
	s_cbranch_execz .LBB14_202
; %bb.135:                              ;   in Loop: Header=BB14_13 Depth=1
	v_cmp_gt_i32_e32 vcc_lo, s8, v227
	v_mov_b32_e32 v0, 50
	s_and_b32 s3, vcc_lo, s2
	s_delay_alu instid0(SALU_CYCLE_1)
	s_and_saveexec_b32 s1, s3
	s_cbranch_execz .LBB14_137
; %bb.136:                              ;   in Loop: Header=BB14_13 Depth=1
	ds_load_b32 v3, v229
	v_mad_u64_u32 v[0:1], null, v227, s9, v[146:147]
	s_delay_alu instid0(VALU_DEP_1) | instskip(NEXT) | instid1(VALU_DEP_1)
	v_mad_u64_u32 v[1:2], null, v0, 48, v[161:162]
	v_ashrrev_i32_e32 v2, 31, v1
	s_waitcnt lgkmcnt(0)
	v_lshrrev_b32_e32 v0, 16, v3
	v_cvt_f32_f16_e32 v3, v3
	s_delay_alu instid0(VALU_DEP_2) | instskip(SKIP_1) | instid1(VALU_DEP_2)
	v_cvt_f32_f16_e32 v4, v0
	v_lshlrev_b64 v[0:1], 3, v[1:2]
	v_dual_add_f32 v2, 0, v3 :: v_dual_add_f32 v3, 0, v4
	s_delay_alu instid0(VALU_DEP_2) | instskip(NEXT) | instid1(VALU_DEP_3)
	v_add_co_u32 v4, vcc_lo, s49, v0
	v_add_co_ci_u32_e32 v5, vcc_lo, s67, v1, vcc_lo
	v_mov_b32_e32 v0, 0
	global_store_b64 v[4:5], v[2:3], off
.LBB14_137:                             ;   in Loop: Header=BB14_13 Depth=1
	s_or_b32 exec_lo, exec_lo, s1
	s_mov_b32 s1, -1
	s_mov_b32 s3, exec_lo
	v_cmpx_gt_i32_e32 50, v0
; %bb.138:                              ;   in Loop: Header=BB14_13 Depth=1
	v_cmp_eq_u32_e32 vcc_lo, 0, v0
	s_or_not1_b32 s1, vcc_lo, exec_lo
; %bb.139:                              ;   in Loop: Header=BB14_13 Depth=1
	s_or_b32 exec_lo, exec_lo, s3
	s_delay_alu instid0(SALU_CYCLE_1)
	s_and_b32 exec_lo, exec_lo, s1
	s_cbranch_execz .LBB14_202
; %bb.140:                              ;   in Loop: Header=BB14_13 Depth=1
	v_cmp_gt_i32_e32 vcc_lo, s8, v226
	v_mov_b32_e32 v0, 50
	s_and_b32 s3, vcc_lo, s2
	;; [unrolled: 38-line block ×3, first 2 shown]
	s_delay_alu instid0(SALU_CYCLE_1)
	s_and_saveexec_b32 s1, s3
	s_cbranch_execz .LBB14_147
; %bb.146:                              ;   in Loop: Header=BB14_13 Depth=1
	scratch_load_b32 v0, off, off offset:516 ; 4-byte Folded Reload
	s_waitcnt vmcnt(0)
	ds_load_b32 v3, v0
	v_mad_u64_u32 v[0:1], null, v180, s9, v[146:147]
	s_delay_alu instid0(VALU_DEP_1) | instskip(NEXT) | instid1(VALU_DEP_1)
	v_mad_u64_u32 v[1:2], null, v0, 48, v[161:162]
	v_ashrrev_i32_e32 v2, 31, v1
	s_waitcnt lgkmcnt(0)
	v_lshrrev_b32_e32 v0, 16, v3
	v_cvt_f32_f16_e32 v3, v3
	s_delay_alu instid0(VALU_DEP_2) | instskip(SKIP_1) | instid1(VALU_DEP_2)
	v_cvt_f32_f16_e32 v4, v0
	v_lshlrev_b64 v[0:1], 3, v[1:2]
	v_dual_add_f32 v2, 0, v3 :: v_dual_add_f32 v3, 0, v4
	s_delay_alu instid0(VALU_DEP_2) | instskip(NEXT) | instid1(VALU_DEP_3)
	v_add_co_u32 v4, vcc_lo, s49, v0
	v_add_co_ci_u32_e32 v5, vcc_lo, s67, v1, vcc_lo
	v_mov_b32_e32 v0, 0
	global_store_b64 v[4:5], v[2:3], off
.LBB14_147:                             ;   in Loop: Header=BB14_13 Depth=1
	s_or_b32 exec_lo, exec_lo, s1
	s_mov_b32 s1, -1
	s_mov_b32 s3, exec_lo
	v_cmpx_gt_i32_e32 50, v0
; %bb.148:                              ;   in Loop: Header=BB14_13 Depth=1
	v_cmp_eq_u32_e32 vcc_lo, 0, v0
	s_or_not1_b32 s1, vcc_lo, exec_lo
; %bb.149:                              ;   in Loop: Header=BB14_13 Depth=1
	s_or_b32 exec_lo, exec_lo, s3
	s_delay_alu instid0(SALU_CYCLE_1)
	s_and_b32 exec_lo, exec_lo, s1
	s_cbranch_execz .LBB14_202
; %bb.150:                              ;   in Loop: Header=BB14_13 Depth=1
	v_cmp_gt_i32_e32 vcc_lo, s8, v225
	v_mov_b32_e32 v0, 50
	s_and_b32 s3, vcc_lo, s2
	s_delay_alu instid0(SALU_CYCLE_1)
	s_and_saveexec_b32 s1, s3
	s_cbranch_execz .LBB14_152
; %bb.151:                              ;   in Loop: Header=BB14_13 Depth=1
	ds_load_b32 v3, v232 offset:1664
	v_mad_u64_u32 v[0:1], null, v225, s9, v[146:147]
	s_delay_alu instid0(VALU_DEP_1) | instskip(NEXT) | instid1(VALU_DEP_1)
	v_mad_u64_u32 v[1:2], null, v0, 48, v[161:162]
	v_ashrrev_i32_e32 v2, 31, v1
	s_waitcnt lgkmcnt(0)
	v_lshrrev_b32_e32 v0, 16, v3
	v_cvt_f32_f16_e32 v3, v3
	s_delay_alu instid0(VALU_DEP_2) | instskip(SKIP_1) | instid1(VALU_DEP_2)
	v_cvt_f32_f16_e32 v4, v0
	v_lshlrev_b64 v[0:1], 3, v[1:2]
	v_dual_add_f32 v2, 0, v3 :: v_dual_add_f32 v3, 0, v4
	s_delay_alu instid0(VALU_DEP_2) | instskip(NEXT) | instid1(VALU_DEP_3)
	v_add_co_u32 v4, vcc_lo, s49, v0
	v_add_co_ci_u32_e32 v5, vcc_lo, s67, v1, vcc_lo
	v_mov_b32_e32 v0, 0
	global_store_b64 v[4:5], v[2:3], off
.LBB14_152:                             ;   in Loop: Header=BB14_13 Depth=1
	s_or_b32 exec_lo, exec_lo, s1
	s_mov_b32 s1, -1
	s_mov_b32 s3, exec_lo
	v_cmpx_gt_i32_e32 50, v0
; %bb.153:                              ;   in Loop: Header=BB14_13 Depth=1
	v_cmp_eq_u32_e32 vcc_lo, 0, v0
	s_or_not1_b32 s1, vcc_lo, exec_lo
; %bb.154:                              ;   in Loop: Header=BB14_13 Depth=1
	s_or_b32 exec_lo, exec_lo, s3
	s_delay_alu instid0(SALU_CYCLE_1)
	s_and_b32 exec_lo, exec_lo, s1
	s_cbranch_execz .LBB14_202
; %bb.155:                              ;   in Loop: Header=BB14_13 Depth=1
	v_cmp_gt_i32_e32 vcc_lo, s8, v42
	v_mov_b32_e32 v0, 50
	s_and_b32 s3, vcc_lo, s2
	s_delay_alu instid0(SALU_CYCLE_1)
	s_and_saveexec_b32 s1, s3
	s_cbranch_execz .LBB14_157
; %bb.156:                              ;   in Loop: Header=BB14_13 Depth=1
	ds_load_b32 v3, v232 offset:2496
	v_mad_u64_u32 v[0:1], null, v42, s9, v[146:147]
	s_delay_alu instid0(VALU_DEP_1) | instskip(NEXT) | instid1(VALU_DEP_1)
	v_mad_u64_u32 v[1:2], null, v0, 48, v[161:162]
	v_ashrrev_i32_e32 v2, 31, v1
	s_waitcnt lgkmcnt(0)
	v_lshrrev_b32_e32 v0, 16, v3
	v_cvt_f32_f16_e32 v3, v3
	s_delay_alu instid0(VALU_DEP_2) | instskip(SKIP_1) | instid1(VALU_DEP_2)
	v_cvt_f32_f16_e32 v4, v0
	v_lshlrev_b64 v[0:1], 3, v[1:2]
	v_dual_add_f32 v2, 0, v3 :: v_dual_add_f32 v3, 0, v4
	s_delay_alu instid0(VALU_DEP_2) | instskip(NEXT) | instid1(VALU_DEP_3)
	v_add_co_u32 v4, vcc_lo, s49, v0
	v_add_co_ci_u32_e32 v5, vcc_lo, s67, v1, vcc_lo
	v_mov_b32_e32 v0, 0
	global_store_b64 v[4:5], v[2:3], off
.LBB14_157:                             ;   in Loop: Header=BB14_13 Depth=1
	;; [unrolled: 38-line block ×3, first 2 shown]
	s_or_b32 exec_lo, exec_lo, s1
	s_mov_b32 s1, -1
	s_mov_b32 s3, exec_lo
	v_cmpx_gt_i32_e32 50, v0
; %bb.163:                              ;   in Loop: Header=BB14_13 Depth=1
	v_cmp_eq_u32_e32 vcc_lo, 0, v0
	s_or_not1_b32 s1, vcc_lo, exec_lo
; %bb.164:                              ;   in Loop: Header=BB14_13 Depth=1
	s_or_b32 exec_lo, exec_lo, s3
	s_delay_alu instid0(SALU_CYCLE_1)
	s_and_b32 exec_lo, exec_lo, s1
	s_cbranch_execz .LBB14_202
; %bb.165:                              ;   in Loop: Header=BB14_13 Depth=1
	v_cmp_gt_i32_e32 vcc_lo, s8, v38
	v_mov_b32_e32 v0, 50
	s_and_b32 s3, vcc_lo, s2
	s_delay_alu instid0(SALU_CYCLE_1)
	s_and_saveexec_b32 s1, s3
	s_cbranch_execz .LBB14_167
; %bb.166:                              ;   in Loop: Header=BB14_13 Depth=1
	scratch_load_b32 v0, off, off offset:540 ; 4-byte Folded Reload
	s_waitcnt vmcnt(0)
	ds_load_b32 v3, v0
	v_mad_u64_u32 v[0:1], null, v38, s9, v[146:147]
	s_delay_alu instid0(VALU_DEP_1) | instskip(NEXT) | instid1(VALU_DEP_1)
	v_mad_u64_u32 v[1:2], null, v0, 48, v[161:162]
	v_ashrrev_i32_e32 v2, 31, v1
	s_waitcnt lgkmcnt(0)
	v_lshrrev_b32_e32 v0, 16, v3
	v_cvt_f32_f16_e32 v3, v3
	s_delay_alu instid0(VALU_DEP_2) | instskip(SKIP_1) | instid1(VALU_DEP_2)
	v_cvt_f32_f16_e32 v4, v0
	v_lshlrev_b64 v[0:1], 3, v[1:2]
	v_dual_add_f32 v2, 0, v3 :: v_dual_add_f32 v3, 0, v4
	s_delay_alu instid0(VALU_DEP_2) | instskip(NEXT) | instid1(VALU_DEP_3)
	v_add_co_u32 v4, vcc_lo, s49, v0
	v_add_co_ci_u32_e32 v5, vcc_lo, s67, v1, vcc_lo
	v_mov_b32_e32 v0, 0
	global_store_b64 v[4:5], v[2:3], off
.LBB14_167:                             ;   in Loop: Header=BB14_13 Depth=1
	s_or_b32 exec_lo, exec_lo, s1
	s_mov_b32 s1, -1
	s_mov_b32 s3, exec_lo
	v_cmpx_gt_i32_e32 50, v0
; %bb.168:                              ;   in Loop: Header=BB14_13 Depth=1
	v_cmp_eq_u32_e32 vcc_lo, 0, v0
	s_or_not1_b32 s1, vcc_lo, exec_lo
; %bb.169:                              ;   in Loop: Header=BB14_13 Depth=1
	s_or_b32 exec_lo, exec_lo, s3
	s_delay_alu instid0(SALU_CYCLE_1)
	s_and_b32 exec_lo, exec_lo, s1
	s_cbranch_execz .LBB14_202
; %bb.170:                              ;   in Loop: Header=BB14_13 Depth=1
	v_cmp_gt_i32_e32 vcc_lo, s8, v37
	v_mov_b32_e32 v0, 50
	s_and_b32 s3, vcc_lo, s2
	s_delay_alu instid0(SALU_CYCLE_1)
	s_and_saveexec_b32 s1, s3
	s_cbranch_execz .LBB14_172
; %bb.171:                              ;   in Loop: Header=BB14_13 Depth=1
	ds_load_b32 v3, v232 offset:4992
	v_mad_u64_u32 v[0:1], null, v37, s9, v[146:147]
	s_delay_alu instid0(VALU_DEP_1) | instskip(NEXT) | instid1(VALU_DEP_1)
	v_mad_u64_u32 v[1:2], null, v0, 48, v[161:162]
	v_ashrrev_i32_e32 v2, 31, v1
	s_waitcnt lgkmcnt(0)
	v_lshrrev_b32_e32 v0, 16, v3
	v_cvt_f32_f16_e32 v3, v3
	s_delay_alu instid0(VALU_DEP_2) | instskip(SKIP_1) | instid1(VALU_DEP_2)
	v_cvt_f32_f16_e32 v4, v0
	v_lshlrev_b64 v[0:1], 3, v[1:2]
	v_dual_add_f32 v2, 0, v3 :: v_dual_add_f32 v3, 0, v4
	s_delay_alu instid0(VALU_DEP_2) | instskip(NEXT) | instid1(VALU_DEP_3)
	v_add_co_u32 v4, vcc_lo, s49, v0
	v_add_co_ci_u32_e32 v5, vcc_lo, s67, v1, vcc_lo
	v_mov_b32_e32 v0, 0
	global_store_b64 v[4:5], v[2:3], off
.LBB14_172:                             ;   in Loop: Header=BB14_13 Depth=1
	s_or_b32 exec_lo, exec_lo, s1
	s_mov_b32 s1, -1
	s_mov_b32 s3, exec_lo
	v_cmpx_gt_i32_e32 50, v0
; %bb.173:                              ;   in Loop: Header=BB14_13 Depth=1
	v_cmp_eq_u32_e32 vcc_lo, 0, v0
	s_or_not1_b32 s1, vcc_lo, exec_lo
; %bb.174:                              ;   in Loop: Header=BB14_13 Depth=1
	s_or_b32 exec_lo, exec_lo, s3
	s_delay_alu instid0(SALU_CYCLE_1)
	s_and_b32 exec_lo, exec_lo, s1
	s_cbranch_execz .LBB14_202
; %bb.175:                              ;   in Loop: Header=BB14_13 Depth=1
	v_cmp_gt_i32_e32 vcc_lo, s8, v36
	v_mov_b32_e32 v0, 50
	s_and_b32 s3, vcc_lo, s2
	s_delay_alu instid0(SALU_CYCLE_1)
	s_and_saveexec_b32 s1, s3
	s_cbranch_execz .LBB14_177
; %bb.176:                              ;   in Loop: Header=BB14_13 Depth=1
	ds_load_b32 v3, v232 offset:5824
	v_mad_u64_u32 v[0:1], null, v36, s9, v[146:147]
	s_delay_alu instid0(VALU_DEP_1) | instskip(NEXT) | instid1(VALU_DEP_1)
	v_mad_u64_u32 v[1:2], null, v0, 48, v[161:162]
	v_ashrrev_i32_e32 v2, 31, v1
	s_waitcnt lgkmcnt(0)
	v_lshrrev_b32_e32 v0, 16, v3
	v_cvt_f32_f16_e32 v3, v3
	s_delay_alu instid0(VALU_DEP_2) | instskip(SKIP_1) | instid1(VALU_DEP_2)
	v_cvt_f32_f16_e32 v4, v0
	v_lshlrev_b64 v[0:1], 3, v[1:2]
	v_dual_add_f32 v2, 0, v3 :: v_dual_add_f32 v3, 0, v4
	s_delay_alu instid0(VALU_DEP_2) | instskip(NEXT) | instid1(VALU_DEP_3)
	v_add_co_u32 v4, vcc_lo, s49, v0
	v_add_co_ci_u32_e32 v5, vcc_lo, s67, v1, vcc_lo
	v_mov_b32_e32 v0, 0
	global_store_b64 v[4:5], v[2:3], off
.LBB14_177:                             ;   in Loop: Header=BB14_13 Depth=1
	;; [unrolled: 38-line block ×3, first 2 shown]
	s_or_b32 exec_lo, exec_lo, s1
	s_mov_b32 s1, -1
	s_mov_b32 s3, exec_lo
	v_cmpx_gt_i32_e32 50, v0
; %bb.183:                              ;   in Loop: Header=BB14_13 Depth=1
	v_cmp_eq_u32_e32 vcc_lo, 0, v0
	s_or_not1_b32 s1, vcc_lo, exec_lo
; %bb.184:                              ;   in Loop: Header=BB14_13 Depth=1
	s_or_b32 exec_lo, exec_lo, s3
	s_delay_alu instid0(SALU_CYCLE_1)
	s_and_b32 exec_lo, exec_lo, s1
	s_cbranch_execz .LBB14_202
; %bb.185:                              ;   in Loop: Header=BB14_13 Depth=1
	v_cmp_gt_i32_e32 vcc_lo, s8, v34
	v_mov_b32_e32 v0, 50
	s_and_b32 s3, vcc_lo, s2
	s_delay_alu instid0(SALU_CYCLE_1)
	s_and_saveexec_b32 s1, s3
	s_cbranch_execz .LBB14_187
; %bb.186:                              ;   in Loop: Header=BB14_13 Depth=1
	scratch_load_b32 v0, off, off offset:548 ; 4-byte Folded Reload
	s_waitcnt vmcnt(0)
	ds_load_b32 v3, v0
	v_mad_u64_u32 v[0:1], null, v34, s9, v[146:147]
	s_delay_alu instid0(VALU_DEP_1) | instskip(NEXT) | instid1(VALU_DEP_1)
	v_mad_u64_u32 v[1:2], null, v0, 48, v[161:162]
	v_ashrrev_i32_e32 v2, 31, v1
	s_waitcnt lgkmcnt(0)
	v_lshrrev_b32_e32 v0, 16, v3
	v_cvt_f32_f16_e32 v3, v3
	s_delay_alu instid0(VALU_DEP_2) | instskip(SKIP_1) | instid1(VALU_DEP_2)
	v_cvt_f32_f16_e32 v4, v0
	v_lshlrev_b64 v[0:1], 3, v[1:2]
	v_dual_add_f32 v2, 0, v3 :: v_dual_add_f32 v3, 0, v4
	s_delay_alu instid0(VALU_DEP_2) | instskip(NEXT) | instid1(VALU_DEP_3)
	v_add_co_u32 v4, vcc_lo, s49, v0
	v_add_co_ci_u32_e32 v5, vcc_lo, s67, v1, vcc_lo
	v_mov_b32_e32 v0, 0
	global_store_b64 v[4:5], v[2:3], off
.LBB14_187:                             ;   in Loop: Header=BB14_13 Depth=1
	s_or_b32 exec_lo, exec_lo, s1
	s_mov_b32 s1, -1
	s_mov_b32 s3, exec_lo
	v_cmpx_gt_i32_e32 50, v0
; %bb.188:                              ;   in Loop: Header=BB14_13 Depth=1
	v_cmp_eq_u32_e32 vcc_lo, 0, v0
	s_or_not1_b32 s1, vcc_lo, exec_lo
; %bb.189:                              ;   in Loop: Header=BB14_13 Depth=1
	s_or_b32 exec_lo, exec_lo, s3
	s_delay_alu instid0(SALU_CYCLE_1)
	s_and_b32 exec_lo, exec_lo, s1
	s_cbranch_execz .LBB14_202
; %bb.190:                              ;   in Loop: Header=BB14_13 Depth=1
	v_cmp_gt_i32_e32 vcc_lo, s8, v33
	v_mov_b32_e32 v0, 50
	s_and_b32 s3, vcc_lo, s2
	s_delay_alu instid0(SALU_CYCLE_1)
	s_and_saveexec_b32 s1, s3
	s_cbranch_execz .LBB14_192
; %bb.191:                              ;   in Loop: Header=BB14_13 Depth=1
	ds_load_b32 v3, v232 offset:8320
	v_mad_u64_u32 v[0:1], null, v33, s9, v[146:147]
	s_delay_alu instid0(VALU_DEP_1) | instskip(NEXT) | instid1(VALU_DEP_1)
	v_mad_u64_u32 v[1:2], null, v0, 48, v[161:162]
	v_ashrrev_i32_e32 v2, 31, v1
	s_waitcnt lgkmcnt(0)
	v_lshrrev_b32_e32 v0, 16, v3
	v_cvt_f32_f16_e32 v3, v3
	s_delay_alu instid0(VALU_DEP_2) | instskip(SKIP_1) | instid1(VALU_DEP_2)
	v_cvt_f32_f16_e32 v4, v0
	v_lshlrev_b64 v[0:1], 3, v[1:2]
	v_dual_add_f32 v2, 0, v3 :: v_dual_add_f32 v3, 0, v4
	s_delay_alu instid0(VALU_DEP_2) | instskip(NEXT) | instid1(VALU_DEP_3)
	v_add_co_u32 v4, vcc_lo, s49, v0
	v_add_co_ci_u32_e32 v5, vcc_lo, s67, v1, vcc_lo
	v_mov_b32_e32 v0, 0
	global_store_b64 v[4:5], v[2:3], off
.LBB14_192:                             ;   in Loop: Header=BB14_13 Depth=1
	s_or_b32 exec_lo, exec_lo, s1
	s_mov_b32 s1, -1
	s_mov_b32 s3, exec_lo
	v_cmpx_gt_i32_e32 50, v0
; %bb.193:                              ;   in Loop: Header=BB14_13 Depth=1
	v_cmp_eq_u32_e32 vcc_lo, 0, v0
	s_or_not1_b32 s1, vcc_lo, exec_lo
; %bb.194:                              ;   in Loop: Header=BB14_13 Depth=1
	s_or_b32 exec_lo, exec_lo, s3
	s_delay_alu instid0(SALU_CYCLE_1)
	s_and_b32 exec_lo, exec_lo, s1
	s_cbranch_execz .LBB14_202
; %bb.195:                              ;   in Loop: Header=BB14_13 Depth=1
	v_cmp_gt_i32_e32 vcc_lo, s8, v32
	v_mov_b32_e32 v0, 50
	s_and_b32 s3, vcc_lo, s2
	s_delay_alu instid0(SALU_CYCLE_1)
	s_and_saveexec_b32 s1, s3
	s_cbranch_execz .LBB14_197
; %bb.196:                              ;   in Loop: Header=BB14_13 Depth=1
	ds_load_b32 v3, v232 offset:9152
	v_mad_u64_u32 v[0:1], null, v32, s9, v[146:147]
	s_delay_alu instid0(VALU_DEP_1) | instskip(NEXT) | instid1(VALU_DEP_1)
	v_mad_u64_u32 v[1:2], null, v0, 48, v[161:162]
	v_ashrrev_i32_e32 v2, 31, v1
	s_waitcnt lgkmcnt(0)
	v_lshrrev_b32_e32 v0, 16, v3
	v_cvt_f32_f16_e32 v3, v3
	s_delay_alu instid0(VALU_DEP_2) | instskip(SKIP_1) | instid1(VALU_DEP_2)
	v_cvt_f32_f16_e32 v4, v0
	v_lshlrev_b64 v[0:1], 3, v[1:2]
	v_dual_add_f32 v2, 0, v3 :: v_dual_add_f32 v3, 0, v4
	s_delay_alu instid0(VALU_DEP_2) | instskip(NEXT) | instid1(VALU_DEP_3)
	v_add_co_u32 v4, vcc_lo, s49, v0
	v_add_co_ci_u32_e32 v5, vcc_lo, s67, v1, vcc_lo
	v_mov_b32_e32 v0, 0
	global_store_b64 v[4:5], v[2:3], off
.LBB14_197:                             ;   in Loop: Header=BB14_13 Depth=1
	s_or_b32 exec_lo, exec_lo, s1
	s_mov_b32 s1, -1
	s_mov_b32 s3, exec_lo
	v_cmpx_gt_i32_e32 50, v0
; %bb.198:                              ;   in Loop: Header=BB14_13 Depth=1
	v_cmp_eq_u32_e32 vcc_lo, 0, v0
	s_or_not1_b32 s1, vcc_lo, exec_lo
; %bb.199:                              ;   in Loop: Header=BB14_13 Depth=1
	s_or_b32 exec_lo, exec_lo, s3
	s_delay_alu instid0(SALU_CYCLE_1)
	s_and_b32 exec_lo, exec_lo, s1
	s_cbranch_execz .LBB14_202
; %bb.200:                              ;   in Loop: Header=BB14_13 Depth=1
	scratch_load_b32 v0, off, off offset:140 ; 4-byte Folded Reload
	s_waitcnt vmcnt(0)
	v_cmp_gt_i32_e32 vcc_lo, s8, v0
	s_and_b32 s1, vcc_lo, s2
	s_delay_alu instid0(SALU_CYCLE_1)
	s_and_b32 exec_lo, exec_lo, s1
	s_cbranch_execz .LBB14_202
; %bb.201:                              ;   in Loop: Header=BB14_13 Depth=1
	scratch_load_b32 v2, off, off offset:140 ; 4-byte Folded Reload
	ds_load_b32 v3, v232 offset:9984
	s_waitcnt vmcnt(0)
	v_mad_u64_u32 v[0:1], null, v2, s9, v[146:147]
	s_delay_alu instid0(VALU_DEP_1) | instskip(SKIP_3) | instid1(VALU_DEP_2)
	v_mad_u64_u32 v[1:2], null, v0, 48, v[161:162]
	s_waitcnt lgkmcnt(0)
	v_lshrrev_b32_e32 v0, 16, v3
	v_cvt_f32_f16_e32 v3, v3
	v_cvt_f32_f16_e32 v4, v0
	s_delay_alu instid0(VALU_DEP_4) | instskip(NEXT) | instid1(VALU_DEP_1)
	v_ashrrev_i32_e32 v2, 31, v1
	v_lshlrev_b64 v[0:1], 3, v[1:2]
	s_delay_alu instid0(VALU_DEP_3) | instskip(NEXT) | instid1(VALU_DEP_2)
	v_dual_add_f32 v2, 0, v3 :: v_dual_add_f32 v3, 0, v4
	v_add_co_u32 v0, vcc_lo, s49, v0
	s_delay_alu instid0(VALU_DEP_3)
	v_add_co_ci_u32_e32 v1, vcc_lo, s67, v1, vcc_lo
	global_store_b64 v[0:1], v[2:3], off
.LBB14_202:                             ;   in Loop: Header=BB14_13 Depth=1
	s_or_b32 exec_lo, exec_lo, s0
	v_cmp_gt_i32_e64 s1, s8, v175
	v_cmp_gt_i32_e64 s2, s33, v188
	v_cmp_le_i32_e32 vcc_lo, s33, v188
	v_mov_b32_e32 v0, 50
	s_delay_alu instid0(VALU_DEP_3) | instskip(NEXT) | instid1(SALU_CYCLE_1)
	s_and_b32 s1, s1, s2
	s_and_saveexec_b32 s0, s1
	s_cbranch_execz .LBB14_204
; %bb.203:                              ;   in Loop: Header=BB14_13 Depth=1
	v_mad_u64_u32 v[0:1], null, v175, s9, v[244:245]
	ds_load_b32 v2, v191 offset:128
	v_mul_lo_u32 v0, v0, 48
	s_delay_alu instid0(VALU_DEP_1) | instskip(SKIP_1) | instid1(VALU_DEP_2)
	v_ashrrev_i32_e32 v1, 31, v0
	v_or_b32_e32 v0, v0, v148
	v_or_b32_e32 v1, 0, v1
	s_waitcnt lgkmcnt(0)
	v_lshrrev_b32_e32 v3, 16, v2
	v_cvt_f32_f16_e32 v2, v2
	s_delay_alu instid0(VALU_DEP_3) | instskip(NEXT) | instid1(VALU_DEP_3)
	v_lshlrev_b64 v[0:1], 3, v[0:1]
	v_cvt_f32_f16_e32 v3, v3
	s_delay_alu instid0(VALU_DEP_1) | instskip(NEXT) | instid1(VALU_DEP_3)
	v_dual_add_f32 v2, 0, v2 :: v_dual_add_f32 v3, 0, v3
	v_add_co_u32 v4, s1, s49, v0
	s_delay_alu instid0(VALU_DEP_1)
	v_add_co_ci_u32_e64 v5, s1, s67, v1, s1
	v_mov_b32_e32 v0, 0
	global_store_b64 v[4:5], v[2:3], off offset:256
.LBB14_204:                             ;   in Loop: Header=BB14_13 Depth=1
	s_or_b32 exec_lo, exec_lo, s0
	s_mov_b32 s3, -1
	s_mov_b32 s0, exec_lo
	v_cmpx_gt_i32_e32 50, v0
; %bb.205:                              ;   in Loop: Header=BB14_13 Depth=1
	v_cmp_eq_u32_e64 s1, 0, v0
	s_delay_alu instid0(VALU_DEP_1)
	s_or_not1_b32 s3, s1, exec_lo
; %bb.206:                              ;   in Loop: Header=BB14_13 Depth=1
	s_or_b32 exec_lo, exec_lo, s0
	s_mov_b32 s0, 0
	s_mov_b32 s75, 0
                                        ; implicit-def: $vgpr1
                                        ; implicit-def: $vgpr2
	s_and_saveexec_b32 s2, s3
	s_cbranch_execz .LBB14_246
; %bb.207:                              ;   in Loop: Header=BB14_13 Depth=1
	v_cmp_gt_i32_e64 s1, s8, v174
	v_mov_b32_e32 v0, 50
	s_xor_b32 s3, vcc_lo, -1
	s_delay_alu instid0(VALU_DEP_2) | instid1(SALU_CYCLE_1)
	s_and_b32 s4, s1, s3
	s_delay_alu instid0(SALU_CYCLE_1)
	s_and_saveexec_b32 s1, s4
	s_cbranch_execz .LBB14_209
; %bb.208:                              ;   in Loop: Header=BB14_13 Depth=1
	v_mad_u64_u32 v[0:1], null, v174, s9, v[244:245]
	ds_load_b32 v2, v191 offset:1792
	v_mul_lo_u32 v0, v0, 48
	s_delay_alu instid0(VALU_DEP_1) | instskip(SKIP_1) | instid1(VALU_DEP_2)
	v_ashrrev_i32_e32 v1, 31, v0
	v_or_b32_e32 v0, v0, v148
	v_or_b32_e32 v1, 0, v1
	s_waitcnt lgkmcnt(0)
	v_lshrrev_b32_e32 v3, 16, v2
	v_cvt_f32_f16_e32 v2, v2
	s_delay_alu instid0(VALU_DEP_3) | instskip(NEXT) | instid1(VALU_DEP_3)
	v_lshlrev_b64 v[0:1], 3, v[0:1]
	v_cvt_f32_f16_e32 v3, v3
	s_delay_alu instid0(VALU_DEP_1) | instskip(NEXT) | instid1(VALU_DEP_3)
	v_dual_add_f32 v2, 0, v2 :: v_dual_add_f32 v3, 0, v3
	v_add_co_u32 v4, vcc_lo, s49, v0
	s_delay_alu instid0(VALU_DEP_4)
	v_add_co_ci_u32_e32 v5, vcc_lo, s67, v1, vcc_lo
	v_mov_b32_e32 v0, 0
	global_store_b64 v[4:5], v[2:3], off offset:256
.LBB14_209:                             ;   in Loop: Header=BB14_13 Depth=1
	s_or_b32 exec_lo, exec_lo, s1
	s_mov_b32 s5, -1
	s_mov_b32 s1, exec_lo
	v_cmpx_gt_i32_e32 50, v0
; %bb.210:                              ;   in Loop: Header=BB14_13 Depth=1
	v_cmp_eq_u32_e32 vcc_lo, 0, v0
	s_or_not1_b32 s5, vcc_lo, exec_lo
; %bb.211:                              ;   in Loop: Header=BB14_13 Depth=1
	s_or_b32 exec_lo, exec_lo, s1
	s_mov_b32 s4, 0
                                        ; implicit-def: $vgpr1
                                        ; implicit-def: $vgpr2
	s_and_saveexec_b32 s1, s5
	s_cbranch_execz .LBB14_245
; %bb.212:                              ;   in Loop: Header=BB14_13 Depth=1
	v_cmp_gt_i32_e32 vcc_lo, s8, v173
	v_mov_b32_e32 v0, 50
	s_and_b32 s5, vcc_lo, s3
	s_delay_alu instid0(SALU_CYCLE_1)
	s_and_saveexec_b32 s4, s5
	s_cbranch_execz .LBB14_214
; %bb.213:                              ;   in Loop: Header=BB14_13 Depth=1
	v_mad_u64_u32 v[0:1], null, v173, s9, v[244:245]
	scratch_load_b32 v1, off, off offset:508 ; 4-byte Folded Reload
	v_mul_lo_u32 v0, v0, 48
	s_waitcnt vmcnt(0)
	ds_load_b32 v2, v1 offset:128
	v_ashrrev_i32_e32 v1, 31, v0
	v_or_b32_e32 v0, v0, v148
	s_delay_alu instid0(VALU_DEP_2) | instskip(NEXT) | instid1(VALU_DEP_1)
	v_or_b32_e32 v1, 0, v1
	v_lshlrev_b64 v[0:1], 3, v[0:1]
	s_delay_alu instid0(VALU_DEP_1) | instskip(NEXT) | instid1(VALU_DEP_2)
	v_add_co_u32 v4, vcc_lo, s49, v0
	v_add_co_ci_u32_e32 v5, vcc_lo, s67, v1, vcc_lo
	s_waitcnt lgkmcnt(0)
	v_lshrrev_b32_e32 v3, 16, v2
	v_cvt_f32_f16_e32 v2, v2
	v_mov_b32_e32 v0, 0
	s_delay_alu instid0(VALU_DEP_3) | instskip(NEXT) | instid1(VALU_DEP_1)
	v_cvt_f32_f16_e32 v3, v3
	v_dual_add_f32 v2, 0, v2 :: v_dual_add_f32 v3, 0, v3
	global_store_b64 v[4:5], v[2:3], off offset:256
.LBB14_214:                             ;   in Loop: Header=BB14_13 Depth=1
	s_or_b32 exec_lo, exec_lo, s4
	s_mov_b32 s50, -1
	s_mov_b32 s4, exec_lo
	v_cmpx_gt_i32_e32 50, v0
; %bb.215:                              ;   in Loop: Header=BB14_13 Depth=1
	v_cmp_eq_u32_e32 vcc_lo, 0, v0
	s_or_not1_b32 s50, vcc_lo, exec_lo
; %bb.216:                              ;   in Loop: Header=BB14_13 Depth=1
	s_or_b32 exec_lo, exec_lo, s4
	s_mov_b32 s5, 0
                                        ; implicit-def: $vgpr1
                                        ; implicit-def: $vgpr2
	s_and_saveexec_b32 s4, s50
	s_cbranch_execz .LBB14_244
; %bb.217:                              ;   in Loop: Header=BB14_13 Depth=1
	v_cmp_gt_i32_e32 vcc_lo, s8, v178
	v_mov_b32_e32 v0, 50
	s_and_b32 s50, vcc_lo, s3
	s_delay_alu instid0(SALU_CYCLE_1)
	s_and_saveexec_b32 s5, s50
	s_cbranch_execz .LBB14_219
; %bb.218:                              ;   in Loop: Header=BB14_13 Depth=1
	v_mad_u64_u32 v[0:1], null, v178, s9, v[244:245]
	ds_load_b32 v2, v191 offset:5120
	v_mul_lo_u32 v0, v0, 48
	s_delay_alu instid0(VALU_DEP_1) | instskip(SKIP_1) | instid1(VALU_DEP_2)
	v_ashrrev_i32_e32 v1, 31, v0
	v_or_b32_e32 v0, v0, v148
	v_or_b32_e32 v1, 0, v1
	s_waitcnt lgkmcnt(0)
	v_lshrrev_b32_e32 v3, 16, v2
	v_cvt_f32_f16_e32 v2, v2
	s_delay_alu instid0(VALU_DEP_3) | instskip(NEXT) | instid1(VALU_DEP_3)
	v_lshlrev_b64 v[0:1], 3, v[0:1]
	v_cvt_f32_f16_e32 v3, v3
	s_delay_alu instid0(VALU_DEP_1) | instskip(NEXT) | instid1(VALU_DEP_3)
	v_dual_add_f32 v2, 0, v2 :: v_dual_add_f32 v3, 0, v3
	v_add_co_u32 v4, vcc_lo, s49, v0
	s_delay_alu instid0(VALU_DEP_4)
	v_add_co_ci_u32_e32 v5, vcc_lo, s67, v1, vcc_lo
	v_mov_b32_e32 v0, 0
	global_store_b64 v[4:5], v[2:3], off offset:256
.LBB14_219:                             ;   in Loop: Header=BB14_13 Depth=1
	s_or_b32 exec_lo, exec_lo, s5
	s_mov_b32 s51, -1
	s_mov_b32 s5, exec_lo
	v_cmpx_gt_i32_e32 50, v0
; %bb.220:                              ;   in Loop: Header=BB14_13 Depth=1
	v_cmp_eq_u32_e32 vcc_lo, 0, v0
	s_or_not1_b32 s51, vcc_lo, exec_lo
; %bb.221:                              ;   in Loop: Header=BB14_13 Depth=1
	s_or_b32 exec_lo, exec_lo, s5
	s_mov_b32 s50, 0
                                        ; implicit-def: $vgpr1
                                        ; implicit-def: $vgpr2
	s_and_saveexec_b32 s5, s51
	s_cbranch_execz .LBB14_243
; %bb.222:                              ;   in Loop: Header=BB14_13 Depth=1
	v_cmp_gt_i32_e32 vcc_lo, s8, v31
	v_mov_b32_e32 v0, 50
	s_and_b32 s51, vcc_lo, s3
	s_delay_alu instid0(SALU_CYCLE_1)
	s_and_saveexec_b32 s50, s51
	s_cbranch_execz .LBB14_224
; %bb.223:                              ;   in Loop: Header=BB14_13 Depth=1
	v_mad_u64_u32 v[0:1], null, v31, s9, v[244:245]
	scratch_load_b32 v1, off, off offset:520 ; 4-byte Folded Reload
	v_mul_lo_u32 v0, v0, 48
	s_waitcnt vmcnt(0)
	ds_load_b32 v2, v1 offset:128
	v_ashrrev_i32_e32 v1, 31, v0
	v_or_b32_e32 v0, v0, v148
	s_delay_alu instid0(VALU_DEP_2) | instskip(NEXT) | instid1(VALU_DEP_1)
	v_or_b32_e32 v1, 0, v1
	v_lshlrev_b64 v[0:1], 3, v[0:1]
	s_delay_alu instid0(VALU_DEP_1) | instskip(NEXT) | instid1(VALU_DEP_2)
	v_add_co_u32 v4, vcc_lo, s49, v0
	v_add_co_ci_u32_e32 v5, vcc_lo, s67, v1, vcc_lo
	s_waitcnt lgkmcnt(0)
	v_lshrrev_b32_e32 v3, 16, v2
	v_cvt_f32_f16_e32 v2, v2
	v_mov_b32_e32 v0, 0
	s_delay_alu instid0(VALU_DEP_3) | instskip(NEXT) | instid1(VALU_DEP_1)
	v_cvt_f32_f16_e32 v3, v3
	v_dual_add_f32 v2, 0, v2 :: v_dual_add_f32 v3, 0, v3
	global_store_b64 v[4:5], v[2:3], off offset:256
.LBB14_224:                             ;   in Loop: Header=BB14_13 Depth=1
	s_or_b32 exec_lo, exec_lo, s50
	s_mov_b32 s52, -1
	s_mov_b32 s50, exec_lo
	v_cmpx_gt_i32_e32 50, v0
; %bb.225:                              ;   in Loop: Header=BB14_13 Depth=1
	v_cmp_eq_u32_e32 vcc_lo, 0, v0
	s_or_not1_b32 s52, vcc_lo, exec_lo
; %bb.226:                              ;   in Loop: Header=BB14_13 Depth=1
	s_or_b32 exec_lo, exec_lo, s50
	s_mov_b32 s51, 0
                                        ; implicit-def: $vgpr1
                                        ; implicit-def: $vgpr2
	s_and_saveexec_b32 s50, s52
	s_cbranch_execz .LBB14_242
; %bb.227:                              ;   in Loop: Header=BB14_13 Depth=1
	v_cmp_gt_i32_e32 vcc_lo, s8, v30
	v_mov_b32_e32 v0, 50
	s_and_b32 s52, vcc_lo, s3
	s_delay_alu instid0(SALU_CYCLE_1)
	s_and_saveexec_b32 s51, s52
	s_cbranch_execz .LBB14_229
; %bb.228:                              ;   in Loop: Header=BB14_13 Depth=1
	v_mad_u64_u32 v[0:1], null, v30, s9, v[244:245]
	ds_load_b32 v2, v191 offset:8448
	v_mul_lo_u32 v0, v0, 48
	s_delay_alu instid0(VALU_DEP_1) | instskip(SKIP_1) | instid1(VALU_DEP_2)
	v_ashrrev_i32_e32 v1, 31, v0
	v_or_b32_e32 v0, v0, v148
	v_or_b32_e32 v1, 0, v1
	s_waitcnt lgkmcnt(0)
	v_lshrrev_b32_e32 v3, 16, v2
	v_cvt_f32_f16_e32 v2, v2
	s_delay_alu instid0(VALU_DEP_3) | instskip(NEXT) | instid1(VALU_DEP_3)
	v_lshlrev_b64 v[0:1], 3, v[0:1]
	v_cvt_f32_f16_e32 v3, v3
	s_delay_alu instid0(VALU_DEP_1) | instskip(NEXT) | instid1(VALU_DEP_3)
	v_dual_add_f32 v2, 0, v2 :: v_dual_add_f32 v3, 0, v3
	v_add_co_u32 v4, vcc_lo, s49, v0
	s_delay_alu instid0(VALU_DEP_4)
	v_add_co_ci_u32_e32 v5, vcc_lo, s67, v1, vcc_lo
	v_mov_b32_e32 v0, 0
	global_store_b64 v[4:5], v[2:3], off offset:256
.LBB14_229:                             ;   in Loop: Header=BB14_13 Depth=1
	s_or_b32 exec_lo, exec_lo, s51
	s_mov_b32 s53, -1
	s_mov_b32 s51, exec_lo
	v_cmpx_gt_i32_e32 50, v0
; %bb.230:                              ;   in Loop: Header=BB14_13 Depth=1
	v_cmp_eq_u32_e32 vcc_lo, 0, v0
	s_or_not1_b32 s53, vcc_lo, exec_lo
; %bb.231:                              ;   in Loop: Header=BB14_13 Depth=1
	s_or_b32 exec_lo, exec_lo, s51
	s_mov_b32 s52, 0
                                        ; implicit-def: $vgpr1
                                        ; implicit-def: $vgpr2
	s_and_saveexec_b32 s51, s53
	s_cbranch_execz .LBB14_241
; %bb.232:                              ;   in Loop: Header=BB14_13 Depth=1
	v_cmp_gt_i32_e32 vcc_lo, s8, v29
	v_mov_b32_e32 v0, 50
	s_and_b32 s53, vcc_lo, s3
	s_delay_alu instid0(SALU_CYCLE_1)
	s_and_saveexec_b32 s52, s53
	s_cbranch_execz .LBB14_234
; %bb.233:                              ;   in Loop: Header=BB14_13 Depth=1
	v_mad_u64_u32 v[0:1], null, v29, s9, v[244:245]
	scratch_load_b32 v1, off, off offset:532 ; 4-byte Folded Reload
	v_mul_lo_u32 v0, v0, 48
	s_waitcnt vmcnt(0)
	ds_load_b32 v2, v1 offset:128
	v_ashrrev_i32_e32 v1, 31, v0
	v_or_b32_e32 v0, v0, v148
	s_delay_alu instid0(VALU_DEP_2) | instskip(NEXT) | instid1(VALU_DEP_1)
	v_or_b32_e32 v1, 0, v1
	v_lshlrev_b64 v[0:1], 3, v[0:1]
	s_delay_alu instid0(VALU_DEP_1) | instskip(NEXT) | instid1(VALU_DEP_2)
	v_add_co_u32 v4, vcc_lo, s49, v0
	v_add_co_ci_u32_e32 v5, vcc_lo, s67, v1, vcc_lo
	s_waitcnt lgkmcnt(0)
	v_lshrrev_b32_e32 v3, 16, v2
	v_cvt_f32_f16_e32 v2, v2
	v_mov_b32_e32 v0, 0
	s_delay_alu instid0(VALU_DEP_3) | instskip(NEXT) | instid1(VALU_DEP_1)
	v_cvt_f32_f16_e32 v3, v3
	v_dual_add_f32 v2, 0, v2 :: v_dual_add_f32 v3, 0, v3
	global_store_b64 v[4:5], v[2:3], off offset:256
.LBB14_234:                             ;   in Loop: Header=BB14_13 Depth=1
	s_or_b32 exec_lo, exec_lo, s52
	s_mov_b32 s54, -1
	s_mov_b32 s52, exec_lo
	v_cmpx_gt_i32_e32 50, v0
; %bb.235:                              ;   in Loop: Header=BB14_13 Depth=1
	v_cmp_eq_u32_e32 vcc_lo, 0, v0
	s_or_not1_b32 s54, vcc_lo, exec_lo
; %bb.236:                              ;   in Loop: Header=BB14_13 Depth=1
	s_or_b32 exec_lo, exec_lo, s52
	s_mov_b32 s53, 0
                                        ; implicit-def: $vgpr1
                                        ; implicit-def: $vgpr2
	s_and_saveexec_b32 s52, s54
	s_cbranch_execz .LBB14_240
; %bb.237:                              ;   in Loop: Header=BB14_13 Depth=1
	v_cmp_gt_i32_e32 vcc_lo, s8, v28
                                        ; implicit-def: $vgpr1
                                        ; implicit-def: $vgpr2
	s_and_b32 s53, vcc_lo, s3
	s_mov_b32 s3, 0
	s_and_saveexec_b32 s54, s53
	s_delay_alu instid0(SALU_CYCLE_1)
	s_xor_b32 s53, exec_lo, s54
	s_cbranch_execz .LBB14_239
; %bb.238:                              ;   in Loop: Header=BB14_13 Depth=1
	ds_load_b32 v0, v191 offset:11776
	v_mad_u64_u32 v[2:3], null, v28, s9, v[244:245]
	s_mov_b32 s3, exec_lo
	s_waitcnt lgkmcnt(0)
	v_lshrrev_b32_e32 v1, 16, v0
	v_cvt_f32_f16_e32 v0, v0
	s_delay_alu instid0(VALU_DEP_2) | instskip(NEXT) | instid1(VALU_DEP_1)
	v_cvt_f32_f16_e32 v1, v1
	v_dual_add_f32 v0, 0, v0 :: v_dual_add_f32 v1, 0, v1
.LBB14_239:                             ;   in Loop: Header=BB14_13 Depth=1
	s_or_b32 exec_lo, exec_lo, s53
	s_delay_alu instid0(SALU_CYCLE_1)
	s_and_b32 s53, s3, exec_lo
.LBB14_240:                             ;   in Loop: Header=BB14_13 Depth=1
	s_or_b32 exec_lo, exec_lo, s52
	s_delay_alu instid0(SALU_CYCLE_1)
	s_and_b32 s52, s53, exec_lo
.LBB14_241:                             ;   in Loop: Header=BB14_13 Depth=1
	s_or_b32 exec_lo, exec_lo, s51
	s_delay_alu instid0(SALU_CYCLE_1)
	s_and_b32 s51, s52, exec_lo
.LBB14_242:                             ;   in Loop: Header=BB14_13 Depth=1
	s_or_b32 exec_lo, exec_lo, s50
	s_delay_alu instid0(SALU_CYCLE_1)
	s_and_b32 s50, s51, exec_lo
.LBB14_243:                             ;   in Loop: Header=BB14_13 Depth=1
	s_or_b32 exec_lo, exec_lo, s5
	s_delay_alu instid0(SALU_CYCLE_1)
	s_and_b32 s5, s50, exec_lo
.LBB14_244:                             ;   in Loop: Header=BB14_13 Depth=1
	s_or_b32 exec_lo, exec_lo, s4
	s_delay_alu instid0(SALU_CYCLE_1)
	s_and_b32 s4, s5, exec_lo
.LBB14_245:                             ;   in Loop: Header=BB14_13 Depth=1
	s_or_b32 exec_lo, exec_lo, s1
	s_delay_alu instid0(SALU_CYCLE_1)
	s_and_b32 s75, s4, exec_lo
.LBB14_246:                             ;   in Loop: Header=BB14_13 Depth=1
	s_or_b32 exec_lo, exec_lo, s2
	s_delay_alu instid0(SALU_CYCLE_1)
	s_and_b32 vcc_lo, exec_lo, s0
	s_cbranch_vccz .LBB14_115
.LBB14_247:                             ;   in Loop: Header=BB14_13 Depth=1
	s_lshl_b32 s2, s78, 4
	v_cmp_gt_i32_e32 vcc_lo, s33, v169
	v_add_nc_u32_e32 v11, s2, v147
	s_delay_alu instid0(VALU_DEP_1) | instskip(NEXT) | instid1(VALU_DEP_1)
	v_cmp_gt_i32_e64 s1, s8, v11
	s_and_b32 s53, s1, vcc_lo
	s_delay_alu instid0(SALU_CYCLE_1) | instskip(NEXT) | instid1(SALU_CYCLE_1)
	s_xor_b32 s0, s53, -1
	s_and_saveexec_b32 s1, s0
	s_delay_alu instid0(SALU_CYCLE_1)
	s_xor_b32 s0, exec_lo, s1
	s_cbranch_execz .LBB14_249
; %bb.248:                              ;   in Loop: Header=BB14_13 Depth=1
	ds_store_b32 v152, v194
.LBB14_249:                             ;   in Loop: Header=BB14_13 Depth=1
	s_and_not1_saveexec_b32 s0, s0
	s_cbranch_execz .LBB14_251
; %bb.250:                              ;   in Loop: Header=BB14_13 Depth=1
	v_mad_u64_u32 v[0:1], null, v11, s59, v[27:28]
	s_delay_alu instid0(VALU_DEP_1) | instskip(NEXT) | instid1(VALU_DEP_1)
	v_ashrrev_i32_e32 v1, 31, v0
	v_lshlrev_b64 v[0:1], 3, v[0:1]
	s_delay_alu instid0(VALU_DEP_1) | instskip(NEXT) | instid1(VALU_DEP_1)
	v_add_co_u32 v0, s1, s46, v0
	v_add_co_ci_u32_e64 v1, s1, s55, v1, s1
	global_load_b64 v[0:1], v[0:1], off
	s_waitcnt vmcnt(0)
	v_cvt_f16_f32_e32 v0, v0
	v_cvt_f16_f32_e32 v1, v1
	s_delay_alu instid0(VALU_DEP_1) | instskip(NEXT) | instid1(VALU_DEP_1)
	v_pack_b32_f16 v0, v0, v1
	v_pk_mul_f16 v0, v195, v0
	ds_store_b32 v152, v0
.LBB14_251:                             ;   in Loop: Header=BB14_13 Depth=1
	s_or_b32 exec_lo, exec_lo, s0
	v_add_nc_u32_e32 v10, s2, v196
	s_delay_alu instid0(VALU_DEP_1) | instskip(NEXT) | instid1(VALU_DEP_1)
	v_cmp_gt_i32_e64 s1, s8, v10
	s_and_b32 s52, s1, vcc_lo
	s_delay_alu instid0(SALU_CYCLE_1) | instskip(NEXT) | instid1(SALU_CYCLE_1)
	s_xor_b32 s0, s52, -1
	s_and_saveexec_b32 s1, s0
	s_delay_alu instid0(SALU_CYCLE_1)
	s_xor_b32 s0, exec_lo, s1
	s_cbranch_execz .LBB14_253
; %bb.252:                              ;   in Loop: Header=BB14_13 Depth=1
	ds_store_b32 v198, v194
.LBB14_253:                             ;   in Loop: Header=BB14_13 Depth=1
	s_and_not1_saveexec_b32 s0, s0
	s_cbranch_execz .LBB14_255
; %bb.254:                              ;   in Loop: Header=BB14_13 Depth=1
	v_mad_u64_u32 v[0:1], null, v10, s59, v[27:28]
	s_delay_alu instid0(VALU_DEP_1) | instskip(NEXT) | instid1(VALU_DEP_1)
	v_ashrrev_i32_e32 v1, 31, v0
	v_lshlrev_b64 v[0:1], 3, v[0:1]
	s_delay_alu instid0(VALU_DEP_1) | instskip(NEXT) | instid1(VALU_DEP_1)
	v_add_co_u32 v0, s1, s46, v0
	v_add_co_ci_u32_e64 v1, s1, s55, v1, s1
	global_load_b64 v[0:1], v[0:1], off
	s_waitcnt vmcnt(0)
	v_cvt_f16_f32_e32 v0, v0
	v_cvt_f16_f32_e32 v1, v1
	s_delay_alu instid0(VALU_DEP_1) | instskip(NEXT) | instid1(VALU_DEP_1)
	v_pack_b32_f16 v0, v0, v1
	v_pk_mul_f16 v0, v195, v0
	ds_store_b32 v198, v0
.LBB14_255:                             ;   in Loop: Header=BB14_13 Depth=1
	s_or_b32 exec_lo, exec_lo, s0
	;; [unrolled: 33-line block ×4, first 2 shown]
	v_add_nc_u32_e32 v7, s2, v235
	s_delay_alu instid0(VALU_DEP_1) | instskip(NEXT) | instid1(VALU_DEP_1)
	v_cmp_gt_i32_e64 s1, s8, v7
	s_and_b32 s0, s1, vcc_lo
	s_delay_alu instid0(SALU_CYCLE_1) | instskip(NEXT) | instid1(SALU_CYCLE_1)
	s_xor_b32 s1, s0, -1
	s_and_saveexec_b32 s3, s1
	s_delay_alu instid0(SALU_CYCLE_1)
	s_xor_b32 s1, exec_lo, s3
	s_cbranch_execz .LBB14_265
; %bb.264:                              ;   in Loop: Header=BB14_13 Depth=1
	ds_store_b32 v232, v194 offset:832
.LBB14_265:                             ;   in Loop: Header=BB14_13 Depth=1
	s_and_not1_saveexec_b32 s3, s1
	s_cbranch_execz .LBB14_267
; %bb.266:                              ;   in Loop: Header=BB14_13 Depth=1
	v_mad_u64_u32 v[0:1], null, v7, s59, v[27:28]
	s_delay_alu instid0(VALU_DEP_1) | instskip(NEXT) | instid1(VALU_DEP_1)
	v_ashrrev_i32_e32 v1, 31, v0
	v_lshlrev_b64 v[0:1], 3, v[0:1]
	s_delay_alu instid0(VALU_DEP_1) | instskip(NEXT) | instid1(VALU_DEP_1)
	v_add_co_u32 v0, s1, s46, v0
	v_add_co_ci_u32_e64 v1, s1, s55, v1, s1
	global_load_b64 v[0:1], v[0:1], off
	s_waitcnt vmcnt(0)
	v_cvt_f16_f32_e32 v0, v0
	v_cvt_f16_f32_e32 v1, v1
	s_delay_alu instid0(VALU_DEP_1) | instskip(NEXT) | instid1(VALU_DEP_1)
	v_pack_b32_f16 v0, v0, v1
	v_pk_mul_f16 v0, v195, v0
	ds_store_b32 v232, v0 offset:832
.LBB14_267:                             ;   in Loop: Header=BB14_13 Depth=1
	s_or_b32 exec_lo, exec_lo, s3
	v_add_nc_u32_e32 v6, s2, v245
	s_delay_alu instid0(VALU_DEP_1) | instskip(NEXT) | instid1(VALU_DEP_1)
	v_cmp_gt_i32_e64 s1, s8, v6
	s_and_b32 s82, s1, vcc_lo
	s_delay_alu instid0(SALU_CYCLE_1) | instskip(NEXT) | instid1(SALU_CYCLE_1)
	s_xor_b32 s1, s82, -1
	s_and_saveexec_b32 s3, s1
	s_delay_alu instid0(SALU_CYCLE_1)
	s_xor_b32 s1, exec_lo, s3
	s_cbranch_execz .LBB14_269
; %bb.268:                              ;   in Loop: Header=BB14_13 Depth=1
	ds_store_b32 v232, v194 offset:1664
.LBB14_269:                             ;   in Loop: Header=BB14_13 Depth=1
	s_and_not1_saveexec_b32 s3, s1
	s_cbranch_execz .LBB14_271
; %bb.270:                              ;   in Loop: Header=BB14_13 Depth=1
	v_mad_u64_u32 v[0:1], null, v6, s59, v[27:28]
	s_delay_alu instid0(VALU_DEP_1) | instskip(NEXT) | instid1(VALU_DEP_1)
	v_ashrrev_i32_e32 v1, 31, v0
	v_lshlrev_b64 v[0:1], 3, v[0:1]
	s_delay_alu instid0(VALU_DEP_1) | instskip(NEXT) | instid1(VALU_DEP_1)
	v_add_co_u32 v0, s1, s46, v0
	v_add_co_ci_u32_e64 v1, s1, s55, v1, s1
	global_load_b64 v[0:1], v[0:1], off
	s_waitcnt vmcnt(0)
	v_cvt_f16_f32_e32 v0, v0
	v_cvt_f16_f32_e32 v1, v1
	s_delay_alu instid0(VALU_DEP_1) | instskip(NEXT) | instid1(VALU_DEP_1)
	v_pack_b32_f16 v0, v0, v1
	v_pk_mul_f16 v0, v195, v0
	ds_store_b32 v232, v0 offset:1664
.LBB14_271:                             ;   in Loop: Header=BB14_13 Depth=1
	s_or_b32 exec_lo, exec_lo, s3
	;; [unrolled: 33-line block ×5, first 2 shown]
	scratch_load_b32 v0, off, off offset:92 ; 4-byte Folded Reload
	s_waitcnt vmcnt(0)
	v_add_nc_u32_e32 v2, s2, v0
	s_delay_alu instid0(VALU_DEP_1) | instskip(NEXT) | instid1(VALU_DEP_1)
	v_cmp_gt_i32_e64 s1, s8, v2
	s_and_b32 s94, s1, vcc_lo
	s_delay_alu instid0(SALU_CYCLE_1) | instskip(NEXT) | instid1(SALU_CYCLE_1)
	s_xor_b32 s1, s94, -1
	s_and_saveexec_b32 s3, s1
	s_delay_alu instid0(SALU_CYCLE_1)
	s_xor_b32 s1, exec_lo, s3
	s_cbranch_execz .LBB14_285
; %bb.284:                              ;   in Loop: Header=BB14_13 Depth=1
	ds_store_b32 v232, v194 offset:4992
.LBB14_285:                             ;   in Loop: Header=BB14_13 Depth=1
	s_and_not1_saveexec_b32 s3, s1
	s_cbranch_execz .LBB14_287
; %bb.286:                              ;   in Loop: Header=BB14_13 Depth=1
	v_mad_u64_u32 v[0:1], null, v2, s59, v[27:28]
	s_delay_alu instid0(VALU_DEP_1) | instskip(NEXT) | instid1(VALU_DEP_1)
	v_ashrrev_i32_e32 v1, 31, v0
	v_lshlrev_b64 v[0:1], 3, v[0:1]
	s_delay_alu instid0(VALU_DEP_1) | instskip(NEXT) | instid1(VALU_DEP_1)
	v_add_co_u32 v0, s1, s46, v0
	v_add_co_ci_u32_e64 v1, s1, s55, v1, s1
	global_load_b64 v[0:1], v[0:1], off
	s_waitcnt vmcnt(0)
	v_cvt_f16_f32_e32 v0, v0
	v_cvt_f16_f32_e32 v1, v1
	s_delay_alu instid0(VALU_DEP_1) | instskip(NEXT) | instid1(VALU_DEP_1)
	v_pack_b32_f16 v0, v0, v1
	v_pk_mul_f16 v0, v195, v0
	ds_store_b32 v232, v0 offset:4992
.LBB14_287:                             ;   in Loop: Header=BB14_13 Depth=1
	s_or_b32 exec_lo, exec_lo, s3
	scratch_load_b32 v0, off, off offset:96 ; 4-byte Folded Reload
	s_waitcnt vmcnt(0)
	v_add_nc_u32_e32 v243, s2, v0
	s_delay_alu instid0(VALU_DEP_1) | instskip(NEXT) | instid1(VALU_DEP_1)
	v_cmp_gt_i32_e64 s1, s8, v243
	s_and_b32 s93, s1, vcc_lo
	s_delay_alu instid0(SALU_CYCLE_1) | instskip(NEXT) | instid1(SALU_CYCLE_1)
	s_xor_b32 s1, s93, -1
	s_and_saveexec_b32 s3, s1
	s_delay_alu instid0(SALU_CYCLE_1)
	s_xor_b32 s1, exec_lo, s3
	s_cbranch_execz .LBB14_289
; %bb.288:                              ;   in Loop: Header=BB14_13 Depth=1
	ds_store_b32 v232, v194 offset:5824
.LBB14_289:                             ;   in Loop: Header=BB14_13 Depth=1
	s_and_not1_saveexec_b32 s3, s1
	s_cbranch_execz .LBB14_291
; %bb.290:                              ;   in Loop: Header=BB14_13 Depth=1
	v_mad_u64_u32 v[0:1], null, v243, s59, v[27:28]
	s_delay_alu instid0(VALU_DEP_1) | instskip(NEXT) | instid1(VALU_DEP_1)
	v_ashrrev_i32_e32 v1, 31, v0
	v_lshlrev_b64 v[0:1], 3, v[0:1]
	s_delay_alu instid0(VALU_DEP_1) | instskip(NEXT) | instid1(VALU_DEP_1)
	v_add_co_u32 v0, s1, s46, v0
	v_add_co_ci_u32_e64 v1, s1, s55, v1, s1
	global_load_b64 v[0:1], v[0:1], off
	s_waitcnt vmcnt(0)
	v_cvt_f16_f32_e32 v0, v0
	v_cvt_f16_f32_e32 v1, v1
	s_delay_alu instid0(VALU_DEP_1) | instskip(NEXT) | instid1(VALU_DEP_1)
	v_pack_b32_f16 v0, v0, v1
	v_pk_mul_f16 v0, v195, v0
	ds_store_b32 v232, v0 offset:5824
.LBB14_291:                             ;   in Loop: Header=BB14_13 Depth=1
	s_or_b32 exec_lo, exec_lo, s3
	;; [unrolled: 35-line block ×6, first 2 shown]
	scratch_load_b32 v0, off, off offset:116 ; 4-byte Folded Reload
	s_waitcnt vmcnt(0)
	v_add_nc_u32_e32 v225, s2, v0
	s_delay_alu instid0(VALU_DEP_1) | instskip(NEXT) | instid1(VALU_DEP_1)
	v_cmp_gt_i32_e64 s1, s8, v225
	s_and_b32 s88, s1, vcc_lo
	s_delay_alu instid0(SALU_CYCLE_1) | instskip(NEXT) | instid1(SALU_CYCLE_1)
	s_xor_b32 s1, s88, -1
	s_and_saveexec_b32 s3, s1
	s_delay_alu instid0(SALU_CYCLE_1)
	s_xor_b32 s1, exec_lo, s3
	s_cbranch_execz .LBB14_309
; %bb.308:                              ;   in Loop: Header=BB14_13 Depth=1
	ds_store_b32 v232, v194 offset:9984
.LBB14_309:                             ;   in Loop: Header=BB14_13 Depth=1
	s_and_not1_saveexec_b32 s1, s1
	s_cbranch_execz .LBB14_311
; %bb.310:                              ;   in Loop: Header=BB14_13 Depth=1
	v_mad_u64_u32 v[0:1], null, v225, s59, v[27:28]
	s_delay_alu instid0(VALU_DEP_1) | instskip(NEXT) | instid1(VALU_DEP_1)
	v_ashrrev_i32_e32 v1, 31, v0
	v_lshlrev_b64 v[0:1], 3, v[0:1]
	s_delay_alu instid0(VALU_DEP_1) | instskip(NEXT) | instid1(VALU_DEP_2)
	v_add_co_u32 v0, vcc_lo, s46, v0
	v_add_co_ci_u32_e32 v1, vcc_lo, s55, v1, vcc_lo
	global_load_b64 v[0:1], v[0:1], off
	s_waitcnt vmcnt(0)
	v_cvt_f16_f32_e32 v0, v0
	v_cvt_f16_f32_e32 v1, v1
	s_delay_alu instid0(VALU_DEP_1) | instskip(NEXT) | instid1(VALU_DEP_1)
	v_pack_b32_f16 v0, v0, v1
	v_pk_mul_f16 v0, v195, v0
	ds_store_b32 v232, v0 offset:9984
.LBB14_311:                             ;   in Loop: Header=BB14_13 Depth=1
	s_or_b32 exec_lo, exec_lo, s1
	v_add_nc_u32_e32 v188, s2, v236
	v_or_b32_e32 v0, s77, v244
	s_delay_alu instid0(VALU_DEP_2) | instskip(NEXT) | instid1(VALU_DEP_2)
	v_cmp_gt_i32_e64 s1, s8, v188
	v_cmp_gt_i32_e32 vcc_lo, s33, v0
	s_delay_alu instid0(VALU_DEP_2) | instskip(NEXT) | instid1(SALU_CYCLE_1)
	s_and_b32 s61, s1, vcc_lo
	s_xor_b32 s1, s61, -1
	s_delay_alu instid0(SALU_CYCLE_1) | instskip(NEXT) | instid1(SALU_CYCLE_1)
	s_and_saveexec_b32 s3, s1
	s_xor_b32 s1, exec_lo, s3
	s_cbranch_execz .LBB14_313
; %bb.312:                              ;   in Loop: Header=BB14_13 Depth=1
	ds_store_b32 v191, v194 offset:128
.LBB14_313:                             ;   in Loop: Header=BB14_13 Depth=1
	s_and_not1_saveexec_b32 s3, s1
	s_cbranch_execz .LBB14_315
; %bb.314:                              ;   in Loop: Header=BB14_13 Depth=1
	v_mad_u64_u32 v[0:1], null, v188, s59, v[26:27]
	s_delay_alu instid0(VALU_DEP_1) | instskip(NEXT) | instid1(VALU_DEP_1)
	v_ashrrev_i32_e32 v1, 31, v0
	v_lshlrev_b64 v[0:1], 3, v[0:1]
	s_delay_alu instid0(VALU_DEP_1) | instskip(NEXT) | instid1(VALU_DEP_1)
	v_add_co_u32 v0, s1, s46, v0
	v_add_co_ci_u32_e64 v1, s1, s55, v1, s1
	global_load_b64 v[0:1], v[0:1], off
	s_waitcnt vmcnt(0)
	v_cvt_f16_f32_e32 v0, v0
	v_cvt_f16_f32_e32 v1, v1
	s_delay_alu instid0(VALU_DEP_1) | instskip(NEXT) | instid1(VALU_DEP_1)
	v_pack_b32_f16 v0, v0, v1
	v_pk_mul_f16 v0, v195, v0
	ds_store_b32 v191, v0 offset:128
.LBB14_315:                             ;   in Loop: Header=BB14_13 Depth=1
	s_or_b32 exec_lo, exec_lo, s3
	v_add_nc_u32_e32 v183, s2, v153
	s_delay_alu instid0(VALU_DEP_1) | instskip(NEXT) | instid1(VALU_DEP_1)
	v_cmp_gt_i32_e64 s1, s8, v183
	s_and_b32 s54, s1, vcc_lo
	s_delay_alu instid0(SALU_CYCLE_1) | instskip(NEXT) | instid1(SALU_CYCLE_1)
	s_xor_b32 s1, s54, -1
	s_and_saveexec_b32 s3, s1
	s_delay_alu instid0(SALU_CYCLE_1)
	s_xor_b32 s1, exec_lo, s3
	s_cbranch_execz .LBB14_317
; %bb.316:                              ;   in Loop: Header=BB14_13 Depth=1
	ds_store_b32 v191, v194 offset:1792
.LBB14_317:                             ;   in Loop: Header=BB14_13 Depth=1
	s_and_not1_saveexec_b32 s3, s1
	s_cbranch_execz .LBB14_319
; %bb.318:                              ;   in Loop: Header=BB14_13 Depth=1
	v_mad_u64_u32 v[0:1], null, v183, s59, v[26:27]
	s_delay_alu instid0(VALU_DEP_1) | instskip(NEXT) | instid1(VALU_DEP_1)
	v_ashrrev_i32_e32 v1, 31, v0
	v_lshlrev_b64 v[0:1], 3, v[0:1]
	s_delay_alu instid0(VALU_DEP_1) | instskip(NEXT) | instid1(VALU_DEP_1)
	v_add_co_u32 v0, s1, s46, v0
	v_add_co_ci_u32_e64 v1, s1, s55, v1, s1
	global_load_b64 v[0:1], v[0:1], off
	s_waitcnt vmcnt(0)
	v_cvt_f16_f32_e32 v0, v0
	v_cvt_f16_f32_e32 v1, v1
	s_delay_alu instid0(VALU_DEP_1) | instskip(NEXT) | instid1(VALU_DEP_1)
	v_pack_b32_f16 v0, v0, v1
	v_pk_mul_f16 v0, v195, v0
	ds_store_b32 v191, v0 offset:1792
.LBB14_319:                             ;   in Loop: Header=BB14_13 Depth=1
	s_or_b32 exec_lo, exec_lo, s3
	v_add_nc_u32_e32 v180, s2, v170
	s_delay_alu instid0(VALU_DEP_1) | instskip(NEXT) | instid1(VALU_DEP_1)
	v_cmp_gt_i32_e64 s1, s8, v180
	s_and_b32 s76, s1, vcc_lo
	s_delay_alu instid0(SALU_CYCLE_1) | instskip(NEXT) | instid1(SALU_CYCLE_1)
	s_xor_b32 s1, s76, -1
	s_and_saveexec_b32 s3, s1
	s_delay_alu instid0(SALU_CYCLE_1)
	;; [unrolled: 33-line block ×7, first 2 shown]
	s_xor_b32 s1, exec_lo, s3
	s_cbranch_execz .LBB14_341
; %bb.340:                              ;   in Loop: Header=BB14_13 Depth=1
	ds_store_b32 v191, v194 offset:11776
.LBB14_341:                             ;   in Loop: Header=BB14_13 Depth=1
	s_and_not1_saveexec_b32 s1, s1
	s_cbranch_execz .LBB14_343
; %bb.342:                              ;   in Loop: Header=BB14_13 Depth=1
	v_mad_u64_u32 v[0:1], null, v169, s59, v[26:27]
	s_delay_alu instid0(VALU_DEP_1) | instskip(NEXT) | instid1(VALU_DEP_1)
	v_ashrrev_i32_e32 v1, 31, v0
	v_lshlrev_b64 v[0:1], 3, v[0:1]
	s_delay_alu instid0(VALU_DEP_1) | instskip(NEXT) | instid1(VALU_DEP_2)
	v_add_co_u32 v0, vcc_lo, s46, v0
	v_add_co_ci_u32_e32 v1, vcc_lo, s55, v1, vcc_lo
	global_load_b64 v[0:1], v[0:1], off
	s_waitcnt vmcnt(0)
	v_cvt_f16_f32_e32 v0, v0
	v_cvt_f16_f32_e32 v1, v1
	s_delay_alu instid0(VALU_DEP_1) | instskip(NEXT) | instid1(VALU_DEP_1)
	v_pack_b32_f16 v0, v0, v1
	v_pk_mul_f16 v0, v195, v0
	ds_store_b32 v191, v0 offset:11776
.LBB14_343:                             ;   in Loop: Header=BB14_13 Depth=1
	s_or_b32 exec_lo, exec_lo, s1
	s_waitcnt lgkmcnt(0)
	s_waitcnt_vscnt null, 0x0
	s_barrier
	buffer_gl0_inv
	ds_load_b128 v[64:67], v171
	ds_load_b128 v[68:71], v171 offset:16
	ds_load_b128 v[48:51], v171 offset:32
	;; [unrolled: 1-line block ×11, first 2 shown]
	s_cmp_gt_i32 s101, 1
	s_waitcnt lgkmcnt(0)
	s_barrier
	buffer_gl0_inv
	s_clause 0x9
	scratch_store_b32 off, v2, off offset:76
	scratch_store_b32 off, v3, off offset:72
	;; [unrolled: 1-line block ×10, first 2 shown]
	s_cbranch_scc1 .LBB14_345
; %bb.344:                              ;   in Loop: Header=BB14_13 Depth=1
	v_add_nc_u32_e32 v0, s2, v177
	v_dual_mov_b32 v98, 32 :: v_dual_add_nc_u32 v1, s2, v185
	v_add_nc_u32_e32 v2, s2, v179
	v_add_nc_u32_e32 v3, s2, v166
	s_delay_alu instid0(VALU_DEP_4) | instskip(NEXT) | instid1(VALU_DEP_4)
	v_mul_hi_u32 v4, s34, v0
	v_mul_hi_u32 v5, s34, v1
	s_mov_b32 s46, 0
	v_mul_hi_u32 v6, s34, v2
	v_mul_hi_u32 v7, s34, v3
	s_mov_b32 s1, 0xfeffffff
	s_delay_alu instid0(VALU_DEP_4) | instskip(NEXT) | instid1(VALU_DEP_4)
	v_add_nc_u32_e32 v4, v0, v4
	v_add_nc_u32_e32 v5, v1, v5
	s_delay_alu instid0(VALU_DEP_4) | instskip(NEXT) | instid1(VALU_DEP_4)
	v_add_nc_u32_e32 v6, v2, v6
	v_add_nc_u32_e32 v7, v3, v7
	s_delay_alu instid0(VALU_DEP_4) | instskip(NEXT) | instid1(VALU_DEP_4)
	v_lshrrev_b32_e32 v4, s35, v4
	v_lshrrev_b32_e32 v5, s35, v5
	s_delay_alu instid0(VALU_DEP_4) | instskip(NEXT) | instid1(VALU_DEP_4)
	v_lshrrev_b32_e32 v6, s35, v6
	v_lshrrev_b32_e32 v7, s35, v7
	s_delay_alu instid0(VALU_DEP_4) | instskip(NEXT) | instid1(VALU_DEP_4)
	v_mul_lo_u32 v4, v4, s8
	v_mul_lo_u32 v5, v5, s8
	s_delay_alu instid0(VALU_DEP_4) | instskip(NEXT) | instid1(VALU_DEP_4)
	v_mul_lo_u32 v6, v6, s8
	v_mul_lo_u32 v7, v7, s8
	s_delay_alu instid0(VALU_DEP_4) | instskip(NEXT) | instid1(VALU_DEP_4)
	v_sub_nc_u32_e32 v0, v0, v4
	v_sub_nc_u32_e32 v1, v1, v5
	s_delay_alu instid0(VALU_DEP_4) | instskip(NEXT) | instid1(VALU_DEP_4)
	v_sub_nc_u32_e32 v2, v2, v6
	v_sub_nc_u32_e32 v3, v3, v7
	s_delay_alu instid0(VALU_DEP_4)
	v_mad_i64_i32 v[72:73], null, v0, s48, 0
	scratch_load_b32 v0, off, off offset:36 ; 4-byte Folded Reload
	v_mad_i64_i32 v[78:79], null, v1, s48, 0
	v_mad_i64_i32 v[84:85], null, v2, s48, 0
	;; [unrolled: 1-line block ×3, first 2 shown]
	s_waitcnt vmcnt(0)
	v_xor_b32_e32 v97, 16, v0
	s_branch .LBB14_346
.LBB14_345:                             ;   in Loop: Header=BB14_13 Depth=1
	s_mov_b32 s46, -1
                                        ; implicit-def: $sgpr1
                                        ; implicit-def: $vgpr72_vgpr73
                                        ; implicit-def: $vgpr78_vgpr79
                                        ; implicit-def: $vgpr84_vgpr85
                                        ; implicit-def: $vgpr82_vgpr83
                                        ; implicit-def: $vgpr97
                                        ; implicit-def: $vgpr98
.LBB14_346:                             ;   in Loop: Header=BB14_13 Depth=1
	s_delay_alu instid0(SALU_CYCLE_1)
	v_dual_mov_b32 v15, s46 :: v_dual_mov_b32 v182, s1
	v_dual_mov_b32 v181, s46 :: v_dual_mov_b32 v14, s46
	;; [unrolled: 1-line block ×13, first 2 shown]
	s_and_not1_b32 vcc_lo, exec_lo, s46
	s_cbranch_vccnz .LBB14_350
; %bb.347:                              ;   in Loop: Header=BB14_13 Depth=1
	s_clause 0xd
	scratch_store_b32 off, v243, off offset:332
	scratch_store_b32 off, v238, off offset:328
	;; [unrolled: 1-line block ×14, first 2 shown]
	v_add_nc_u32_e32 v1, s2, v177
	scratch_load_b32 v9, off, off offset:36 ; 4-byte Folded Reload
	v_add_nc_u32_e32 v2, s2, v185
	s_add_i32 s46, s101, -1
	v_mov_b32_e32 v181, 0
	v_mul_hi_u32 v0, s34, v1
	v_mov_b32_e32 v182, 0xfeffffff
	v_mul_hi_u32 v5, s34, v2
	s_delay_alu instid0(VALU_DEP_3) | instskip(NEXT) | instid1(VALU_DEP_2)
	v_add_nc_u32_e32 v8, v1, v0
	v_dual_mov_b32 v0, 0 :: v_dual_add_nc_u32 v5, v2, v5
	v_add_nc_u32_e32 v3, s2, v179
	v_add_nc_u32_e32 v4, s2, v166
	s_add_u32 s2, s22, s60
	s_addc_u32 s3, s23, s6
	v_lshrrev_b32_e32 v5, s35, v5
	s_add_u32 s1, s14, s63
	s_addc_u32 s4, s7, s15
	v_readlane_b32 s14, v255, 28
	s_add_u32 s5, s64, s104
	v_mul_lo_u32 v5, v5, s8
	v_mov_b32_e32 v16, v0
	v_mov_b32_e32 v17, v0
	v_mov_b32_e32 v18, v0
	v_mov_b32_e32 v19, v0
	v_mov_b32_e32 v20, v0
	v_mov_b32_e32 v21, v0
	v_mov_b32_e32 v22, v0
	v_sub_nc_u32_e32 v73, v2, v5
	v_mov_b32_e32 v2, v0
	v_mul_hi_u32 v6, s34, v3
	v_mov_b32_e32 v5, v0
	v_mov_b32_e32 v23, v0
	v_mad_i64_i32 v[129:130], null, s14, v73, s[2:3]
	v_mov_b32_e32 v11, v0
	v_mov_b32_e32 v12, v0
	v_dual_mov_b32 v13, v0 :: v_dual_add_nc_u32 v6, v3, v6
	v_mov_b32_e32 v14, v0
	v_mov_b32_e32 v15, v0
	s_mov_b32 s6, s46
	v_readlane_b32 s15, v255, 29
	v_lshrrev_b32_e32 v6, s35, v6
	s_delay_alu instid0(VALU_DEP_1) | instskip(NEXT) | instid1(VALU_DEP_1)
	v_mul_lo_u32 v6, v6, s8
	v_sub_nc_u32_e32 v74, v3, v6
	v_mov_b32_e32 v3, v0
	v_lshrrev_b32_e32 v8, s35, v8
	v_mov_b32_e32 v6, v0
	s_delay_alu instid0(VALU_DEP_4) | instskip(NEXT) | instid1(VALU_DEP_3)
	v_mad_i64_i32 v[131:132], null, s14, v74, s[2:3]
	v_mul_lo_u32 v8, v8, s8
	s_delay_alu instid0(VALU_DEP_1) | instskip(SKIP_3) | instid1(VALU_DEP_4)
	v_sub_nc_u32_e32 v72, v1, v8
	v_mov_b32_e32 v1, v0
	v_mul_hi_u32 v7, s34, v4
	v_mov_b32_e32 v8, v0
	v_mad_i64_i32 v[76:77], null, v72, s48, 0
	v_mad_i64_i32 v[127:128], null, s14, v72, s[2:3]
	s_delay_alu instid0(VALU_DEP_4) | instskip(SKIP_4) | instid1(VALU_DEP_2)
	v_add_nc_u32_e32 v7, v4, v7
	scratch_store_b64 off, v[76:77], off offset:364 ; 8-byte Folded Spill
	v_mad_i64_i32 v[76:77], null, v73, s48, 0
	v_lshrrev_b32_e32 v7, s35, v7
	v_mad_i64_i32 v[72:73], null, v74, s48, 0
	v_mul_lo_u32 v7, v7, s8
	s_clause 0x1
	scratch_store_b64 off, v[76:77], off offset:356
	scratch_store_b64 off, v[72:73], off offset:348
	v_sub_nc_u32_e32 v75, v4, v7
	v_mov_b32_e32 v4, v0
	v_mov_b32_e32 v7, v0
	s_delay_alu instid0(VALU_DEP_3)
	v_mad_i64_i32 v[72:73], null, v75, s48, 0
	v_mad_i64_i32 v[133:134], null, s14, v75, s[2:3]
	scratch_store_b64 off, v[72:73], off offset:340 ; 8-byte Folded Spill
	scratch_load_b32 v72, off, off offset:384 ; 4-byte Folded Reload
	s_waitcnt vmcnt(1)
	v_xor_b32_e32 v10, 16, v9
	s_delay_alu instid0(VALU_DEP_1) | instskip(SKIP_3) | instid1(VALU_DEP_1)
	v_cmp_gt_i32_e32 vcc_lo, 32, v10
	scratch_store_b32 off, v10, off offset:336 ; 4-byte Folded Spill
	v_cndmask_b32_e32 v9, v9, v10, vcc_lo
	s_addc_u32 s7, s103, vcc_hi
	v_dual_mov_b32 v10, v0 :: v_dual_lshlrev_b32 v185, 2, v9
	v_mov_b32_e32 v9, v0
	s_waitcnt vmcnt(0)
	v_add_co_u32 v186, vcc_lo, v72, s1
	scratch_load_b32 v72, off, off offset:388 ; 4-byte Folded Reload
	s_waitcnt vmcnt(0)
	v_add_co_ci_u32_e32 v189, vcc_lo, s4, v72, vcc_lo
	scratch_load_b32 v72, off, off offset:392 ; 4-byte Folded Reload
	s_waitcnt vmcnt(0)
	v_add_co_u32 v190, vcc_lo, v72, s1
	scratch_load_b32 v72, off, off offset:396 ; 4-byte Folded Reload
	s_waitcnt vmcnt(0)
	v_add_co_ci_u32_e32 v187, vcc_lo, s4, v72, vcc_lo
	scratch_load_b32 v72, off, off offset:444 ; 4-byte Folded Reload
	;; [unrolled: 6-line block ×11, first 2 shown]
	s_waitcnt vmcnt(0)
	v_add_co_u32 v188, vcc_lo, v72, s5
	scratch_load_b32 v72, off, off offset:504 ; 4-byte Folded Reload
	s_waitcnt vmcnt(0)
	v_add_co_ci_u32_e32 v243, vcc_lo, s7, v72, vcc_lo
.LBB14_348:                             ;   Parent Loop BB14_13 Depth=1
                                        ; =>  This Inner Loop Header: Depth=2
	v_add_co_u32 v72, vcc_lo, v127, v199
	v_add_co_ci_u32_e32 v73, vcc_lo, 0, v128, vcc_lo
	v_dual_mov_b32 v150, s43 :: v_dual_add_nc_u32 v75, v150, v228
	v_dual_mov_b32 v149, s42 :: v_dual_mov_b32 v144, s37
	global_load_b32 v74, v[72:73], off
	v_add_co_u32 v72, vcc_lo, v129, v199
	v_add_co_ci_u32_e32 v73, vcc_lo, 0, v130, vcc_lo
	v_dual_mov_b32 v147, s40 :: v_dual_mov_b32 v148, s41
	v_mov_b32_e32 v145, s38
	global_load_b32 v72, v[72:73], off
	v_add_nc_u32_e32 v73, 0x3400, v75
	v_mov_b32_e32 v143, s36
	v_cmp_eq_u32_e64 s2, 1, v197
	v_cmp_eq_u32_e64 s3, 0, v197
	s_add_i32 s6, s6, -1
	v_mov_b32_e32 v146, s39
	s_cmp_lg_u32 s6, 0
	v_add_nc_u32_e32 v103, 0xc00, v207
	v_add_nc_u32_e32 v105, 0x1400, v207
	s_waitcnt vmcnt(0)
	ds_store_2addr_b32 v73, v74, v72 offset1:144
	v_add_co_u32 v72, vcc_lo, v131, v199
	v_add_co_ci_u32_e32 v73, vcc_lo, 0, v132, vcc_lo
	global_load_b32 v74, v[72:73], off
	v_add_co_u32 v72, vcc_lo, v133, v199
	v_add_co_ci_u32_e32 v73, vcc_lo, 0, v134, vcc_lo
	global_load_b32 v72, v[72:73], off
	v_add_nc_u32_e32 v73, 0x3800, v75
	s_waitcnt vmcnt(0)
	ds_store_2addr_b32 v73, v74, v72 offset0:32 offset1:176
	v_add_co_u32 v72, vcc_lo, v198, v242
	v_add_co_ci_u32_e32 v73, vcc_lo, 0, v88, vcc_lo
	v_add_co_u32 v76, vcc_lo, v219, v242
	v_add_co_ci_u32_e32 v77, vcc_lo, 0, v191, vcc_lo
	global_load_b128 v[72:75], v[72:73], off
	global_load_b128 v[76:79], v[76:77], off
	s_waitcnt vmcnt(1)
	ds_store_b128 v203, v[72:75]
	s_waitcnt vmcnt(0)
	ds_store_b128 v204, v[76:79]
	v_add_co_u32 v72, vcc_lo, v116, v246
	v_add_co_ci_u32_e32 v73, vcc_lo, 0, v247, vcc_lo
	v_add_co_u32 v76, vcc_lo, v248, v246
	v_add_co_ci_u32_e32 v77, vcc_lo, 0, v249, vcc_lo
	global_load_b128 v[72:75], v[72:73], off
	global_load_b128 v[76:79], v[76:77], off
	s_waitcnt vmcnt(1)
	ds_store_b128 v205, v[72:75]
	s_waitcnt vmcnt(0)
	ds_store_b128 v240, v[76:79]
	;; [unrolled: 10-line block ×3, first 2 shown]
	s_waitcnt lgkmcnt(0)
	s_waitcnt_vscnt null, 0x0
	s_barrier
	buffer_gl0_inv
	ds_load_b128 v[72:75], v253
	ds_load_b128 v[76:79], v253 offset:16
	ds_load_b128 v[80:83], v253 offset:3328
	;; [unrolled: 1-line block ×7, first 2 shown]
	s_waitcnt lgkmcnt(6)
	v_wmma_f32_16x16x16_f16 v[151:158], v[72:79], v[64:71], v[143:150]
	ds_load_b128 v[72:75], v253 offset:32
	ds_load_b128 v[76:79], v253 offset:48
	s_waitcnt lgkmcnt(6)
	v_wmma_f32_16x16x16_f16 v[159:166], v[80:87], v[64:71], v[143:150]
	s_waitcnt lgkmcnt(4)
	v_wmma_f32_16x16x16_f16 v[80:87], v[117:124], v[64:71], v[143:150]
	;; [unrolled: 2-line block ×4, first 2 shown]
	ds_load_b128 v[72:75], v253 offset:3360
	ds_load_b128 v[76:79], v253 offset:3376
	s_waitcnt lgkmcnt(0)
	v_wmma_f32_16x16x16_f16 v[159:166], v[72:79], v[48:55], v[159:166]
	ds_load_b128 v[72:75], v253 offset:6688
	ds_load_b128 v[76:79], v253 offset:6704
	s_waitcnt lgkmcnt(0)
	v_wmma_f32_16x16x16_f16 v[80:87], v[72:79], v[48:55], v[80:87]
	;; [unrolled: 4-line block ×18, first 2 shown]
	ds_load_b128 v[72:75], v253 offset:10144
	ds_load_b128 v[76:79], v253 offset:10160
	s_waitcnt lgkmcnt(0)
	s_barrier
	buffer_gl0_inv
	v_wmma_f32_16x16x16_f16 v[167:174], v[72:79], v[40:47], v[167:174]
	ds_load_u16 v72, v206 offset:13312
	ds_load_u16 v73, v206 offset:13316
	;; [unrolled: 1-line block ×16, first 2 shown]
	s_waitcnt lgkmcnt(15)
	v_cvt_f32_f16_e32 v72, v72
	s_waitcnt lgkmcnt(7)
	v_cvt_f32_f16_e32 v89, v89
	;; [unrolled: 2-line block ×9, first 2 shown]
	v_add_f32_e32 v233, v159, v89
	v_dual_add_f32 v231, v160, v90 :: v_dual_add_f32 v124, v162, v93
	s_delay_alu instid0(VALU_DEP_3)
	v_dual_add_f32 v229, v161, v92 :: v_dual_add_f32 v184, v166, v97
	v_add_f32_e32 v123, v163, v94
	v_add_f32_e32 v121, v164, v95
	;; [unrolled: 1-line block ×3, first 2 shown]
	ds_load_u16 v89, v206 offset:13376
	ds_load_u16 v90, v206 offset:13380
	ds_load_u16 v92, v206 offset:13384
	ds_load_u16 v93, v206 offset:13388
	ds_load_u16 v94, v206 offset:13392
	ds_load_u16 v95, v206 offset:13396
	ds_load_u16 v96, v206 offset:13400
	ds_load_u16 v97, v206 offset:13404
	v_cvt_f32_f16_e32 v73, v73
	v_cvt_f32_f16_e32 v75, v75
	;; [unrolled: 1-line block ×5, first 2 shown]
	v_add_f32_e32 v73, v152, v73
	v_cvt_f32_f16_e32 v74, v74
	v_add_f32_e32 v72, v151, v72
	v_add_f32_e32 v78, v157, v78
	v_cvt_f32_f16_e32 v76, v76
	s_delay_alu instid0(VALU_DEP_4)
	v_add_f32_e32 v74, v153, v74
	s_waitcnt lgkmcnt(7)
	v_cvt_f32_f16_e32 v89, v89
	s_waitcnt lgkmcnt(6)
	v_cvt_f32_f16_e32 v90, v90
	;; [unrolled: 2-line block ×8, first 2 shown]
	v_dual_add_f32 v75, v154, v75 :: v_dual_add_f32 v178, v80, v89
	v_dual_add_f32 v77, v156, v77 :: v_dual_add_f32 v90, v81, v90
	;; [unrolled: 1-line block ×3, first 2 shown]
	v_add_f32_e32 v237, v82, v92
	v_dual_add_f32 v227, v84, v94 :: v_dual_add_f32 v226, v85, v95
	v_dual_add_f32 v225, v86, v96 :: v_dual_add_f32 v224, v87, v97
	ds_load_u16 v80, v206 offset:13408
	ds_load_u16 v81, v206 offset:13412
	;; [unrolled: 1-line block ×8, first 2 shown]
	v_dual_add_f32 v76, v155, v76 :: v_dual_add_nc_u32 v93, 0x800, v207
	s_waitcnt lgkmcnt(7)
	v_cvt_f32_f16_e32 v80, v80
	s_waitcnt lgkmcnt(6)
	v_cvt_f32_f16_e32 v81, v81
	;; [unrolled: 2-line block ×6, first 2 shown]
	v_add_f32_e32 v244, v167, v80
	v_add_co_u32 v80, vcc_lo, v186, v242
	v_dual_add_f32 v223, v168, v81 :: v_dual_add_f32 v220, v171, v84
	v_add_co_ci_u32_e32 v81, vcc_lo, 0, v189, vcc_lo
	v_add_co_u32 v84, vcc_lo, v190, v242
	s_waitcnt lgkmcnt(1)
	v_cvt_f32_f16_e32 v86, v86
	s_waitcnt lgkmcnt(0)
	v_cvt_f32_f16_e32 v87, v87
	v_add_f32_e32 v200, v172, v85
	v_add_co_ci_u32_e32 v85, vcc_lo, 0, v187, vcc_lo
	v_dual_add_f32 v222, v169, v82 :: v_dual_add_f32 v221, v170, v83
	s_delay_alu instid0(VALU_DEP_4)
	v_dual_add_f32 v193, v173, v86 :: v_dual_add_f32 v192, v174, v87
	global_load_b128 v[80:83], v[80:81], off
	global_load_b128 v[84:87], v[84:85], off
	s_waitcnt vmcnt(1)
	ds_store_b128 v203, v[80:83]
	s_waitcnt vmcnt(0)
	ds_store_b128 v204, v[84:87]
	v_add_co_u32 v80, vcc_lo, v236, v246
	v_add_co_ci_u32_e32 v81, vcc_lo, 0, v254, vcc_lo
	v_add_co_u32 v84, vcc_lo, v235, v246
	v_add_co_ci_u32_e32 v85, vcc_lo, 0, v202, vcc_lo
	global_load_b128 v[80:83], v[80:81], off
	global_load_b128 v[84:87], v[84:85], off
	s_waitcnt vmcnt(1)
	ds_store_b128 v205, v[80:83]
	s_waitcnt vmcnt(0)
	ds_store_b128 v240, v[84:87]
	v_add_co_u32 v80, vcc_lo, v196, v246
	v_add_co_ci_u32_e32 v81, vcc_lo, 0, v177, vcc_lo
	v_add_co_u32 v84, vcc_lo, v194, v246
	v_add_co_ci_u32_e32 v85, vcc_lo, 0, v232, vcc_lo
	global_load_b128 v[80:83], v[80:81], off
	global_load_b128 v[84:87], v[84:85], off
	s_waitcnt vmcnt(1)
	ds_store_b128 v230, v[80:83]
	s_waitcnt vmcnt(0)
	ds_store_b128 v239, v[84:87]
	v_dual_mov_b32 v80, v182 :: v_dual_add_f32 v81, 0x40051340, v72
	v_dual_add_f32 v82, 0x40051340, v73 :: v_dual_add_f32 v83, 0x40051340, v75
	v_add_nc_u32_e32 v87, 0xa00, v207
	s_waitcnt lgkmcnt(0)
	s_barrier
	s_delay_alu instid0(VALU_DEP_2)
	v_max3_f32 v81, v80, v81, v82
	v_add_f32_e32 v82, 0x40051340, v74
	buffer_gl0_inv
	ds_load_2addr_b32 v[139:140], v207 offset1:16
	ds_load_2addr_b32 v[135:136], v207 offset0:32 offset1:52
	ds_load_2addr_b32 v[141:142], v207 offset0:104 offset1:120
	;; [unrolled: 1-line block ×3, first 2 shown]
	v_max3_f32 v81, v81, v82, v83
	v_dual_add_f32 v82, 0x40051340, v76 :: v_dual_add_f32 v83, 0x40051340, v77
	s_delay_alu instid0(VALU_DEP_1) | instskip(SKIP_1) | instid1(VALU_DEP_1)
	v_max3_f32 v81, v81, v82, v83
	v_dual_add_f32 v82, 0x40051340, v78 :: v_dual_add_f32 v83, 0x40051340, v79
	v_max3_f32 v81, v81, v82, v83
	v_dual_add_f32 v82, 0x40051340, v233 :: v_dual_add_f32 v83, 0x40051340, v231
	s_delay_alu instid0(VALU_DEP_1) | instskip(SKIP_1) | instid1(VALU_DEP_1)
	v_max3_f32 v81, v81, v82, v83
	v_dual_add_f32 v82, 0x40051340, v229 :: v_dual_add_f32 v83, 0x40051340, v124
	;; [unrolled: 5-line block ×3, first 2 shown]
	v_max3_f32 v81, v81, v82, v83
	v_add_f32_e32 v82, 0x40051340, v178
	v_add_f32_e32 v83, 0x40051340, v90
	s_delay_alu instid0(VALU_DEP_1) | instskip(SKIP_1) | instid1(VALU_DEP_1)
	v_max3_f32 v81, v81, v82, v83
	v_dual_add_f32 v82, 0x40051340, v237 :: v_dual_add_f32 v83, 0x40051340, v238
	v_max3_f32 v81, v81, v82, v83
	v_dual_add_f32 v82, 0x40051340, v227 :: v_dual_add_f32 v83, 0x40051340, v226
	s_delay_alu instid0(VALU_DEP_1) | instskip(SKIP_1) | instid1(VALU_DEP_1)
	v_max3_f32 v81, v81, v82, v83
	v_dual_add_f32 v82, 0x40051340, v225 :: v_dual_add_f32 v83, 0x40051340, v224
	v_max3_f32 v81, v81, v82, v83
	v_dual_add_f32 v82, 0x40051340, v244 :: v_dual_add_f32 v83, 0x40051340, v223
	s_delay_alu instid0(VALU_DEP_1) | instskip(SKIP_1) | instid1(VALU_DEP_1)
	v_max3_f32 v81, v81, v82, v83
	v_dual_add_f32 v82, 0x40051340, v222 :: v_dual_add_f32 v83, 0x40051340, v221
	v_max3_f32 v81, v81, v82, v83
	v_add_f32_e32 v82, 0x40051340, v220
	v_add_f32_e32 v83, 0x40051340, v200
	s_delay_alu instid0(VALU_DEP_1) | instskip(SKIP_1) | instid1(VALU_DEP_1)
	v_max3_f32 v81, v81, v82, v83
	v_dual_add_f32 v82, 0x40051340, v193 :: v_dual_add_f32 v83, 0x40051340, v192
	v_max3_f32 v81, v81, v82, v83
	ds_bpermute_b32 v82, v185, v81
	s_waitcnt lgkmcnt(0)
	v_max_f32_e32 v82, v82, v82
	s_delay_alu instid0(VALU_DEP_1) | instskip(SKIP_1) | instid1(VALU_DEP_2)
	v_max_f32_e32 v182, v81, v82
	v_add_nc_u32_e32 v104, 0x1000, v207
	v_sub_f32_e32 v72, v72, v182
	v_sub_f32_e32 v73, v73, v182
	;; [unrolled: 1-line block ×6, first 2 shown]
	v_mul_f32_e32 v81, 0x3fb8aa3b, v73
	v_cmp_ngt_f32_e64 s4, 0xc2ce8ed0, v74
	v_sub_f32_e32 v77, v77, v182
	v_sub_f32_e32 v79, v79, v182
	v_sub_f32_e32 v78, v78, v182
	v_fma_f32 v82, 0x3fb8aa3b, v73, -v81
	v_rndne_f32_e32 v83, v81
	s_delay_alu instid0(VALU_DEP_1) | instskip(SKIP_1) | instid1(VALU_DEP_2)
	v_dual_fmac_f32 v82, 0x32a5705f, v73 :: v_dual_sub_f32 v81, v81, v83
	v_cvt_i32_f32_e32 v83, v83
	v_dual_add_f32 v81, v81, v82 :: v_dual_mul_f32 v82, 0x3fb8aa3b, v72
	v_cmp_ngt_f32_e32 vcc_lo, 0xc2ce8ed0, v73
	s_delay_alu instid0(VALU_DEP_2) | instskip(SKIP_1) | instid1(VALU_DEP_2)
	v_fma_f32 v84, 0x3fb8aa3b, v72, -v82
	v_rndne_f32_e32 v85, v82
	v_fmac_f32_e32 v84, 0x32a5705f, v72
	v_exp_f32_e32 v81, v81
	s_waitcnt_depctr 0xfff
	v_ldexp_f32 v81, v81, v83
	v_cvt_i32_f32_e32 v83, v85
	s_delay_alu instid0(VALU_DEP_2) | instskip(SKIP_2) | instid1(VALU_DEP_3)
	v_cndmask_b32_e32 v81, 0, v81, vcc_lo
	v_cmp_nlt_f32_e32 vcc_lo, 0x42b17218, v73
	v_cmp_ngt_f32_e64 s1, 0xc2ce8ed0, v72
	v_cndmask_b32_e32 v117, 0x7f800000, v81, vcc_lo
	v_cmp_eq_u32_e32 vcc_lo, 1, v241
	v_sub_f32_e32 v82, v82, v85
	v_add_nc_u32_e32 v92, 0x400, v207
	ds_bpermute_b32 v81, v185, v117
	v_add_f32_e32 v82, v82, v84
	s_delay_alu instid0(VALU_DEP_1) | instskip(SKIP_2) | instid1(VALU_DEP_1)
	v_exp_f32_e32 v82, v82
	s_waitcnt_depctr 0xfff
	v_ldexp_f32 v82, v82, v83
	v_cndmask_b32_e64 v73, 0, v82, s1
	v_cmp_nlt_f32_e64 s1, 0x42b17218, v72
	s_delay_alu instid0(VALU_DEP_1)
	v_cndmask_b32_e64 v180, 0x7f800000, v73, s1
	v_cmp_eq_u32_e64 s1, 0, v241
	ds_bpermute_b32 v72, v185, v180
	s_waitcnt lgkmcnt(0)
	v_cndmask_b32_e32 v73, v180, v72, vcc_lo
	v_cndmask_b32_e64 v72, v180, v72, s1
	s_delay_alu instid0(VALU_DEP_2) | instskip(NEXT) | instid1(VALU_DEP_2)
	v_cndmask_b32_e64 v83, v73, v117, s2
	v_cndmask_b32_e64 v82, v72, v117, s3
	v_cvt_f16_f32_e32 v72, v72
	v_cvt_f16_f32_e32 v73, v73
	s_delay_alu instid0(VALU_DEP_3) | instskip(SKIP_1) | instid1(VALU_DEP_3)
	v_cndmask_b32_e64 v82, v82, v81, s1
	v_cndmask_b32_e32 v81, v83, v81, vcc_lo
	v_pack_b32_f16 v72, v72, v73
	s_delay_alu instid0(VALU_DEP_3) | instskip(NEXT) | instid1(VALU_DEP_3)
	v_cvt_f16_f32_e32 v83, v82
	v_cvt_f16_f32_e32 v84, v81
	s_delay_alu instid0(VALU_DEP_1) | instskip(SKIP_1) | instid1(VALU_DEP_1)
	v_pack_b32_f16 v73, v83, v84
	v_mul_f32_e32 v83, 0x3fb8aa3b, v74
	v_fma_f32 v84, 0x3fb8aa3b, v74, -v83
	v_rndne_f32_e32 v85, v83
	s_delay_alu instid0(VALU_DEP_1) | instskip(NEXT) | instid1(VALU_DEP_1)
	v_dual_fmac_f32 v84, 0x32a5705f, v74 :: v_dual_sub_f32 v83, v83, v85
	v_add_f32_e32 v83, v83, v84
	v_cvt_i32_f32_e32 v84, v85
	s_delay_alu instid0(VALU_DEP_2) | instskip(SKIP_2) | instid1(VALU_DEP_1)
	v_exp_f32_e32 v83, v83
	s_waitcnt_depctr 0xfff
	v_ldexp_f32 v83, v83, v84
	v_cndmask_b32_e64 v83, 0, v83, s4
	v_cmp_nlt_f32_e64 s4, 0x42b17218, v74
	s_delay_alu instid0(VALU_DEP_1) | instskip(SKIP_1) | instid1(VALU_DEP_2)
	v_cndmask_b32_e64 v89, 0x7f800000, v83, s4
	v_cmp_ngt_f32_e64 s4, 0xc2ce8ed0, v75
	v_cndmask_b32_e64 v74, v82, v89, s3
	ds_bpermute_b32 v82, v185, v89
	v_cndmask_b32_e64 v81, v81, v89, s2
	s_waitcnt lgkmcnt(0)
	v_cndmask_b32_e64 v83, v74, v82, s1
	s_delay_alu instid0(VALU_DEP_2) | instskip(NEXT) | instid1(VALU_DEP_2)
	v_cndmask_b32_e32 v81, v81, v82, vcc_lo
	v_cvt_f16_f32_e32 v74, v83
	s_delay_alu instid0(VALU_DEP_2) | instskip(NEXT) | instid1(VALU_DEP_1)
	v_cvt_f16_f32_e32 v82, v81
	v_pack_b32_f16 v74, v74, v82
	v_mul_f32_e32 v82, 0x3fb8aa3b, v75
	s_delay_alu instid0(VALU_DEP_1) | instskip(SKIP_1) | instid1(VALU_DEP_2)
	v_fma_f32 v84, 0x3fb8aa3b, v75, -v82
	v_rndne_f32_e32 v85, v82
	v_fmac_f32_e32 v84, 0x32a5705f, v75
	s_delay_alu instid0(VALU_DEP_2) | instskip(NEXT) | instid1(VALU_DEP_1)
	v_sub_f32_e32 v82, v82, v85
	v_add_f32_e32 v82, v82, v84
	v_cvt_i32_f32_e32 v84, v85
	s_delay_alu instid0(VALU_DEP_2) | instskip(SKIP_2) | instid1(VALU_DEP_1)
	v_exp_f32_e32 v82, v82
	s_waitcnt_depctr 0xfff
	v_ldexp_f32 v82, v82, v84
	v_cndmask_b32_e64 v82, 0, v82, s4
	v_cmp_nlt_f32_e64 s4, 0x42b17218, v75
	s_delay_alu instid0(VALU_DEP_1)
	v_cndmask_b32_e64 v245, 0x7f800000, v82, s4
	v_cmp_ngt_f32_e64 s4, 0xc2ce8ed0, v76
	ds_bpermute_b32 v82, v185, v245
	v_cndmask_b32_e64 v75, v83, v245, s3
	v_cndmask_b32_e64 v81, v81, v245, s2
	s_waitcnt lgkmcnt(0)
	s_delay_alu instid0(VALU_DEP_2) | instskip(NEXT) | instid1(VALU_DEP_2)
	v_cndmask_b32_e64 v83, v75, v82, s1
	v_cndmask_b32_e32 v81, v81, v82, vcc_lo
	s_delay_alu instid0(VALU_DEP_2) | instskip(NEXT) | instid1(VALU_DEP_2)
	v_cvt_f16_f32_e32 v75, v83
	v_cvt_f16_f32_e32 v82, v81
	s_delay_alu instid0(VALU_DEP_1) | instskip(SKIP_1) | instid1(VALU_DEP_1)
	v_pack_b32_f16 v75, v75, v82
	v_mul_f32_e32 v82, 0x3fb8aa3b, v76
	v_fma_f32 v84, 0x3fb8aa3b, v76, -v82
	v_rndne_f32_e32 v85, v82
	s_delay_alu instid0(VALU_DEP_2) | instskip(NEXT) | instid1(VALU_DEP_2)
	v_fmac_f32_e32 v84, 0x32a5705f, v76
	v_sub_f32_e32 v82, v82, v85
	s_delay_alu instid0(VALU_DEP_1) | instskip(SKIP_1) | instid1(VALU_DEP_2)
	v_add_f32_e32 v82, v82, v84
	v_cvt_i32_f32_e32 v84, v85
	v_exp_f32_e32 v82, v82
	s_waitcnt_depctr 0xfff
	v_ldexp_f32 v82, v82, v84
	s_delay_alu instid0(VALU_DEP_1) | instskip(SKIP_1) | instid1(VALU_DEP_1)
	v_cndmask_b32_e64 v82, 0, v82, s4
	v_cmp_nlt_f32_e64 s4, 0x42b17218, v76
	v_cndmask_b32_e64 v234, 0x7f800000, v82, s4
	v_cmp_ngt_f32_e64 s4, 0xc2ce8ed0, v77
	ds_bpermute_b32 v82, v185, v234
	v_cndmask_b32_e64 v76, v83, v234, s3
	v_cndmask_b32_e64 v81, v81, v234, s2
	s_waitcnt lgkmcnt(0)
	s_delay_alu instid0(VALU_DEP_2) | instskip(NEXT) | instid1(VALU_DEP_2)
	v_cndmask_b32_e64 v83, v76, v82, s1
	v_cndmask_b32_e32 v81, v81, v82, vcc_lo
	s_delay_alu instid0(VALU_DEP_2) | instskip(NEXT) | instid1(VALU_DEP_2)
	v_cvt_f16_f32_e32 v76, v83
	v_cvt_f16_f32_e32 v82, v81
	s_delay_alu instid0(VALU_DEP_1) | instskip(SKIP_1) | instid1(VALU_DEP_1)
	v_pack_b32_f16 v76, v76, v82
	v_mul_f32_e32 v82, 0x3fb8aa3b, v77
	v_fma_f32 v84, 0x3fb8aa3b, v77, -v82
	v_rndne_f32_e32 v85, v82
	s_delay_alu instid0(VALU_DEP_2) | instskip(NEXT) | instid1(VALU_DEP_2)
	v_fmac_f32_e32 v84, 0x32a5705f, v77
	v_sub_f32_e32 v82, v82, v85
	s_delay_alu instid0(VALU_DEP_1) | instskip(SKIP_1) | instid1(VALU_DEP_2)
	v_add_f32_e32 v82, v82, v84
	v_cvt_i32_f32_e32 v84, v85
	v_exp_f32_e32 v82, v82
	s_waitcnt_depctr 0xfff
	v_ldexp_f32 v82, v82, v84
	s_delay_alu instid0(VALU_DEP_1) | instskip(SKIP_1) | instid1(VALU_DEP_1)
	v_cndmask_b32_e64 v82, 0, v82, s4
	v_cmp_nlt_f32_e64 s4, 0x42b17218, v77
	;; [unrolled: 29-line block ×4, first 2 shown]
	v_cndmask_b32_e64 v125, 0x7f800000, v82, s4
	v_cmp_ngt_f32_e64 s4, 0xc2ce8ed0, v80
	ds_bpermute_b32 v82, v185, v125
	v_cndmask_b32_e64 v79, v83, v125, s3
	v_cndmask_b32_e64 v81, v81, v125, s2
	s_waitcnt lgkmcnt(0)
	s_delay_alu instid0(VALU_DEP_2) | instskip(NEXT) | instid1(VALU_DEP_2)
	v_cndmask_b32_e64 v79, v79, v82, s1
	v_cndmask_b32_e32 v81, v81, v82, vcc_lo
	s_delay_alu instid0(VALU_DEP_2) | instskip(NEXT) | instid1(VALU_DEP_2)
	v_cvt_f16_f32_e32 v79, v79
	v_cvt_f16_f32_e32 v81, v81
	s_delay_alu instid0(VALU_DEP_1) | instskip(SKIP_1) | instid1(VALU_DEP_1)
	v_pack_b32_f16 v79, v79, v81
	v_mul_f32_e32 v81, 0x3fb8aa3b, v80
	v_fma_f32 v82, 0x3fb8aa3b, v80, -v81
	v_rndne_f32_e32 v83, v81
	s_delay_alu instid0(VALU_DEP_1) | instskip(NEXT) | instid1(VALU_DEP_1)
	v_dual_fmac_f32 v82, 0x32a5705f, v80 :: v_dual_sub_f32 v81, v81, v83
	v_add_f32_e32 v81, v81, v82
	v_cvt_i32_f32_e32 v82, v83
	s_delay_alu instid0(VALU_DEP_2) | instskip(SKIP_3) | instid1(VALU_DEP_2)
	v_exp_f32_e32 v81, v81
	s_waitcnt_depctr 0xfff
	v_ldexp_f32 v81, v81, v82
	v_add_nc_u32_e32 v82, 0x200, v207
	v_cndmask_b32_e64 v81, 0, v81, s4
	v_cmp_nlt_f32_e64 s4, 0x42b17218, v80
	ds_load_2addr_b32 v[153:154], v82 offset0:80 offset1:132
	ds_load_2addr_b32 v[149:150], v92 offset0:56 offset1:72
	;; [unrolled: 1-line block ×9, first 2 shown]
	v_cndmask_b32_e64 v81, 0x7f800000, v81, s4
	v_cmp_le_f32_e64 s4, 0xc1a00000, v80
	v_perm_b32 v80, v136, v139, 0x5040100
	ds_load_2addr_b32 v[161:162], v207 offset0:68 offset1:84
	ds_load_2addr_b32 v[163:164], v207 offset0:172 offset1:188
	v_cndmask_b32_e64 v126, 0, v81, s4
	v_perm_b32 v81, v138, v141, 0x5040100
	s_delay_alu instid0(VALU_DEP_2)
	v_cvt_f16_f32_e64 v179, v126
	s_waitcnt lgkmcnt(10)
	v_perm_b32 v82, v154, v153, 0x5040100
	s_waitcnt lgkmcnt(8)
	v_perm_b32 v83, v144, v149, 0x5040100
	v_pk_mul_f16 v0, v179, v0 op_sel_hi:[0,1]
	v_pk_mul_f16 v1, v179, v1 op_sel_hi:[0,1]
	;; [unrolled: 1-line block ×8, first 2 shown]
	s_waitcnt lgkmcnt(7)
	v_perm_b32 v84, v158, v157, 0x5040100
	s_waitcnt lgkmcnt(5)
	v_perm_b32 v85, v146, v151, 0x5040100
	;; [unrolled: 2-line block ×4, first 2 shown]
	v_pk_mul_f16 v16, v179, v16 op_sel_hi:[0,1]
	v_pk_mul_f16 v17, v179, v17 op_sel_hi:[0,1]
	;; [unrolled: 1-line block ×4, first 2 shown]
	v_wmma_f16_16x16x16_f16 v[0:7], v[80:87], v[72:79], v[0:7]
	v_add_nc_u32_e32 v82, 0x300, v211
	ds_load_2addr_b32 v[175:176], v82 offset0:16 offset1:224
	ds_load_2addr_b32 v[165:166], v92 offset0:20 offset1:36
	ds_load_2addr_b32 v[167:168], v92 offset0:124 offset1:140
	ds_load_2addr_b32 v[169:170], v92 offset0:228 offset1:244
	ds_load_2addr_b32 v[171:172], v93 offset0:76 offset1:92
	ds_load_2addr_b32 v[173:174], v93 offset0:180 offset1:196
	ds_load_b32 v183, v211 offset:2496
	ds_load_b32 v118, v212 offset:2496
	;; [unrolled: 1-line block ×5, first 2 shown]
	ds_load_2addr_b32 v[101:102], v103 offset0:28 offset1:44
	v_pk_mul_f16 v20, v179, v20 op_sel_hi:[0,1]
	v_pk_mul_f16 v21, v179, v21 op_sel_hi:[0,1]
	;; [unrolled: 1-line block ×4, first 2 shown]
	s_waitcnt lgkmcnt(13)
	v_perm_b32 v80, v161, v140, 0x5040100
	s_waitcnt lgkmcnt(12)
	v_perm_b32 v81, v163, v142, 0x5040100
	v_pk_mul_f16 v8, v179, v8 op_sel_hi:[0,1]
	v_pk_mul_f16 v9, v179, v9 op_sel_hi:[0,1]
	v_pk_mul_f16 v10, v179, v10 op_sel_hi:[0,1]
	v_pk_mul_f16 v11, v179, v11 op_sel_hi:[0,1]
	v_pk_mul_f16 v12, v179, v12 op_sel_hi:[0,1]
	v_pk_mul_f16 v13, v179, v13 op_sel_hi:[0,1]
	v_pk_mul_f16 v14, v179, v14 op_sel_hi:[0,1]
	v_pk_mul_f16 v15, v179, v15 op_sel_hi:[0,1]
	s_waitcnt lgkmcnt(10)
	v_perm_b32 v82, v165, v175, 0x5040100
	s_waitcnt lgkmcnt(9)
	v_perm_b32 v83, v167, v150, 0x5040100
	;; [unrolled: 2-line block ×6, first 2 shown]
	v_perm_b32 v93, v162, v135, 0x5040100
	v_perm_b32 v94, v164, v137, 0x5040100
	;; [unrolled: 1-line block ×4, first 2 shown]
	v_wmma_f16_16x16x16_f16 v[16:23], v[80:87], v[72:79], v[16:23]
	v_add_nc_u32_e32 v80, 0x300, v215
	v_perm_b32 v100, v102, v147, 0x5040100
	v_add_nc_u32_e32 v179, 0x1800, v207
	ds_load_2addr_b32 v[83:84], v80 offset0:16 offset1:224
	ds_load_b32 v81, v215 offset:2496
	ds_load_b32 v87, v216 offset:2496
	;; [unrolled: 1-line block ×4, first 2 shown]
	s_waitcnt lgkmcnt(3)
	v_perm_b32 v99, v174, v81, 0x5040100
	v_perm_b32 v95, v166, v83, 0x5040100
	;; [unrolled: 1-line block ×3, first 2 shown]
	s_delay_alu instid0(VALU_DEP_1)
	v_wmma_f16_16x16x16_f16 v[8:15], v[93:100], v[72:79], v[8:15]
	v_perm_b32 v95, v154, v153, 0x7060302
	v_perm_b32 v97, v158, v157, 0x7060302
	;; [unrolled: 1-line block ×8, first 2 shown]
	s_delay_alu instid0(VALU_DEP_1)
	v_wmma_f16_16x16x16_f16 v[0:7], v[93:100], v[72:79], v[0:7] op_sel:[0,0,1]
	v_perm_b32 v93, v161, v140, 0x7060302
	v_perm_b32 v94, v163, v142, 0x7060302
	;; [unrolled: 1-line block ×8, first 2 shown]
	s_delay_alu instid0(VALU_DEP_1)
	v_wmma_f16_16x16x16_f16 v[16:23], v[93:100], v[72:79], v[16:23] op_sel:[0,0,1]
	v_perm_b32 v93, v162, v135, 0x7060302
	v_perm_b32 v94, v164, v137, 0x7060302
	;; [unrolled: 1-line block ×8, first 2 shown]
	s_delay_alu instid0(VALU_DEP_1) | instskip(SKIP_1) | instid1(VALU_DEP_1)
	v_wmma_f16_16x16x16_f16 v[8:15], v[93:100], v[72:79], v[8:15] op_sel:[0,0,1]
	v_sub_f32_e32 v72, v231, v182
	v_mul_f32_e32 v73, 0x3fb8aa3b, v72
	v_cmp_ngt_f32_e64 s4, 0xc2ce8ed0, v72
	s_delay_alu instid0(VALU_DEP_2) | instskip(SKIP_1) | instid1(VALU_DEP_1)
	v_fma_f32 v74, 0x3fb8aa3b, v72, -v73
	v_rndne_f32_e32 v75, v73
	v_dual_fmac_f32 v74, 0x32a5705f, v72 :: v_dual_sub_f32 v73, v73, v75
	v_cvt_i32_f32_e32 v75, v75
	s_delay_alu instid0(VALU_DEP_2) | instskip(SKIP_1) | instid1(VALU_DEP_2)
	v_add_f32_e32 v73, v73, v74
	v_sub_f32_e32 v74, v233, v182
	v_exp_f32_e32 v73, v73
	s_delay_alu instid0(VALU_DEP_1) | instskip(SKIP_1) | instid1(VALU_DEP_2)
	v_mul_f32_e32 v76, 0x3fb8aa3b, v74
	v_cmp_ngt_f32_e64 s5, 0xc2ce8ed0, v74
	v_fma_f32 v77, 0x3fb8aa3b, v74, -v76
	v_rndne_f32_e32 v78, v76
	s_waitcnt_depctr 0xfff
	v_ldexp_f32 v73, v73, v75
	v_fmac_f32_e32 v77, 0x32a5705f, v74
	v_sub_f32_e32 v76, v76, v78
	v_cvt_i32_f32_e32 v75, v78
	s_delay_alu instid0(VALU_DEP_4) | instskip(SKIP_1) | instid1(VALU_DEP_4)
	v_cndmask_b32_e64 v73, 0, v73, s4
	v_cmp_nlt_f32_e64 s4, 0x42b17218, v72
	v_add_f32_e32 v76, v76, v77
	s_delay_alu instid0(VALU_DEP_2) | instskip(NEXT) | instid1(VALU_DEP_2)
	v_cndmask_b32_e64 v73, 0x7f800000, v73, s4
	v_exp_f32_e32 v76, v76
	s_waitcnt_depctr 0xfff
	v_ldexp_f32 v75, v76, v75
	ds_bpermute_b32 v76, v185, v73
	v_cndmask_b32_e64 v72, 0, v75, s5
	v_cmp_nlt_f32_e64 s5, 0x42b17218, v74
	s_delay_alu instid0(VALU_DEP_1) | instskip(SKIP_4) | instid1(VALU_DEP_2)
	v_cndmask_b32_e64 v72, 0x7f800000, v72, s5
	ds_bpermute_b32 v74, v185, v72
	s_waitcnt lgkmcnt(0)
	v_cndmask_b32_e32 v75, v72, v74, vcc_lo
	v_cndmask_b32_e64 v74, v72, v74, s1
	v_cndmask_b32_e64 v78, v75, v73, s2
	s_delay_alu instid0(VALU_DEP_2) | instskip(SKIP_2) | instid1(VALU_DEP_3)
	v_cndmask_b32_e64 v77, v74, v73, s3
	v_cvt_f16_f32_e32 v74, v74
	v_cvt_f16_f32_e32 v75, v75
	v_cndmask_b32_e64 v77, v77, v76, s1
	v_cndmask_b32_e32 v76, v78, v76, vcc_lo
	s_delay_alu instid0(VALU_DEP_3) | instskip(SKIP_1) | instid1(VALU_DEP_4)
	v_pack_b32_f16 v93, v74, v75
	v_sub_f32_e32 v74, v229, v182
	v_cvt_f16_f32_e32 v78, v77
	s_delay_alu instid0(VALU_DEP_4) | instskip(NEXT) | instid1(VALU_DEP_3)
	v_cvt_f16_f32_e32 v79, v76
	v_mul_f32_e32 v75, 0x3fb8aa3b, v74
	v_cmp_ngt_f32_e64 s4, 0xc2ce8ed0, v74
	s_delay_alu instid0(VALU_DEP_3) | instskip(NEXT) | instid1(VALU_DEP_3)
	v_pack_b32_f16 v94, v78, v79
	v_fma_f32 v78, 0x3fb8aa3b, v74, -v75
	v_rndne_f32_e32 v79, v75
	s_delay_alu instid0(VALU_DEP_1) | instskip(NEXT) | instid1(VALU_DEP_1)
	v_dual_fmac_f32 v78, 0x32a5705f, v74 :: v_dual_sub_f32 v75, v75, v79
	v_add_f32_e32 v75, v75, v78
	v_cvt_i32_f32_e32 v78, v79
	s_delay_alu instid0(VALU_DEP_2) | instskip(SKIP_2) | instid1(VALU_DEP_1)
	v_exp_f32_e32 v75, v75
	s_waitcnt_depctr 0xfff
	v_ldexp_f32 v75, v75, v78
	v_cndmask_b32_e64 v75, 0, v75, s4
	v_cmp_nlt_f32_e64 s4, 0x42b17218, v74
	s_delay_alu instid0(VALU_DEP_1) | instskip(NEXT) | instid1(VALU_DEP_1)
	v_cndmask_b32_e64 v74, 0x7f800000, v75, s4
	v_cndmask_b32_e64 v75, v76, v74, s2
	;; [unrolled: 1-line block ×3, first 2 shown]
	ds_bpermute_b32 v77, v185, v74
	s_waitcnt lgkmcnt(0)
	v_cndmask_b32_e64 v76, v76, v77, s1
	v_cndmask_b32_e32 v77, v75, v77, vcc_lo
	s_delay_alu instid0(VALU_DEP_2) | instskip(NEXT) | instid1(VALU_DEP_2)
	v_cvt_f16_f32_e32 v75, v76
	v_cvt_f16_f32_e32 v78, v77
	s_delay_alu instid0(VALU_DEP_1) | instskip(SKIP_1) | instid1(VALU_DEP_1)
	v_pack_b32_f16 v95, v75, v78
	v_sub_f32_e32 v75, v124, v182
	v_mul_f32_e32 v78, 0x3fb8aa3b, v75
	v_cmp_ngt_f32_e64 s4, 0xc2ce8ed0, v75
	s_delay_alu instid0(VALU_DEP_2) | instskip(SKIP_1) | instid1(VALU_DEP_1)
	v_fma_f32 v79, 0x3fb8aa3b, v75, -v78
	v_rndne_f32_e32 v81, v78
	v_dual_fmac_f32 v79, 0x32a5705f, v75 :: v_dual_sub_f32 v78, v78, v81
	s_delay_alu instid0(VALU_DEP_1) | instskip(SKIP_1) | instid1(VALU_DEP_2)
	v_add_f32_e32 v78, v78, v79
	v_cvt_i32_f32_e32 v79, v81
	v_exp_f32_e32 v78, v78
	s_waitcnt_depctr 0xfff
	v_ldexp_f32 v78, v78, v79
	s_delay_alu instid0(VALU_DEP_1) | instskip(SKIP_1) | instid1(VALU_DEP_1)
	v_cndmask_b32_e64 v78, 0, v78, s4
	v_cmp_nlt_f32_e64 s4, 0x42b17218, v75
	v_cndmask_b32_e64 v75, 0x7f800000, v78, s4
	ds_bpermute_b32 v78, v185, v75
	v_cndmask_b32_e64 v77, v77, v75, s2
	v_cndmask_b32_e64 v76, v76, v75, s3
	s_waitcnt lgkmcnt(0)
	s_delay_alu instid0(VALU_DEP_1) | instskip(NEXT) | instid1(VALU_DEP_3)
	v_cndmask_b32_e64 v79, v76, v78, s1
	v_cndmask_b32_e32 v77, v77, v78, vcc_lo
	s_delay_alu instid0(VALU_DEP_2) | instskip(NEXT) | instid1(VALU_DEP_2)
	v_cvt_f16_f32_e32 v76, v79
	v_cvt_f16_f32_e32 v78, v77
	s_delay_alu instid0(VALU_DEP_1) | instskip(SKIP_1) | instid1(VALU_DEP_1)
	v_pack_b32_f16 v96, v76, v78
	v_sub_f32_e32 v76, v123, v182
	v_mul_f32_e32 v78, 0x3fb8aa3b, v76
	v_cmp_ngt_f32_e64 s4, 0xc2ce8ed0, v76
	s_delay_alu instid0(VALU_DEP_2) | instskip(SKIP_1) | instid1(VALU_DEP_1)
	v_fma_f32 v81, 0x3fb8aa3b, v76, -v78
	v_rndne_f32_e32 v83, v78
	v_dual_fmac_f32 v81, 0x32a5705f, v76 :: v_dual_sub_f32 v78, v78, v83
	s_delay_alu instid0(VALU_DEP_1) | instskip(SKIP_1) | instid1(VALU_DEP_2)
	v_add_f32_e32 v78, v78, v81
	v_cvt_i32_f32_e32 v81, v83
	v_exp_f32_e32 v78, v78
	s_waitcnt_depctr 0xfff
	v_ldexp_f32 v78, v78, v81
	s_delay_alu instid0(VALU_DEP_1) | instskip(SKIP_1) | instid1(VALU_DEP_1)
	v_cndmask_b32_e64 v78, 0, v78, s4
	v_cmp_nlt_f32_e64 s4, 0x42b17218, v76
	v_cndmask_b32_e64 v76, 0x7f800000, v78, s4
	s_delay_alu instid0(VALU_DEP_1) | instskip(SKIP_4) | instid1(VALU_DEP_2)
	v_cndmask_b32_e64 v78, v79, v76, s3
	ds_bpermute_b32 v79, v185, v76
	v_cndmask_b32_e64 v77, v77, v76, s2
	s_waitcnt lgkmcnt(0)
	v_cndmask_b32_e64 v78, v78, v79, s1
	v_cndmask_b32_e32 v79, v77, v79, vcc_lo
	s_delay_alu instid0(VALU_DEP_2) | instskip(NEXT) | instid1(VALU_DEP_2)
	v_cvt_f16_f32_e32 v77, v78
	v_cvt_f16_f32_e32 v81, v79
	s_delay_alu instid0(VALU_DEP_1) | instskip(SKIP_1) | instid1(VALU_DEP_1)
	v_pack_b32_f16 v97, v77, v81
	v_sub_f32_e32 v77, v121, v182
	v_mul_f32_e32 v81, 0x3fb8aa3b, v77
	v_cmp_ngt_f32_e64 s4, 0xc2ce8ed0, v77
	s_delay_alu instid0(VALU_DEP_2) | instskip(SKIP_1) | instid1(VALU_DEP_2)
	v_fma_f32 v83, 0x3fb8aa3b, v77, -v81
	v_rndne_f32_e32 v84, v81
	v_fmac_f32_e32 v83, 0x32a5705f, v77
	s_delay_alu instid0(VALU_DEP_2) | instskip(NEXT) | instid1(VALU_DEP_1)
	v_sub_f32_e32 v81, v81, v84
	v_add_f32_e32 v81, v81, v83
	v_cvt_i32_f32_e32 v83, v84
	s_delay_alu instid0(VALU_DEP_2) | instskip(SKIP_2) | instid1(VALU_DEP_1)
	v_exp_f32_e32 v81, v81
	s_waitcnt_depctr 0xfff
	v_ldexp_f32 v81, v81, v83
	v_cndmask_b32_e64 v81, 0, v81, s4
	v_cmp_nlt_f32_e64 s4, 0x42b17218, v77
	s_delay_alu instid0(VALU_DEP_1) | instskip(SKIP_4) | instid1(VALU_DEP_1)
	v_cndmask_b32_e64 v77, 0x7f800000, v81, s4
	ds_bpermute_b32 v81, v185, v77
	v_cndmask_b32_e64 v79, v79, v77, s2
	v_cndmask_b32_e64 v78, v78, v77, s3
	s_waitcnt lgkmcnt(0)
	v_cndmask_b32_e64 v83, v78, v81, s1
	s_delay_alu instid0(VALU_DEP_3) | instskip(NEXT) | instid1(VALU_DEP_2)
	v_cndmask_b32_e32 v79, v79, v81, vcc_lo
	v_cvt_f16_f32_e32 v78, v83
	s_delay_alu instid0(VALU_DEP_2) | instskip(NEXT) | instid1(VALU_DEP_1)
	v_cvt_f16_f32_e32 v81, v79
	v_pack_b32_f16 v98, v78, v81
	v_sub_f32_e32 v78, v119, v182
	s_delay_alu instid0(VALU_DEP_1) | instskip(SKIP_1) | instid1(VALU_DEP_2)
	v_mul_f32_e32 v81, 0x3fb8aa3b, v78
	v_cmp_ngt_f32_e64 s4, 0xc2ce8ed0, v78
	v_fma_f32 v84, 0x3fb8aa3b, v78, -v81
	v_rndne_f32_e32 v85, v81
	s_delay_alu instid0(VALU_DEP_1) | instskip(NEXT) | instid1(VALU_DEP_1)
	v_dual_fmac_f32 v84, 0x32a5705f, v78 :: v_dual_sub_f32 v81, v81, v85
	v_add_f32_e32 v81, v81, v84
	v_cvt_i32_f32_e32 v84, v85
	s_delay_alu instid0(VALU_DEP_2) | instskip(SKIP_2) | instid1(VALU_DEP_1)
	v_exp_f32_e32 v81, v81
	s_waitcnt_depctr 0xfff
	v_ldexp_f32 v81, v81, v84
	v_cndmask_b32_e64 v81, 0, v81, s4
	v_cmp_nlt_f32_e64 s4, 0x42b17218, v78
	s_delay_alu instid0(VALU_DEP_1) | instskip(NEXT) | instid1(VALU_DEP_1)
	v_cndmask_b32_e64 v78, 0x7f800000, v81, s4
	v_cndmask_b32_e64 v81, v83, v78, s3
	ds_bpermute_b32 v83, v185, v78
	v_cndmask_b32_e64 v79, v79, v78, s2
	s_waitcnt lgkmcnt(0)
	v_cndmask_b32_e64 v81, v81, v83, s1
	s_delay_alu instid0(VALU_DEP_2) | instskip(NEXT) | instid1(VALU_DEP_2)
	v_cndmask_b32_e32 v83, v79, v83, vcc_lo
	v_cvt_f16_f32_e32 v79, v81
	s_delay_alu instid0(VALU_DEP_2) | instskip(NEXT) | instid1(VALU_DEP_1)
	v_cvt_f16_f32_e32 v84, v83
	v_pack_b32_f16 v99, v79, v84
	v_sub_f32_e32 v79, v184, v182
	s_delay_alu instid0(VALU_DEP_1) | instskip(SKIP_1) | instid1(VALU_DEP_2)
	v_mul_f32_e32 v84, 0x3fb8aa3b, v79
	v_cmp_ngt_f32_e64 s4, 0xc2ce8ed0, v79
	v_fma_f32 v85, 0x3fb8aa3b, v79, -v84
	v_rndne_f32_e32 v86, v84
	s_delay_alu instid0(VALU_DEP_1) | instskip(NEXT) | instid1(VALU_DEP_1)
	v_dual_fmac_f32 v85, 0x32a5705f, v79 :: v_dual_sub_f32 v84, v84, v86
	v_add_f32_e32 v84, v84, v85
	v_cvt_i32_f32_e32 v85, v86
	s_delay_alu instid0(VALU_DEP_2) | instskip(SKIP_2) | instid1(VALU_DEP_1)
	v_exp_f32_e32 v84, v84
	s_waitcnt_depctr 0xfff
	v_ldexp_f32 v84, v84, v85
	v_cndmask_b32_e64 v84, 0, v84, s4
	v_cmp_nlt_f32_e64 s4, 0x42b17218, v79
	s_delay_alu instid0(VALU_DEP_1) | instskip(SKIP_4) | instid1(VALU_DEP_2)
	v_cndmask_b32_e64 v79, 0x7f800000, v84, s4
	ds_bpermute_b32 v84, v185, v79
	v_cndmask_b32_e64 v81, v81, v79, s3
	v_cndmask_b32_e64 v83, v83, v79, s2
	s_waitcnt lgkmcnt(0)
	v_cndmask_b32_e64 v81, v81, v84, s1
	s_delay_alu instid0(VALU_DEP_2) | instskip(NEXT) | instid1(VALU_DEP_2)
	v_cndmask_b32_e32 v83, v83, v84, vcc_lo
	v_cvt_f16_f32_e32 v81, v81
	s_delay_alu instid0(VALU_DEP_2) | instskip(NEXT) | instid1(VALU_DEP_1)
	v_cvt_f16_f32_e32 v83, v83
	v_pack_b32_f16 v100, v81, v83
	v_add_nc_u32_e32 v81, 0x300, v208
	ds_load_2addr_b32 v[83:84], v103 offset0:64 offset1:80
	ds_load_2addr_b32 v[85:86], v103 offset0:96 offset1:116
	ds_load_2addr_b32 v[101:102], v103 offset0:168 offset1:184
	ds_load_2addr_b32 v[123:124], v103 offset0:200 offset1:220
	ds_load_2addr_b32 v[143:144], v81 offset0:16 offset1:224
	ds_load_2addr_b32 v[145:146], v104 offset0:68 offset1:84
	v_add_nc_u32_e32 v81, 0x1200, v207
	ds_load_2addr_b32 v[147:148], v104 offset0:100 offset1:120
	ds_load_2addr_b32 v[149:150], v104 offset0:172 offset1:188
	ds_load_2addr_b32 v[151:152], v81 offset0:76 offset1:148
	ds_load_2addr_b32 v[153:154], v105 offset0:72 offset1:88
	ds_load_2addr_b32 v[155:156], v105 offset0:104 offset1:124
	ds_load_b32 v121, v209 offset:2496
	ds_load_b32 v119, v208 offset:2496
	;; [unrolled: 1-line block ×3, first 2 shown]
	ds_load_2addr_b32 v[157:158], v105 offset0:228 offset1:244
	ds_load_2addr_b32 v[159:160], v179 offset0:4 offset1:24
	;; [unrolled: 1-line block ×5, first 2 shown]
	v_add_nc_u32_e32 v103, 0x300, v212
	ds_load_2addr_b32 v[167:168], v104 offset0:136 offset1:152
	ds_load_2addr_b32 v[171:172], v105 offset0:36 offset1:52
	;; [unrolled: 1-line block ×5, first 2 shown]
	v_add_nc_u32_e32 v103, 0x300, v216
	s_waitcnt lgkmcnt(22)
	v_perm_b32 v135, v86, v83, 0x5040100
	s_waitcnt lgkmcnt(20)
	v_perm_b32 v136, v124, v101, 0x5040100
	;; [unrolled: 2-line block ×3, first 2 shown]
	ds_load_2addr_b32 v[183:184], v103 offset0:16 offset1:224
	ds_load_2addr_b32 v[103:104], v179 offset0:108 offset1:128
	s_waitcnt lgkmcnt(18)
	v_perm_b32 v138, v149, v148, 0x5040100
	s_waitcnt lgkmcnt(17)
	v_perm_b32 v139, v152, v144, 0x5040100
	;; [unrolled: 2-line block ×5, first 2 shown]
	s_delay_alu instid0(VALU_DEP_1)
	v_wmma_f16_16x16x16_f16 v[0:7], v[135:142], v[93:100], v[0:7]
	s_waitcnt lgkmcnt(8)
	v_perm_b32 v135, v163, v84, 0x5040100
	s_waitcnt lgkmcnt(7)
	v_perm_b32 v136, v165, v102, 0x5040100
	;; [unrolled: 2-line block ×4, first 2 shown]
	v_perm_b32 v139, v171, v170, 0x5040100
	v_perm_b32 v140, v173, v154, 0x5040100
	;; [unrolled: 1-line block ×4, first 2 shown]
	s_delay_alu instid0(VALU_DEP_1)
	v_wmma_f16_16x16x16_f16 v[16:23], v[135:142], v[93:100], v[16:23]
	v_perm_b32 v135, v164, v85, 0x5040100
	v_perm_b32 v136, v166, v123, 0x5040100
	;; [unrolled: 1-line block ×3, first 2 shown]
	s_waitcnt lgkmcnt(1)
	v_perm_b32 v137, v147, v183, 0x5040100
	v_perm_b32 v139, v172, v184, 0x5040100
	;; [unrolled: 1-line block ×4, first 2 shown]
	s_waitcnt lgkmcnt(0)
	v_perm_b32 v142, v103, v176, 0x5040100
	s_delay_alu instid0(VALU_DEP_1)
	v_wmma_f16_16x16x16_f16 v[8:15], v[135:142], v[93:100], v[8:15]
	v_perm_b32 v137, v145, v143, 0x7060302
	v_perm_b32 v139, v152, v144, 0x7060302
	;; [unrolled: 1-line block ×8, first 2 shown]
	v_sub_f32_e32 v83, v90, v182
	s_delay_alu instid0(VALU_DEP_2)
	v_wmma_f16_16x16x16_f16 v[0:7], v[135:142], v[93:100], v[0:7] op_sel:[0,0,1]
	v_perm_b32 v141, v158, v118, 0x7060302
	v_perm_b32 v135, v163, v84, 0x7060302
	;; [unrolled: 1-line block ×8, first 2 shown]
	v_mul_f32_e32 v84, 0x3fb8aa3b, v83
	v_cmp_ngt_f32_e64 s4, 0xc2ce8ed0, v83
	v_add_nc_u32_e32 v171, 0x2000, v207
	s_delay_alu instid0(VALU_DEP_4)
	v_wmma_f16_16x16x16_f16 v[16:23], v[135:142], v[93:100], v[16:23] op_sel:[0,0,1]
	v_perm_b32 v135, v164, v85, 0x7060302
	v_fma_f32 v85, 0x3fb8aa3b, v83, -v84
	v_rndne_f32_e32 v86, v84
	v_perm_b32 v136, v166, v123, 0x7060302
	v_perm_b32 v138, v151, v168, 0x7060302
	;; [unrolled: 1-line block ×3, first 2 shown]
	s_delay_alu instid0(VALU_DEP_4)
	v_dual_fmac_f32 v85, 0x32a5705f, v83 :: v_dual_sub_f32 v84, v84, v86
	v_perm_b32 v139, v172, v184, 0x7060302
	v_perm_b32 v140, v174, v155, 0x7060302
	;; [unrolled: 1-line block ×4, first 2 shown]
	v_dual_add_f32 v84, v84, v85 :: v_dual_sub_f32 v85, v178, v182
	v_cvt_i32_f32_e32 v86, v86
	v_add_nc_u32_e32 v103, 0x2400, v207
	s_delay_alu instid0(VALU_DEP_4) | instskip(NEXT) | instid1(VALU_DEP_4)
	v_wmma_f16_16x16x16_f16 v[8:15], v[135:142], v[93:100], v[8:15] op_sel:[0,0,1]
	v_exp_f32_e32 v84, v84
	v_mul_f32_e32 v87, 0x3fb8aa3b, v85
	v_cmp_ngt_f32_e64 s5, 0xc2ce8ed0, v85
	v_add_nc_u32_e32 v137, 0x300, v209
	v_add_nc_u32_e32 v141, 0x2200, v207
	s_delay_alu instid0(VALU_DEP_4) | instskip(SKIP_1) | instid1(TRANS32_DEP_1)
	v_fma_f32 v90, 0x3fb8aa3b, v85, -v87
	v_rndne_f32_e32 v93, v87
	v_ldexp_f32 v84, v84, v86
	s_delay_alu instid0(VALU_DEP_3) | instskip(NEXT) | instid1(VALU_DEP_3)
	v_fmac_f32_e32 v90, 0x32a5705f, v85
	v_sub_f32_e32 v87, v87, v93
	v_cvt_i32_f32_e32 v86, v93
	s_delay_alu instid0(VALU_DEP_4) | instskip(SKIP_1) | instid1(VALU_DEP_4)
	v_cndmask_b32_e64 v84, 0, v84, s4
	v_cmp_nlt_f32_e64 s4, 0x42b17218, v83
	v_add_f32_e32 v87, v87, v90
	s_delay_alu instid0(VALU_DEP_2) | instskip(NEXT) | instid1(VALU_DEP_2)
	v_cndmask_b32_e64 v105, 0x7f800000, v84, s4
	v_exp_f32_e32 v87, v87
	s_waitcnt_depctr 0xfff
	v_ldexp_f32 v86, v87, v86
	s_delay_alu instid0(VALU_DEP_1)
	v_cndmask_b32_e64 v83, 0, v86, s5
	v_cmp_nlt_f32_e64 s5, 0x42b17218, v85
	ds_bpermute_b32 v85, v185, v105
	v_cndmask_b32_e64 v90, 0x7f800000, v83, s5
	ds_bpermute_b32 v83, v185, v90
	s_waitcnt lgkmcnt(0)
	v_cndmask_b32_e32 v84, v90, v83, vcc_lo
	v_cndmask_b32_e64 v83, v90, v83, s1
	s_delay_alu instid0(VALU_DEP_2) | instskip(NEXT) | instid1(VALU_DEP_2)
	v_cndmask_b32_e64 v87, v84, v105, s2
	v_cndmask_b32_e64 v86, v83, v105, s3
	v_cvt_f16_f32_e32 v83, v83
	v_cvt_f16_f32_e32 v84, v84
	s_delay_alu instid0(VALU_DEP_3) | instskip(SKIP_1) | instid1(VALU_DEP_3)
	v_cndmask_b32_e64 v86, v86, v85, s1
	v_cndmask_b32_e32 v85, v87, v85, vcc_lo
	v_pack_b32_f16 v93, v83, v84
	v_sub_f32_e32 v83, v237, v182
	s_delay_alu instid0(VALU_DEP_4) | instskip(NEXT) | instid1(VALU_DEP_4)
	v_cvt_f16_f32_e32 v87, v86
	v_cvt_f16_f32_e32 v94, v85
	s_delay_alu instid0(VALU_DEP_3) | instskip(SKIP_1) | instid1(VALU_DEP_3)
	v_mul_f32_e32 v84, 0x3fb8aa3b, v83
	v_cmp_ngt_f32_e64 s4, 0xc2ce8ed0, v83
	v_pack_b32_f16 v94, v87, v94
	s_delay_alu instid0(VALU_DEP_3) | instskip(SKIP_1) | instid1(VALU_DEP_2)
	v_fma_f32 v87, 0x3fb8aa3b, v83, -v84
	v_rndne_f32_e32 v95, v84
	v_fmac_f32_e32 v87, 0x32a5705f, v83
	s_delay_alu instid0(VALU_DEP_2) | instskip(NEXT) | instid1(VALU_DEP_1)
	v_sub_f32_e32 v84, v84, v95
	v_add_f32_e32 v84, v84, v87
	v_cvt_i32_f32_e32 v87, v95
	s_delay_alu instid0(VALU_DEP_2) | instskip(SKIP_2) | instid1(VALU_DEP_1)
	v_exp_f32_e32 v84, v84
	s_waitcnt_depctr 0xfff
	v_ldexp_f32 v84, v84, v87
	v_cndmask_b32_e64 v84, 0, v84, s4
	v_cmp_nlt_f32_e64 s4, 0x42b17218, v83
	s_delay_alu instid0(VALU_DEP_1) | instskip(NEXT) | instid1(VALU_DEP_1)
	v_cndmask_b32_e64 v178, 0x7f800000, v84, s4
	v_cndmask_b32_e64 v84, v85, v178, s2
	ds_bpermute_b32 v85, v185, v178
	v_cndmask_b32_e64 v83, v86, v178, s3
	s_waitcnt lgkmcnt(0)
	s_delay_alu instid0(VALU_DEP_1) | instskip(SKIP_1) | instid1(VALU_DEP_2)
	v_cndmask_b32_e64 v83, v83, v85, s1
	v_cndmask_b32_e32 v84, v84, v85, vcc_lo
	v_cvt_f16_f32_e32 v85, v83
	s_delay_alu instid0(VALU_DEP_2) | instskip(NEXT) | instid1(VALU_DEP_1)
	v_cvt_f16_f32_e32 v86, v84
	v_pack_b32_f16 v95, v85, v86
	v_sub_f32_e32 v85, v238, v182
	s_delay_alu instid0(VALU_DEP_1) | instskip(SKIP_1) | instid1(VALU_DEP_2)
	v_mul_f32_e32 v86, 0x3fb8aa3b, v85
	v_cmp_ngt_f32_e64 s4, 0xc2ce8ed0, v85
	v_fma_f32 v87, 0x3fb8aa3b, v85, -v86
	v_rndne_f32_e32 v96, v86
	s_delay_alu instid0(VALU_DEP_1) | instskip(NEXT) | instid1(VALU_DEP_1)
	v_dual_fmac_f32 v87, 0x32a5705f, v85 :: v_dual_sub_f32 v86, v86, v96
	v_add_f32_e32 v86, v86, v87
	v_cvt_i32_f32_e32 v87, v96
	s_delay_alu instid0(VALU_DEP_2) | instskip(SKIP_2) | instid1(VALU_DEP_1)
	v_exp_f32_e32 v86, v86
	s_waitcnt_depctr 0xfff
	v_ldexp_f32 v86, v86, v87
	v_cndmask_b32_e64 v86, 0, v86, s4
	v_cmp_nlt_f32_e64 s4, 0x42b17218, v85
	s_delay_alu instid0(VALU_DEP_1) | instskip(SKIP_4) | instid1(VALU_DEP_2)
	v_cndmask_b32_e64 v183, 0x7f800000, v86, s4
	ds_bpermute_b32 v85, v185, v183
	v_cndmask_b32_e64 v83, v83, v183, s3
	v_cndmask_b32_e64 v84, v84, v183, s2
	s_waitcnt lgkmcnt(0)
	v_cndmask_b32_e64 v83, v83, v85, s1
	s_delay_alu instid0(VALU_DEP_2) | instskip(NEXT) | instid1(VALU_DEP_2)
	v_cndmask_b32_e32 v84, v84, v85, vcc_lo
	v_cvt_f16_f32_e32 v85, v83
	s_delay_alu instid0(VALU_DEP_2) | instskip(NEXT) | instid1(VALU_DEP_1)
	v_cvt_f16_f32_e32 v86, v84
	v_pack_b32_f16 v96, v85, v86
	v_sub_f32_e32 v85, v227, v182
	s_delay_alu instid0(VALU_DEP_1) | instskip(SKIP_1) | instid1(VALU_DEP_2)
	v_mul_f32_e32 v86, 0x3fb8aa3b, v85
	v_cmp_ngt_f32_e64 s4, 0xc2ce8ed0, v85
	v_fma_f32 v87, 0x3fb8aa3b, v85, -v86
	v_rndne_f32_e32 v97, v86
	s_delay_alu instid0(VALU_DEP_2) | instskip(NEXT) | instid1(VALU_DEP_2)
	v_fmac_f32_e32 v87, 0x32a5705f, v85
	v_sub_f32_e32 v86, v86, v97
	s_delay_alu instid0(VALU_DEP_1) | instskip(SKIP_1) | instid1(VALU_DEP_2)
	v_add_f32_e32 v86, v86, v87
	v_cvt_i32_f32_e32 v87, v97
	v_exp_f32_e32 v86, v86
	s_waitcnt_depctr 0xfff
	v_ldexp_f32 v86, v86, v87
	s_delay_alu instid0(VALU_DEP_1) | instskip(SKIP_1) | instid1(VALU_DEP_1)
	v_cndmask_b32_e64 v86, 0, v86, s4
	v_cmp_nlt_f32_e64 s4, 0x42b17218, v85
	v_cndmask_b32_e64 v184, 0x7f800000, v86, s4
	ds_bpermute_b32 v85, v185, v184
	v_cndmask_b32_e64 v83, v83, v184, s3
	v_cndmask_b32_e64 v84, v84, v184, s2
	s_waitcnt lgkmcnt(0)
	s_delay_alu instid0(VALU_DEP_2) | instskip(NEXT) | instid1(VALU_DEP_2)
	v_cndmask_b32_e64 v83, v83, v85, s1
	v_cndmask_b32_e32 v84, v84, v85, vcc_lo
	s_delay_alu instid0(VALU_DEP_2) | instskip(NEXT) | instid1(VALU_DEP_2)
	v_cvt_f16_f32_e32 v85, v83
	v_cvt_f16_f32_e32 v86, v84
	s_delay_alu instid0(VALU_DEP_1) | instskip(SKIP_1) | instid1(VALU_DEP_1)
	v_pack_b32_f16 v97, v85, v86
	v_sub_f32_e32 v85, v226, v182
	v_mul_f32_e32 v86, 0x3fb8aa3b, v85
	v_cmp_ngt_f32_e64 s4, 0xc2ce8ed0, v85
	s_delay_alu instid0(VALU_DEP_2) | instskip(SKIP_1) | instid1(VALU_DEP_1)
	v_fma_f32 v87, 0x3fb8aa3b, v85, -v86
	v_rndne_f32_e32 v98, v86
	v_dual_fmac_f32 v87, 0x32a5705f, v85 :: v_dual_sub_f32 v86, v86, v98
	s_delay_alu instid0(VALU_DEP_1) | instskip(SKIP_1) | instid1(VALU_DEP_2)
	v_add_f32_e32 v86, v86, v87
	v_cvt_i32_f32_e32 v87, v98
	v_exp_f32_e32 v86, v86
	s_waitcnt_depctr 0xfff
	v_ldexp_f32 v86, v86, v87
	s_delay_alu instid0(VALU_DEP_1) | instskip(SKIP_1) | instid1(VALU_DEP_1)
	v_cndmask_b32_e64 v86, 0, v86, s4
	v_cmp_nlt_f32_e64 s4, 0x42b17218, v85
	v_cndmask_b32_e64 v226, 0x7f800000, v86, s4
	ds_bpermute_b32 v85, v185, v226
	v_cndmask_b32_e64 v83, v83, v226, s3
	v_cndmask_b32_e64 v84, v84, v226, s2
	s_waitcnt lgkmcnt(0)
	s_delay_alu instid0(VALU_DEP_2) | instskip(NEXT) | instid1(VALU_DEP_2)
	v_cndmask_b32_e64 v83, v83, v85, s1
	v_cndmask_b32_e32 v84, v84, v85, vcc_lo
	s_delay_alu instid0(VALU_DEP_2) | instskip(NEXT) | instid1(VALU_DEP_2)
	v_cvt_f16_f32_e32 v85, v83
	v_cvt_f16_f32_e32 v86, v84
	s_delay_alu instid0(VALU_DEP_1) | instskip(SKIP_1) | instid1(VALU_DEP_1)
	v_pack_b32_f16 v98, v85, v86
	v_sub_f32_e32 v85, v225, v182
	v_mul_f32_e32 v86, 0x3fb8aa3b, v85
	v_cmp_ngt_f32_e64 s4, 0xc2ce8ed0, v85
	s_delay_alu instid0(VALU_DEP_2) | instskip(SKIP_1) | instid1(VALU_DEP_1)
	v_fma_f32 v87, 0x3fb8aa3b, v85, -v86
	v_rndne_f32_e32 v99, v86
	v_dual_fmac_f32 v87, 0x32a5705f, v85 :: v_dual_sub_f32 v86, v86, v99
	;; [unrolled: 29-line block ×3, first 2 shown]
	s_delay_alu instid0(VALU_DEP_1) | instskip(SKIP_1) | instid1(VALU_DEP_2)
	v_add_f32_e32 v86, v86, v87
	v_cvt_i32_f32_e32 v87, v100
	v_exp_f32_e32 v86, v86
	s_waitcnt_depctr 0xfff
	v_ldexp_f32 v86, v86, v87
	v_add_nc_u32_e32 v87, 0x1c00, v207
	s_delay_alu instid0(VALU_DEP_2) | instskip(SKIP_1) | instid1(VALU_DEP_1)
	v_cndmask_b32_e64 v86, 0, v86, s4
	v_cmp_nlt_f32_e64 s4, 0x42b17218, v85
	v_cndmask_b32_e64 v224, 0x7f800000, v86, s4
	ds_bpermute_b32 v85, v185, v224
	v_cndmask_b32_e64 v83, v83, v224, s3
	v_cndmask_b32_e64 v84, v84, v224, s2
	s_waitcnt lgkmcnt(0)
	s_delay_alu instid0(VALU_DEP_2) | instskip(NEXT) | instid1(VALU_DEP_2)
	v_cndmask_b32_e64 v83, v83, v85, s1
	v_cndmask_b32_e32 v84, v84, v85, vcc_lo
	s_delay_alu instid0(VALU_DEP_2) | instskip(NEXT) | instid1(VALU_DEP_2)
	v_cvt_f16_f32_e32 v83, v83
	v_cvt_f16_f32_e32 v84, v84
	s_delay_alu instid0(VALU_DEP_1)
	v_pack_b32_f16 v100, v83, v84
	ds_load_2addr_b32 v[83:84], v87 offset0:184 offset1:200
	ds_load_2addr_b32 v[85:86], v87 offset0:216 offset1:236
	;; [unrolled: 1-line block ×13, first 2 shown]
	s_waitcnt lgkmcnt(11)
	v_perm_b32 v138, v86, v83, 0x5040100
	s_waitcnt lgkmcnt(9)
	v_perm_b32 v142, v119, v101, 0x5040100
	;; [unrolled: 2-line block ×8, first 2 shown]
	s_delay_alu instid0(VALU_DEP_1)
	v_wmma_f16_16x16x16_f16 v[0:7], v[135:142], v[93:100], v[0:7]
	v_add_nc_u32_e32 v135, 0x1e00, v207
	v_add_nc_u32_e32 v136, 0x1a00, v207
	;; [unrolled: 1-line block ×3, first 2 shown]
	ds_load_2addr_b32 v[159:160], v135 offset0:124 offset1:140
	ds_load_2addr_b32 v[161:162], v103 offset0:156 offset1:172
	;; [unrolled: 1-line block ×8, first 2 shown]
	v_add_nc_u32_e32 v87, 0x300, v217
	ds_load_2addr_b32 v[175:176], v87 offset0:16 offset1:224
	s_waitcnt lgkmcnt(8)
	v_perm_b32 v138, v159, v84, 0x5040100
	s_waitcnt lgkmcnt(7)
	v_perm_b32 v142, v161, v102, 0x5040100
	;; [unrolled: 2-line block ×8, first 2 shown]
	s_delay_alu instid0(VALU_DEP_1)
	v_wmma_f16_16x16x16_f16 v[16:23], v[135:142], v[93:100], v[16:23]
	v_perm_b32 v138, v160, v85, 0x5040100
	v_perm_b32 v142, v162, v118, 0x5040100
	;; [unrolled: 1-line block ×4, first 2 shown]
	s_waitcnt lgkmcnt(0)
	v_perm_b32 v137, v170, v175, 0x5040100
	v_perm_b32 v139, v153, v176, 0x5040100
	;; [unrolled: 1-line block ×4, first 2 shown]
	s_delay_alu instid0(VALU_DEP_1)
	v_wmma_f16_16x16x16_f16 v[8:15], v[135:142], v[93:100], v[8:15]
	v_perm_b32 v135, v123, v104, 0x7060302
	v_perm_b32 v137, v150, v147, 0x7060302
	;; [unrolled: 1-line block ×8, first 2 shown]
	s_delay_alu instid0(VALU_DEP_1)
	v_wmma_f16_16x16x16_f16 v[0:7], v[135:142], v[93:100], v[0:7] op_sel:[0,0,1]
	v_perm_b32 v138, v159, v84, 0x7060302
	v_perm_b32 v142, v161, v102, 0x7060302
	;; [unrolled: 1-line block ×8, first 2 shown]
	v_add_nc_u32_e32 v159, 0x2800, v207
	v_add_nc_u32_e32 v165, 0x2c00, v207
	;; [unrolled: 1-line block ×3, first 2 shown]
	s_delay_alu instid0(VALU_DEP_4)
	v_wmma_f16_16x16x16_f16 v[16:23], v[135:142], v[93:100], v[16:23] op_sel:[0,0,1]
	v_perm_b32 v141, v174, v82, 0x7060302
	v_sub_f32_e32 v82, v223, v182
	v_perm_b32 v138, v160, v85, 0x7060302
	v_perm_b32 v142, v162, v118, 0x7060302
	;; [unrolled: 1-line block ×4, first 2 shown]
	v_mul_f32_e32 v83, 0x3fb8aa3b, v82
	v_perm_b32 v137, v170, v175, 0x7060302
	v_perm_b32 v139, v153, v176, 0x7060302
	;; [unrolled: 1-line block ×3, first 2 shown]
	v_cmp_ngt_f32_e64 s4, 0xc2ce8ed0, v82
	v_fma_f32 v84, 0x3fb8aa3b, v82, -v83
	v_rndne_f32_e32 v85, v83
	s_delay_alu instid0(VALU_DEP_4) | instskip(NEXT) | instid1(VALU_DEP_2)
	v_wmma_f16_16x16x16_f16 v[8:15], v[135:142], v[93:100], v[8:15] op_sel:[0,0,1]
	v_dual_fmac_f32 v84, 0x32a5705f, v82 :: v_dual_sub_f32 v83, v83, v85
	v_cvt_i32_f32_e32 v85, v85
	s_delay_alu instid0(VALU_DEP_2) | instskip(NEXT) | instid1(VALU_DEP_1)
	v_dual_add_f32 v83, v83, v84 :: v_dual_sub_f32 v84, v244, v182
	v_exp_f32_e32 v83, v83
	s_delay_alu instid0(VALU_DEP_1) | instskip(SKIP_1) | instid1(VALU_DEP_2)
	v_mul_f32_e32 v86, 0x3fb8aa3b, v84
	v_cmp_ngt_f32_e64 s5, 0xc2ce8ed0, v84
	v_fma_f32 v87, 0x3fb8aa3b, v84, -v86
	v_rndne_f32_e32 v93, v86
	s_waitcnt_depctr 0xfff
	v_ldexp_f32 v83, v83, v85
	v_dual_fmac_f32 v87, 0x32a5705f, v84 :: v_dual_sub_f32 v86, v86, v93
	v_cvt_i32_f32_e32 v85, v93
	s_delay_alu instid0(VALU_DEP_3) | instskip(SKIP_1) | instid1(VALU_DEP_4)
	v_cndmask_b32_e64 v83, 0, v83, s4
	v_cmp_nlt_f32_e64 s4, 0x42b17218, v82
	v_add_f32_e32 v86, v86, v87
	s_delay_alu instid0(VALU_DEP_2) | instskip(NEXT) | instid1(VALU_DEP_2)
	v_cndmask_b32_e64 v173, 0x7f800000, v83, s4
	v_exp_f32_e32 v86, v86
	s_waitcnt_depctr 0xfff
	v_ldexp_f32 v85, v86, v85
	s_delay_alu instid0(VALU_DEP_1)
	v_cndmask_b32_e64 v82, 0, v85, s5
	v_cmp_nlt_f32_e64 s5, 0x42b17218, v84
	ds_bpermute_b32 v84, v185, v173
	v_cndmask_b32_e64 v121, 0x7f800000, v82, s5
	ds_bpermute_b32 v82, v185, v121
	s_waitcnt lgkmcnt(0)
	v_cndmask_b32_e32 v83, v121, v82, vcc_lo
	v_cndmask_b32_e64 v82, v121, v82, s1
	s_delay_alu instid0(VALU_DEP_2) | instskip(NEXT) | instid1(VALU_DEP_2)
	v_cndmask_b32_e64 v86, v83, v173, s2
	v_cndmask_b32_e64 v85, v82, v173, s3
	v_cvt_f16_f32_e32 v82, v82
	v_cvt_f16_f32_e32 v83, v83
	s_delay_alu instid0(VALU_DEP_3) | instskip(SKIP_1) | instid1(VALU_DEP_3)
	v_cndmask_b32_e64 v85, v85, v84, s1
	v_cndmask_b32_e32 v84, v86, v84, vcc_lo
	v_pack_b32_f16 v93, v82, v83
	v_sub_f32_e32 v82, v222, v182
	s_delay_alu instid0(VALU_DEP_4) | instskip(NEXT) | instid1(VALU_DEP_4)
	v_cvt_f16_f32_e32 v86, v85
	v_cvt_f16_f32_e32 v87, v84
	s_delay_alu instid0(VALU_DEP_3) | instskip(SKIP_1) | instid1(VALU_DEP_3)
	v_mul_f32_e32 v83, 0x3fb8aa3b, v82
	v_cmp_ngt_f32_e64 s4, 0xc2ce8ed0, v82
	v_pack_b32_f16 v94, v86, v87
	s_delay_alu instid0(VALU_DEP_3) | instskip(SKIP_1) | instid1(VALU_DEP_1)
	v_fma_f32 v86, 0x3fb8aa3b, v82, -v83
	v_rndne_f32_e32 v87, v83
	v_dual_fmac_f32 v86, 0x32a5705f, v82 :: v_dual_sub_f32 v83, v83, v87
	s_delay_alu instid0(VALU_DEP_1) | instskip(SKIP_1) | instid1(VALU_DEP_2)
	v_add_f32_e32 v83, v83, v86
	v_cvt_i32_f32_e32 v86, v87
	v_exp_f32_e32 v83, v83
	s_waitcnt_depctr 0xfff
	v_ldexp_f32 v83, v83, v86
	s_delay_alu instid0(VALU_DEP_1) | instskip(SKIP_1) | instid1(VALU_DEP_1)
	v_cndmask_b32_e64 v83, 0, v83, s4
	v_cmp_nlt_f32_e64 s4, 0x42b17218, v82
	v_cndmask_b32_e64 v174, 0x7f800000, v83, s4
	s_delay_alu instid0(VALU_DEP_1) | instskip(SKIP_3) | instid1(VALU_DEP_1)
	v_cndmask_b32_e64 v83, v84, v174, s2
	ds_bpermute_b32 v84, v185, v174
	v_cndmask_b32_e64 v82, v85, v174, s3
	s_waitcnt lgkmcnt(0)
	v_cndmask_b32_e64 v82, v82, v84, s1
	v_cndmask_b32_e32 v83, v83, v84, vcc_lo
	s_delay_alu instid0(VALU_DEP_2) | instskip(NEXT) | instid1(VALU_DEP_2)
	v_cvt_f16_f32_e32 v84, v82
	v_cvt_f16_f32_e32 v85, v83
	s_delay_alu instid0(VALU_DEP_1) | instskip(SKIP_1) | instid1(VALU_DEP_1)
	v_pack_b32_f16 v95, v84, v85
	v_sub_f32_e32 v84, v221, v182
	v_mul_f32_e32 v85, 0x3fb8aa3b, v84
	v_cmp_ngt_f32_e64 s4, 0xc2ce8ed0, v84
	s_delay_alu instid0(VALU_DEP_2) | instskip(SKIP_1) | instid1(VALU_DEP_1)
	v_fma_f32 v86, 0x3fb8aa3b, v84, -v85
	v_rndne_f32_e32 v87, v85
	v_dual_fmac_f32 v86, 0x32a5705f, v84 :: v_dual_sub_f32 v85, v85, v87
	s_delay_alu instid0(VALU_DEP_1) | instskip(SKIP_1) | instid1(VALU_DEP_2)
	v_add_f32_e32 v85, v85, v86
	v_cvt_i32_f32_e32 v86, v87
	v_exp_f32_e32 v85, v85
	s_waitcnt_depctr 0xfff
	v_ldexp_f32 v85, v85, v86
	s_delay_alu instid0(VALU_DEP_1) | instskip(SKIP_1) | instid1(VALU_DEP_1)
	v_cndmask_b32_e64 v85, 0, v85, s4
	v_cmp_nlt_f32_e64 s4, 0x42b17218, v84
	v_cndmask_b32_e64 v175, 0x7f800000, v85, s4
	ds_bpermute_b32 v84, v185, v175
	v_cndmask_b32_e64 v82, v82, v175, s3
	v_cndmask_b32_e64 v83, v83, v175, s2
	s_waitcnt lgkmcnt(0)
	s_delay_alu instid0(VALU_DEP_2) | instskip(NEXT) | instid1(VALU_DEP_2)
	v_cndmask_b32_e64 v82, v82, v84, s1
	v_cndmask_b32_e32 v83, v83, v84, vcc_lo
	s_delay_alu instid0(VALU_DEP_2) | instskip(NEXT) | instid1(VALU_DEP_2)
	v_cvt_f16_f32_e32 v84, v82
	v_cvt_f16_f32_e32 v85, v83
	s_delay_alu instid0(VALU_DEP_1) | instskip(SKIP_1) | instid1(VALU_DEP_1)
	v_pack_b32_f16 v96, v84, v85
	v_sub_f32_e32 v84, v220, v182
	v_mul_f32_e32 v85, 0x3fb8aa3b, v84
	v_cmp_ngt_f32_e64 s4, 0xc2ce8ed0, v84
	s_delay_alu instid0(VALU_DEP_2) | instskip(SKIP_1) | instid1(VALU_DEP_1)
	v_fma_f32 v86, 0x3fb8aa3b, v84, -v85
	v_rndne_f32_e32 v87, v85
	v_dual_fmac_f32 v86, 0x32a5705f, v84 :: v_dual_sub_f32 v85, v85, v87
	s_delay_alu instid0(VALU_DEP_1) | instskip(SKIP_1) | instid1(VALU_DEP_2)
	v_add_f32_e32 v85, v85, v86
	v_cvt_i32_f32_e32 v86, v87
	v_exp_f32_e32 v85, v85
	s_waitcnt_depctr 0xfff
	v_ldexp_f32 v85, v85, v86
	s_delay_alu instid0(VALU_DEP_1) | instskip(SKIP_1) | instid1(VALU_DEP_1)
	v_cndmask_b32_e64 v85, 0, v85, s4
	v_cmp_nlt_f32_e64 s4, 0x42b17218, v84
	v_cndmask_b32_e64 v176, 0x7f800000, v85, s4
	ds_bpermute_b32 v84, v185, v176
	v_cndmask_b32_e64 v82, v82, v176, s3
	v_cndmask_b32_e64 v83, v83, v176, s2
	s_waitcnt lgkmcnt(0)
	s_delay_alu instid0(VALU_DEP_2) | instskip(NEXT) | instid1(VALU_DEP_2)
	;; [unrolled: 29-line block ×5, first 2 shown]
	v_cndmask_b32_e64 v82, v82, v84, s1
	v_cndmask_b32_e32 v83, v83, v84, vcc_lo
	v_add_co_u32 v127, vcc_lo, 0x80, v127
	v_add_co_ci_u32_e32 v128, vcc_lo, 0, v128, vcc_lo
	s_delay_alu instid0(VALU_DEP_4) | instskip(NEXT) | instid1(VALU_DEP_4)
	v_cvt_f16_f32_e32 v82, v82
	v_cvt_f16_f32_e32 v83, v83
	v_add_co_u32 v129, vcc_lo, 0x80, v129
	v_add_co_ci_u32_e32 v130, vcc_lo, 0, v130, vcc_lo
	s_delay_alu instid0(VALU_DEP_3)
	v_pack_b32_f16 v100, v82, v83
	ds_load_2addr_b32 v[82:83], v103 offset0:192 offset1:208
	ds_load_2addr_b32 v[84:85], v103 offset0:224 offset1:244
	;; [unrolled: 1-line block ×4, first 2 shown]
	v_add_nc_u32_e32 v103, 0x300, v210
	ds_load_2addr_b32 v[103:104], v103 offset0:16 offset1:224
	ds_load_2addr_b32 v[118:119], v159 offset0:196 offset1:212
	;; [unrolled: 1-line block ×16, first 2 shown]
	v_add_co_u32 v131, vcc_lo, 0x80, v131
	s_waitcnt lgkmcnt(18)
	v_perm_b32 v135, v85, v82, 0x5040100
	s_waitcnt lgkmcnt(16)
	v_perm_b32 v136, v102, v86, 0x5040100
	v_add_co_ci_u32_e32 v132, vcc_lo, 0, v132, vcc_lo
	v_add_co_u32 v133, vcc_lo, 0x80, v133
	v_add_co_ci_u32_e32 v134, vcc_lo, 0, v134, vcc_lo
	s_waitcnt lgkmcnt(14)
	v_perm_b32 v137, v118, v103, 0x5040100
	s_waitcnt lgkmcnt(13)
	v_perm_b32 v139, v124, v104, 0x5040100
	;; [unrolled: 2-line block ×6, first 2 shown]
	v_add_co_u32 v186, vcc_lo, v186, s68
	v_add_co_ci_u32_e32 v189, vcc_lo, s69, v189, vcc_lo
	s_delay_alu instid0(VALU_DEP_3)
	v_wmma_f16_16x16x16_f16 v[0:7], v[135:142], v[93:100], v[0:7]
	v_add_nc_u32_e32 v137, 0x300, v214
	s_waitcnt lgkmcnt(5)
	v_perm_b32 v135, v157, v83, 0x5040100
	s_waitcnt lgkmcnt(4)
	v_perm_b32 v136, v159, v87, 0x5040100
	;; [unrolled: 2-line block ×4, first 2 shown]
	ds_load_2addr_b32 v[163:164], v137 offset0:16 offset1:224
	v_perm_b32 v141, v152, v228, 0x5040100
	s_waitcnt lgkmcnt(1)
	v_perm_b32 v142, v156, v169, 0x5040100
	v_add_co_u32 v190, vcc_lo, v190, s68
	v_add_co_ci_u32_e32 v187, vcc_lo, s69, v187, vcc_lo
	v_add_co_u32 v236, vcc_lo, v236, s68
	v_add_co_ci_u32_e32 v254, vcc_lo, s69, v254, vcc_lo
	;; [unrolled: 2-line block ×4, first 2 shown]
	v_add_co_u32 v194, vcc_lo, v194, s68
	s_waitcnt lgkmcnt(0)
	v_perm_b32 v137, v119, v163, 0x5040100
	v_perm_b32 v139, v165, v164, 0x5040100
	v_add_co_ci_u32_e32 v232, vcc_lo, s69, v232, vcc_lo
	v_add_co_u32 v198, vcc_lo, v198, s70
	s_delay_alu instid0(VALU_DEP_3)
	v_wmma_f16_16x16x16_f16 v[16:23], v[135:142], v[93:100], v[16:23]
	v_add_nc_u32_e32 v137, 0x300, v218
	v_perm_b32 v135, v158, v84, 0x5040100
	v_perm_b32 v136, v160, v101, 0x5040100
	;; [unrolled: 1-line block ×4, first 2 shown]
	ds_load_2addr_b32 v[171:172], v137 offset0:16 offset1:224
	v_perm_b32 v141, v153, v80, 0x5040100
	v_perm_b32 v142, v81, v170, 0x5040100
	v_add_co_ci_u32_e32 v88, vcc_lo, s71, v88, vcc_lo
	v_add_co_u32 v219, vcc_lo, v219, s70
	v_add_co_ci_u32_e32 v191, vcc_lo, s71, v191, vcc_lo
	v_add_co_u32 v116, vcc_lo, v116, s70
	;; [unrolled: 2-line block ×4, first 2 shown]
	v_add_co_ci_u32_e32 v91, vcc_lo, s71, v91, vcc_lo
	s_waitcnt lgkmcnt(0)
	v_perm_b32 v137, v145, v171, 0x5040100
	v_perm_b32 v139, v166, v172, 0x5040100
	v_add_co_u32 v188, vcc_lo, v188, s70
	v_add_co_ci_u32_e32 v243, vcc_lo, s71, v243, vcc_lo
	s_delay_alu instid0(VALU_DEP_3)
	v_wmma_f16_16x16x16_f16 v[8:15], v[135:142], v[93:100], v[8:15]
	v_perm_b32 v137, v118, v103, 0x7060302
	v_perm_b32 v139, v124, v104, 0x7060302
	;; [unrolled: 1-line block ×8, first 2 shown]
	v_add_nc_u32_e32 v150, 0, v199
	s_delay_alu instid0(VALU_DEP_2)
	v_wmma_f16_16x16x16_f16 v[0:7], v[135:142], v[93:100], v[0:7] op_sel:[0,0,1]
	v_perm_b32 v141, v152, v228, 0x7060302
	scratch_load_b32 v228, off, off         ; 4-byte Folded Reload
	v_perm_b32 v135, v157, v83, 0x7060302
	v_perm_b32 v136, v159, v87, 0x7060302
	;; [unrolled: 1-line block ×7, first 2 shown]
	s_waitcnt vmcnt(0)
	s_barrier
	buffer_gl0_inv
	v_wmma_f16_16x16x16_f16 v[16:23], v[135:142], v[93:100], v[16:23] op_sel:[0,0,1]
	v_perm_b32 v141, v153, v80, 0x7060302
	v_add_f32_e32 v80, v180, v117
	v_perm_b32 v135, v158, v84, 0x7060302
	v_perm_b32 v136, v160, v101, 0x7060302
	;; [unrolled: 1-line block ×4, first 2 shown]
	v_add_f32_e32 v80, v89, v80
	v_perm_b32 v139, v166, v172, 0x7060302
	v_perm_b32 v140, v168, v149, 0x7060302
	;; [unrolled: 1-line block ×3, first 2 shown]
	s_delay_alu instid0(VALU_DEP_4) | instskip(NEXT) | instid1(VALU_DEP_2)
	v_add_f32_e32 v80, v245, v80
	v_wmma_f16_16x16x16_f16 v[8:15], v[135:142], v[93:100], v[8:15] op_sel:[0,0,1]
	s_delay_alu instid0(VALU_DEP_2) | instskip(NEXT) | instid1(VALU_DEP_1)
	v_add_f32_e32 v80, v234, v80
	v_add_f32_e32 v80, v120, v80
	s_delay_alu instid0(VALU_DEP_1) | instskip(NEXT) | instid1(VALU_DEP_1)
	v_add_f32_e32 v80, v122, v80
	v_add_f32_e32 v80, v125, v80
	s_delay_alu instid0(VALU_DEP_1) | instskip(NEXT) | instid1(VALU_DEP_1)
	;; [unrolled: 3-line block ×3, first 2 shown]
	v_dual_mov_b32 v73, v181 :: v_dual_add_f32 v72, v74, v72
	v_add_f32_e32 v72, v75, v72
	s_delay_alu instid0(VALU_DEP_1) | instskip(NEXT) | instid1(VALU_DEP_1)
	v_add_f32_e32 v72, v76, v72
	v_add_f32_e32 v72, v77, v72
	s_delay_alu instid0(VALU_DEP_1) | instskip(NEXT) | instid1(VALU_DEP_1)
	v_add_f32_e32 v72, v78, v72
	;; [unrolled: 3-line block ×10, first 2 shown]
	v_add_f32_e32 v181, v192, v72
	s_delay_alu instid0(VALU_DEP_1)
	v_fmac_f32_e32 v181, v73, v126
	s_cbranch_scc1 .LBB14_348
; %bb.349:                              ;   in Loop: Header=BB14_13 Depth=1
	s_clause 0x1f
	scratch_load_b32 v177, off, off offset:156
	scratch_load_b64 v[161:162], off, off offset:148
	scratch_load_b32 v179, off, off offset:160
	scratch_load_b32 v185, off, off offset:164
	;; [unrolled: 1-line block ×3, first 2 shown]
	scratch_load_b64 v[146:147], off, off offset:172
	scratch_load_b32 v147, off, off offset:180
	scratch_load_b32 v148, off, off offset:184
	;; [unrolled: 1-line block ×12, first 2 shown]
	scratch_load_b64 v[200:201], off, off offset:4
	scratch_load_b64 v[233:234], off, off offset:12
	;; [unrolled: 1-line block ×7, first 2 shown]
	scratch_load_b32 v171, off, off offset:228
	scratch_load_b32 v172, off, off offset:232
	;; [unrolled: 1-line block ×7, first 2 shown]
	s_clause 0x1a
	scratch_load_b32 v232, off, off offset:256
	scratch_load_b32 v235, off, off offset:260
	;; [unrolled: 1-line block ×3, first 2 shown]
	scratch_load_b64 v[244:245], off, off offset:268
	scratch_load_b32 v245, off, off offset:276
	scratch_load_b32 v247, off, off offset:280
	scratch_load_b32 v250, off, off offset:284
	scratch_load_b32 v254, off, off offset:288
	scratch_load_b32 v169, off, off offset:80
	scratch_load_b32 v173, off, off offset:84
	scratch_load_b32 v174, off, off offset:88
	scratch_load_b32 v175, off, off offset:140
	scratch_load_b32 v178, off, off offset:296
	scratch_load_b32 v180, off, off offset:300
	scratch_load_b32 v183, off, off offset:304
	scratch_load_b32 v188, off, off offset:308
	scratch_load_b32 v225, off, off offset:312
	scratch_load_b32 v226, off, off offset:316
	scratch_load_b32 v227, off, off offset:320
	scratch_load_b32 v237, off, off offset:324
	scratch_load_b32 v238, off, off offset:328
	scratch_load_b32 v243, off, off offset:332
	scratch_load_b32 v97, off, off offset:336
	scratch_load_b64 v[82:83], off, off offset:340
	scratch_load_b64 v[84:85], off, off offset:348
	;; [unrolled: 1-line block ×4, first 2 shown]
	v_lshl_add_u32 v151, v197, 1, 0
	v_mov_b32_e32 v194, 0
	v_mov_b32_e32 v98, 32
	s_waitcnt vmcnt(58)
	v_add_nc_u32_e32 v154, 60, v177
	v_add_nc_u32_e32 v155, 56, v177
	;; [unrolled: 1-line block ×7, first 2 shown]
	s_waitcnt vmcnt(57)
	v_add_nc_u32_e32 v162, 28, v177
	v_add_nc_u32_e32 v163, 20, v177
	;; [unrolled: 1-line block ×3, first 2 shown]
	v_and_b32_e32 v165, 15, v177
	v_add_nc_u32_e32 v166, 12, v177
	v_add_nc_u32_e32 v167, 32, v177
	;; [unrolled: 1-line block ×3, first 2 shown]
.LBB14_350:                             ;   in Loop: Header=BB14_13 Depth=1
	s_lshl_b32 s64, s46, 6
	s_waitcnt vmcnt(32)
	v_dual_mov_b32 v131, s43 :: v_dual_lshlrev_b32 v74, 1, v172
	s_lshl_b64 s[2:3], s[64:65], 1
	s_waitcnt vmcnt(0)
	v_lshlrev_b64 v[72:73], 1, v[72:73]
	s_add_u32 s1, s99, s2
	s_addc_u32 s2, s100, s3
	v_add_co_u32 v80, s1, s1, v74
	s_delay_alu instid0(VALU_DEP_1) | instskip(SKIP_1) | instid1(VALU_DEP_3)
	v_add_co_ci_u32_e64 v81, null, s2, 0, s1
	v_lshlrev_b64 v[74:75], 1, v[82:83]
	v_add_co_u32 v76, vcc_lo, v80, v72
	s_delay_alu instid0(VALU_DEP_3)
	v_add_co_ci_u32_e32 v77, vcc_lo, v81, v73, vcc_lo
	v_lshlrev_b64 v[72:73], 1, v[78:79]
	s_mul_i32 s1, s13, s64
	s_mul_hi_u32 s3, s12, s64
	s_mul_i32 s2, s12, s64
	s_add_i32 s3, s3, s1
	v_dual_mov_b32 v128, s40 :: v_dual_mov_b32 v125, s37
	v_add_co_u32 v78, vcc_lo, v80, v72
	v_add_co_ci_u32_e32 v79, vcc_lo, v81, v73, vcc_lo
	v_lshlrev_b64 v[72:73], 1, v[84:85]
	s_lshl_b64 s[2:3], s[2:3], 2
	v_mov_b32_e32 v126, s38
	s_add_u32 s1, s97, s2
	s_addc_u32 s2, s98, s3
	v_mov_b32_e32 v124, s36
	v_add_co_u32 v72, vcc_lo, v80, v72
	v_add_co_ci_u32_e32 v73, vcc_lo, v81, v73, vcc_lo
	v_add_co_u32 v74, vcc_lo, v80, v74
	v_add_co_ci_u32_e32 v75, vcc_lo, v81, v75, vcc_lo
	s_clause 0x3
	global_load_b32 v76, v[76:77], off
	global_load_b32 v77, v[78:79], off
	;; [unrolled: 1-line block ×4, first 2 shown]
	v_dual_mov_b32 v129, s41 :: v_dual_add_nc_u32 v74, v150, v228
	v_dual_mov_b32 v127, s39 :: v_dual_mov_b32 v130, s42
	s_mul_hi_u32 s3, s10, s64
	s_delay_alu instid0(VALU_DEP_2)
	v_add_nc_u32_e32 v75, 0x3400, v74
	v_add_nc_u32_e32 v74, 0x3800, v74
	s_waitcnt vmcnt(2)
	ds_store_2addr_b32 v75, v76, v77 offset1:144
	s_waitcnt vmcnt(0)
	ds_store_2addr_b32 v74, v72, v73 offset0:32 offset1:176
	v_add_co_u32 v72, vcc_lo, s1, v192
	v_add_co_ci_u32_e32 v73, vcc_lo, s2, v193, vcc_lo
	s_delay_alu instid0(VALU_DEP_2) | instskip(NEXT) | instid1(VALU_DEP_2)
	v_add_co_u32 v72, vcc_lo, v72, v251
	v_add_co_ci_u32_e32 v73, vcc_lo, 0, v73, vcc_lo
	v_add_co_u32 v74, vcc_lo, s1, v106
	v_add_co_ci_u32_e32 v75, vcc_lo, s2, v107, vcc_lo
	s_delay_alu instid0(VALU_DEP_2) | instskip(NEXT) | instid1(VALU_DEP_2)
	v_add_co_u32 v76, vcc_lo, v74, v251
	v_add_co_ci_u32_e32 v77, vcc_lo, 0, v75, vcc_lo
	s_clause 0x1
	global_load_b128 v[72:75], v[72:73], off offset:128
	global_load_b128 v[76:79], v[76:77], off offset:128
	s_waitcnt vmcnt(1)
	ds_store_b128 v203, v[72:75]
	s_waitcnt vmcnt(0)
	ds_store_b128 v204, v[76:79]
	v_add_co_u32 v72, vcc_lo, s1, v108
	v_add_co_ci_u32_e32 v73, vcc_lo, s2, v109, vcc_lo
	s_delay_alu instid0(VALU_DEP_2) | instskip(NEXT) | instid1(VALU_DEP_2)
	v_add_co_u32 v72, vcc_lo, v72, v252
	v_add_co_ci_u32_e32 v73, vcc_lo, 0, v73, vcc_lo
	v_add_co_u32 v74, vcc_lo, s1, v110
	v_add_co_ci_u32_e32 v75, vcc_lo, s2, v111, vcc_lo
	s_delay_alu instid0(VALU_DEP_2) | instskip(NEXT) | instid1(VALU_DEP_2)
	v_add_co_u32 v76, vcc_lo, v74, v252
	v_add_co_ci_u32_e32 v77, vcc_lo, 0, v75, vcc_lo
	s_clause 0x1
	global_load_b128 v[72:75], v[72:73], off
	global_load_b128 v[76:79], v[76:77], off
	s_waitcnt vmcnt(1)
	ds_store_b128 v205, v[72:75]
	s_waitcnt vmcnt(0)
	ds_store_b128 v240, v[76:79]
	v_add_co_u32 v72, vcc_lo, s1, v112
	v_add_co_ci_u32_e32 v73, vcc_lo, s2, v113, vcc_lo
	s_delay_alu instid0(VALU_DEP_2) | instskip(NEXT) | instid1(VALU_DEP_2)
	v_add_co_u32 v72, vcc_lo, v72, v252
	v_add_co_ci_u32_e32 v73, vcc_lo, 0, v73, vcc_lo
	v_add_co_u32 v74, vcc_lo, s1, v114
	v_add_co_ci_u32_e32 v75, vcc_lo, s2, v115, vcc_lo
	s_mul_i32 s1, s11, s64
	s_delay_alu instid0(VALU_DEP_2) | instskip(NEXT) | instid1(VALU_DEP_2)
	v_add_co_u32 v76, vcc_lo, v74, v252
	v_add_co_ci_u32_e32 v77, vcc_lo, 0, v75, vcc_lo
	s_clause 0x1
	global_load_b128 v[72:75], v[72:73], off
	global_load_b128 v[76:79], v[76:77], off
	v_cmp_lt_i32_e32 vcc_lo, v97, v98
	s_mul_i32 s2, s10, s64
	s_add_i32 s3, s3, s1
	s_waitcnt vmcnt(1)
	ds_store_b128 v230, v[72:75]
	s_waitcnt vmcnt(0)
	ds_store_b128 v239, v[76:79]
	s_waitcnt lgkmcnt(0)
	s_waitcnt_vscnt null, 0x0
	s_barrier
	buffer_gl0_inv
	ds_load_b128 v[72:75], v253
	ds_load_b128 v[76:79], v253 offset:16
	ds_load_b128 v[80:83], v253 offset:3328
	ds_load_b128 v[84:87], v253 offset:3344
	ds_load_b128 v[88:91], v253 offset:6656
	ds_load_b128 v[92:95], v253 offset:6672
	ds_load_b128 v[116:119], v253 offset:9984
	ds_load_b128 v[120:123], v253 offset:10000
	s_lshl_b64 s[2:3], s[2:3], 2
	s_delay_alu instid0(SALU_CYCLE_1)
	s_add_u32 s1, s95, s2
	s_addc_u32 s2, s96, s3
	v_cmp_eq_u32_e64 s3, 1, v197
	s_cmp_eq_u64 s[72:73], 0
	s_waitcnt lgkmcnt(6)
	v_wmma_f32_16x16x16_f16 v[132:139], v[72:79], v[64:71], v[124:131]
	s_waitcnt lgkmcnt(4)
	v_wmma_f32_16x16x16_f16 v[72:79], v[80:87], v[64:71], v[124:131]
	;; [unrolled: 2-line block ×4, first 2 shown]
	ds_load_b128 v[64:67], v253 offset:32
	ds_load_b128 v[68:71], v253 offset:48
	s_waitcnt lgkmcnt(0)
	v_wmma_f32_16x16x16_f16 v[132:139], v[64:71], v[48:55], v[132:139]
	ds_load_b128 v[64:67], v253 offset:3360
	ds_load_b128 v[68:71], v253 offset:3376
	s_waitcnt lgkmcnt(0)
	v_wmma_f32_16x16x16_f16 v[72:79], v[64:71], v[48:55], v[72:79]
	;; [unrolled: 4-line block ×18, first 2 shown]
	ds_load_b128 v[24:27], v253 offset:6816
	ds_load_b128 v[28:31], v253 offset:6832
	v_add_nc_u32_e32 v32, v151, v149
	s_waitcnt lgkmcnt(0)
	v_wmma_f32_16x16x16_f16 v[80:87], v[24:31], v[40:47], v[80:87]
	ds_load_b128 v[24:27], v253 offset:10144
	ds_load_b128 v[28:31], v253 offset:10160
	s_waitcnt lgkmcnt(0)
	s_barrier
	buffer_gl0_inv
	v_wmma_f32_16x16x16_f16 v[89:96], v[24:31], v[40:47], v[89:96]
	ds_load_u16 v24, v32 offset:13312
	ds_load_u16 v25, v32 offset:13316
	;; [unrolled: 1-line block ×16, first 2 shown]
	s_waitcnt lgkmcnt(15)
	v_cvt_f32_f16_e32 v24, v24
	s_waitcnt lgkmcnt(14)
	v_cvt_f32_f16_e32 v25, v25
	s_waitcnt lgkmcnt(13)
	v_cvt_f32_f16_e32 v26, v26
	s_waitcnt lgkmcnt(12)
	v_cvt_f32_f16_e32 v27, v27
	s_waitcnt lgkmcnt(11)
	v_cvt_f32_f16_e32 v28, v28
	s_waitcnt lgkmcnt(7)
	v_cvt_f32_f16_e32 v33, v33
	v_cvt_f32_f16_e32 v30, v30
	s_waitcnt lgkmcnt(6)
	v_cvt_f32_f16_e32 v34, v34
	s_waitcnt lgkmcnt(5)
	;; [unrolled: 2-line block ×7, first 2 shown]
	v_cvt_f32_f16_e32 v40, v40
	v_cvt_f32_f16_e32 v29, v29
	;; [unrolled: 1-line block ×3, first 2 shown]
	v_dual_add_f32 v24, v132, v24 :: v_dual_add_f32 v25, v133, v25
	v_dual_add_f32 v26, v134, v26 :: v_dual_add_f32 v27, v135, v27
	s_delay_alu instid0(VALU_DEP_3)
	v_dual_add_f32 v31, v139, v31 :: v_dual_add_f32 v28, v136, v28
	v_add_f32_e32 v133, v74, v35
	v_dual_add_f32 v30, v138, v30 :: v_dual_add_f32 v131, v76, v37
	v_dual_add_f32 v134, v72, v33 :: v_dual_add_f32 v129, v78, v39
	;; [unrolled: 1-line block ×3, first 2 shown]
	v_add_f32_e32 v130, v77, v38
	v_add_f32_e32 v128, v79, v40
	ds_load_u16 v33, v32 offset:13376
	ds_load_u16 v34, v32 offset:13380
	;; [unrolled: 1-line block ×8, first 2 shown]
	v_add_f32_e32 v29, v137, v29
	s_waitcnt lgkmcnt(7)
	v_cvt_f32_f16_e32 v33, v33
	s_waitcnt lgkmcnt(6)
	v_cvt_f32_f16_e32 v34, v34
	;; [unrolled: 2-line block ×7, first 2 shown]
	v_dual_add_f32 v126, v80, v33 :: v_dual_add_f32 v127, v81, v34
	v_dual_add_f32 v125, v82, v35 :: v_dual_add_f32 v124, v83, v36
	;; [unrolled: 1-line block ×3, first 2 shown]
	s_delay_alu instid0(VALU_DEP_4)
	v_add_f32_e32 v121, v86, v39
	ds_load_u16 v33, v32 offset:13408
	ds_load_u16 v34, v32 offset:13412
	;; [unrolled: 1-line block ×8, first 2 shown]
	s_waitcnt lgkmcnt(8)
	v_cvt_f32_f16_e32 v40, v40
	s_waitcnt lgkmcnt(7)
	v_cvt_f32_f16_e32 v33, v33
	;; [unrolled: 2-line block ×8, first 2 shown]
	v_add_f32_e32 v91, v91, v35
	s_waitcnt lgkmcnt(0)
	v_cvt_f32_f16_e32 v32, v32
	v_add_f32_e32 v116, v89, v33
	v_dual_add_f32 v88, v92, v36 :: v_dual_add_f32 v33, 0x40051340, v25
	s_delay_alu instid0(VALU_DEP_3) | instskip(SKIP_4) | instid1(VALU_DEP_4)
	v_dual_add_f32 v119, v90, v34 :: v_dual_add_f32 v84, v96, v32
	v_add_f32_e32 v32, 0x40051340, v24
	v_add_f32_e32 v34, 0x40051340, v27
	;; [unrolled: 1-line block ×3, first 2 shown]
	v_dual_add_f32 v120, v87, v40 :: v_dual_add_f32 v87, v93, v37
	v_max3_f32 v32, v182, v32, v33
	v_add_f32_e32 v33, 0x40051340, v26
	v_add_f32_e32 v85, v95, v39
	s_delay_alu instid0(VALU_DEP_2) | instskip(SKIP_1) | instid1(VALU_DEP_1)
	v_max3_f32 v32, v32, v33, v34
	v_dual_add_f32 v33, 0x40051340, v28 :: v_dual_add_f32 v34, 0x40051340, v29
	v_max3_f32 v32, v32, v33, v34
	v_dual_add_f32 v33, 0x40051340, v30 :: v_dual_add_f32 v34, 0x40051340, v31
	s_delay_alu instid0(VALU_DEP_1) | instskip(SKIP_1) | instid1(VALU_DEP_1)
	v_max3_f32 v32, v32, v33, v34
	v_dual_add_f32 v33, 0x40051340, v134 :: v_dual_add_f32 v34, 0x40051340, v135
	v_max3_f32 v32, v32, v33, v34
	v_dual_add_f32 v33, 0x40051340, v133 :: v_dual_add_f32 v34, 0x40051340, v132
	s_delay_alu instid0(VALU_DEP_1) | instskip(SKIP_1) | instid1(VALU_DEP_1)
	v_max3_f32 v32, v32, v33, v34
	v_dual_add_f32 v33, 0x40051340, v131 :: v_dual_add_f32 v34, 0x40051340, v130
	v_max3_f32 v32, v32, v33, v34
	v_dual_add_f32 v33, 0x40051340, v129 :: v_dual_add_f32 v34, 0x40051340, v128
	s_delay_alu instid0(VALU_DEP_1) | instskip(SKIP_1) | instid1(VALU_DEP_1)
	v_max3_f32 v32, v32, v33, v34
	v_dual_add_f32 v33, 0x40051340, v126 :: v_dual_add_f32 v34, 0x40051340, v127
	v_max3_f32 v32, v32, v33, v34
	v_dual_add_f32 v33, 0x40051340, v125 :: v_dual_add_f32 v34, 0x40051340, v124
	s_delay_alu instid0(VALU_DEP_1) | instskip(SKIP_1) | instid1(VALU_DEP_1)
	v_max3_f32 v32, v32, v33, v34
	v_dual_add_f32 v33, 0x40051340, v123 :: v_dual_add_f32 v34, 0x40051340, v122
	v_max3_f32 v32, v32, v33, v34
	v_dual_add_f32 v33, 0x40051340, v121 :: v_dual_add_f32 v34, 0x40051340, v120
	s_delay_alu instid0(VALU_DEP_1) | instskip(SKIP_1) | instid1(VALU_DEP_1)
	v_max3_f32 v32, v32, v33, v34
	v_dual_add_f32 v33, 0x40051340, v116 :: v_dual_add_f32 v34, 0x40051340, v119
	v_max3_f32 v32, v32, v33, v34
	v_dual_add_f32 v33, 0x40051340, v91 :: v_dual_add_f32 v34, 0x40051340, v88
	s_delay_alu instid0(VALU_DEP_1) | instskip(SKIP_1) | instid1(VALU_DEP_1)
	v_max3_f32 v32, v32, v33, v34
	v_dual_add_f32 v33, 0x40051340, v87 :: v_dual_add_f32 v34, 0x40051340, v86
	v_max3_f32 v32, v32, v33, v34
	v_dual_add_f32 v33, 0x40051340, v85 :: v_dual_add_f32 v34, 0x40051340, v84
	s_delay_alu instid0(VALU_DEP_1) | instskip(SKIP_3) | instid1(VALU_DEP_1)
	v_max3_f32 v32, v32, v33, v34
	scratch_load_b32 v33, off, off offset:36 ; 4-byte Folded Reload
	s_waitcnt vmcnt(0)
	v_cndmask_b32_e32 v33, v33, v97, vcc_lo
	v_lshlrev_b32_e32 v83, 2, v33
	ds_bpermute_b32 v33, v83, v32
	s_waitcnt lgkmcnt(0)
	v_max_f32_e32 v33, v33, v33
	s_delay_alu instid0(VALU_DEP_1) | instskip(NEXT) | instid1(VALU_DEP_1)
	v_max_f32_e32 v82, v32, v33
	v_sub_f32_e32 v32, v182, v82
	s_delay_alu instid0(VALU_DEP_1)
	v_mul_f32_e32 v33, 0x3fb8aa3b, v32
	v_sub_f32_e32 v25, v25, v82
	v_sub_f32_e32 v24, v24, v82
	;; [unrolled: 1-line block ×3, first 2 shown]
	v_add_nc_u32_e32 v94, 0xc00, v207
	v_fma_f32 v34, 0x3fb8aa3b, v32, -v33
	v_rndne_f32_e32 v35, v33
	v_dual_sub_f32 v26, v26, v82 :: v_dual_add_nc_u32 v95, 0x1800, v207
	v_sub_f32_e32 v27, v27, v82
	s_delay_alu instid0(VALU_DEP_3) | instskip(SKIP_3) | instid1(VALU_DEP_2)
	v_dual_sub_f32 v30, v30, v82 :: v_dual_sub_f32 v33, v33, v35
	v_cmp_ngt_f32_e32 vcc_lo, 0xc2ce8ed0, v32
	v_fmac_f32_e32 v34, 0x32a5705f, v32
	v_cmp_ngt_f32_e64 s4, 0xc2ce8ed0, v26
	v_add_f32_e32 v33, v33, v34
	v_cvt_i32_f32_e32 v34, v35
	s_delay_alu instid0(VALU_DEP_2) | instskip(SKIP_2) | instid1(VALU_DEP_1)
	v_exp_f32_e32 v33, v33
	s_waitcnt_depctr 0xfff
	v_ldexp_f32 v33, v33, v34
	v_cndmask_b32_e32 v33, 0, v33, vcc_lo
	v_cmp_nlt_f32_e32 vcc_lo, 0x42b17218, v32
	s_delay_alu instid0(VALU_DEP_2) | instskip(SKIP_1) | instid1(VALU_DEP_2)
	v_cndmask_b32_e32 v33, 0x7f800000, v33, vcc_lo
	v_cmp_le_f32_e32 vcc_lo, 0xc1a00000, v32
	v_cndmask_b32_e32 v136, 0, v33, vcc_lo
	s_delay_alu instid0(VALU_DEP_1) | instskip(NEXT) | instid1(VALU_DEP_1)
	v_cvt_f16_f32_e64 v32, v136
	v_pk_mul_f16 v0, v32, v0 op_sel_hi:[0,1]
	v_pk_mul_f16 v1, v32, v1 op_sel_hi:[0,1]
	;; [unrolled: 1-line block ×24, first 2 shown]
	v_add_co_u32 v32, vcc_lo, s1, v200
	v_add_co_ci_u32_e32 v33, vcc_lo, s2, v201, vcc_lo
	s_delay_alu instid0(VALU_DEP_2) | instskip(NEXT) | instid1(VALU_DEP_2)
	v_add_co_u32 v32, vcc_lo, v32, v251
	v_add_co_ci_u32_e32 v33, vcc_lo, 0, v33, vcc_lo
	v_add_co_u32 v34, vcc_lo, s1, v233
	v_add_co_ci_u32_e32 v35, vcc_lo, s2, v234, vcc_lo
	s_delay_alu instid0(VALU_DEP_2) | instskip(NEXT) | instid1(VALU_DEP_2)
	v_add_co_u32 v36, vcc_lo, v34, v251
	v_add_co_ci_u32_e32 v37, vcc_lo, 0, v35, vcc_lo
	s_clause 0x1
	global_load_b128 v[32:35], v[32:33], off offset:128
	global_load_b128 v[36:39], v[36:37], off offset:128
	s_waitcnt vmcnt(1)
	ds_store_b128 v203, v[32:35]
	s_waitcnt vmcnt(0)
	ds_store_b128 v204, v[36:39]
	v_add_co_u32 v32, vcc_lo, s1, v248
	v_add_co_ci_u32_e32 v33, vcc_lo, s2, v249, vcc_lo
	s_delay_alu instid0(VALU_DEP_2) | instskip(NEXT) | instid1(VALU_DEP_2)
	v_add_co_u32 v32, vcc_lo, v32, v252
	v_add_co_ci_u32_e32 v33, vcc_lo, 0, v33, vcc_lo
	v_add_co_u32 v34, vcc_lo, s1, v219
	v_add_co_ci_u32_e32 v35, vcc_lo, s2, v220, vcc_lo
	s_delay_alu instid0(VALU_DEP_2) | instskip(NEXT) | instid1(VALU_DEP_2)
	v_add_co_u32 v36, vcc_lo, v34, v252
	v_add_co_ci_u32_e32 v37, vcc_lo, 0, v35, vcc_lo
	s_clause 0x1
	global_load_b128 v[32:35], v[32:33], off
	global_load_b128 v[36:39], v[36:37], off
	s_waitcnt vmcnt(1)
	ds_store_b128 v205, v[32:35]
	s_waitcnt vmcnt(0)
	ds_store_b128 v240, v[36:39]
	v_add_co_u32 v32, vcc_lo, s1, v221
	v_add_co_ci_u32_e32 v33, vcc_lo, s2, v222, vcc_lo
	s_delay_alu instid0(VALU_DEP_2) | instskip(NEXT) | instid1(VALU_DEP_2)
	v_add_co_u32 v32, vcc_lo, v32, v252
	v_add_co_ci_u32_e32 v33, vcc_lo, 0, v33, vcc_lo
	v_add_co_u32 v34, vcc_lo, s1, v223
	v_add_co_ci_u32_e32 v35, vcc_lo, s2, v224, vcc_lo
	v_cmp_eq_u32_e64 s2, 0, v197
	s_delay_alu instid0(VALU_DEP_3) | instskip(NEXT) | instid1(VALU_DEP_3)
	v_add_co_u32 v36, vcc_lo, v34, v252
	v_add_co_ci_u32_e32 v37, vcc_lo, 0, v35, vcc_lo
	s_clause 0x1
	global_load_b128 v[32:35], v[32:33], off
	global_load_b128 v[36:39], v[36:37], off
	s_waitcnt vmcnt(1)
	ds_store_b128 v230, v[32:35]
	s_waitcnt vmcnt(0)
	ds_store_b128 v239, v[36:39]
	v_mul_f32_e32 v32, 0x3fb8aa3b, v25
	s_waitcnt lgkmcnt(0)
	s_barrier
	buffer_gl0_inv
	ds_load_2addr_b32 v[48:49], v207 offset1:16
	ds_load_2addr_b32 v[40:41], v207 offset0:32 offset1:52
	ds_load_2addr_b32 v[50:51], v207 offset0:104 offset1:120
	;; [unrolled: 1-line block ×3, first 2 shown]
	v_fma_f32 v33, 0x3fb8aa3b, v25, -v32
	v_rndne_f32_e32 v34, v32
	v_add_nc_u32_e32 v38, 0x800, v207
	s_delay_alu instid0(VALU_DEP_2) | instskip(SKIP_1) | instid1(VALU_DEP_2)
	v_dual_fmac_f32 v33, 0x32a5705f, v25 :: v_dual_sub_f32 v32, v32, v34
	v_cvt_i32_f32_e32 v34, v34
	v_dual_add_f32 v32, v32, v33 :: v_dual_mul_f32 v33, 0x3fb8aa3b, v24
	v_cmp_ngt_f32_e32 vcc_lo, 0xc2ce8ed0, v25
	s_delay_alu instid0(VALU_DEP_2) | instskip(NEXT) | instid1(VALU_DEP_2)
	v_exp_f32_e32 v32, v32
	v_fma_f32 v35, 0x3fb8aa3b, v24, -v33
	v_rndne_f32_e32 v36, v33
	s_waitcnt lgkmcnt(2)
	v_perm_b32 v66, v41, v48, 0x5040100
	s_waitcnt lgkmcnt(0)
	v_perm_b32 v67, v43, v50, 0x5040100
	v_sub_f32_e32 v33, v33, v36
	v_fmac_f32_e32 v35, 0x32a5705f, v24
	v_cmp_ngt_f32_e64 s1, 0xc2ce8ed0, v24
	v_ldexp_f32 v32, v32, v34
	v_cvt_i32_f32_e32 v34, v36
	s_delay_alu instid0(VALU_DEP_2) | instskip(SKIP_1) | instid1(VALU_DEP_2)
	v_cndmask_b32_e32 v32, 0, v32, vcc_lo
	v_cmp_nlt_f32_e32 vcc_lo, 0x42b17218, v25
	v_dual_add_f32 v33, v33, v35 :: v_dual_cndmask_b32 v90, 0x7f800000, v32
	s_delay_alu instid0(VALU_DEP_1)
	v_exp_f32_e32 v33, v33
	v_cmp_eq_u32_e32 vcc_lo, 1, v241
	v_sub_f32_e32 v29, v29, v82
	v_sub_f32_e32 v31, v31, v82
	ds_bpermute_b32 v32, v83, v90
	v_ldexp_f32 v33, v33, v34
	s_delay_alu instid0(VALU_DEP_1) | instskip(SKIP_1) | instid1(VALU_DEP_1)
	v_cndmask_b32_e64 v25, 0, v33, s1
	v_cmp_nlt_f32_e64 s1, 0x42b17218, v24
	v_cndmask_b32_e64 v89, 0x7f800000, v25, s1
	v_cmp_eq_u32_e64 s1, 0, v241
	ds_bpermute_b32 v24, v83, v89
	s_waitcnt lgkmcnt(0)
	v_cndmask_b32_e64 v25, v89, v24, s1
	v_cndmask_b32_e32 v24, v89, v24, vcc_lo
	s_delay_alu instid0(VALU_DEP_2) | instskip(NEXT) | instid1(VALU_DEP_2)
	v_cndmask_b32_e64 v33, v25, v90, s2
	v_cndmask_b32_e64 v34, v24, v90, s3
	v_cvt_f16_f32_e32 v25, v25
	v_cvt_f16_f32_e32 v24, v24
	s_delay_alu instid0(VALU_DEP_4) | instskip(NEXT) | instid1(VALU_DEP_4)
	v_cndmask_b32_e64 v33, v33, v32, s1
	v_cndmask_b32_e32 v32, v34, v32, vcc_lo
	s_delay_alu instid0(VALU_DEP_3) | instskip(NEXT) | instid1(VALU_DEP_3)
	v_pack_b32_f16 v24, v25, v24
	v_cvt_f16_f32_e32 v34, v33
	s_delay_alu instid0(VALU_DEP_3) | instskip(NEXT) | instid1(VALU_DEP_1)
	v_cvt_f16_f32_e32 v35, v32
	v_pack_b32_f16 v25, v34, v35
	v_mul_f32_e32 v34, 0x3fb8aa3b, v26
	s_delay_alu instid0(VALU_DEP_1) | instskip(SKIP_1) | instid1(VALU_DEP_1)
	v_fma_f32 v35, 0x3fb8aa3b, v26, -v34
	v_rndne_f32_e32 v36, v34
	v_dual_fmac_f32 v35, 0x32a5705f, v26 :: v_dual_sub_f32 v34, v34, v36
	s_delay_alu instid0(VALU_DEP_1) | instskip(SKIP_1) | instid1(VALU_DEP_2)
	v_add_f32_e32 v34, v34, v35
	v_cvt_i32_f32_e32 v35, v36
	v_exp_f32_e32 v34, v34
	s_waitcnt_depctr 0xfff
	v_ldexp_f32 v34, v34, v35
	s_delay_alu instid0(VALU_DEP_1) | instskip(SKIP_1) | instid1(VALU_DEP_1)
	v_cndmask_b32_e64 v34, 0, v34, s4
	v_cmp_nlt_f32_e64 s4, 0x42b17218, v26
	v_cndmask_b32_e64 v117, 0x7f800000, v34, s4
	v_cmp_ngt_f32_e64 s4, 0xc2ce8ed0, v27
	s_delay_alu instid0(VALU_DEP_2) | instskip(SKIP_4) | instid1(VALU_DEP_2)
	v_cndmask_b32_e64 v26, v33, v117, s2
	ds_bpermute_b32 v33, v83, v117
	v_cndmask_b32_e64 v32, v32, v117, s3
	s_waitcnt lgkmcnt(0)
	v_cndmask_b32_e64 v34, v26, v33, s1
	v_cndmask_b32_e32 v32, v32, v33, vcc_lo
	s_delay_alu instid0(VALU_DEP_2) | instskip(NEXT) | instid1(VALU_DEP_2)
	v_cvt_f16_f32_e32 v26, v34
	v_cvt_f16_f32_e32 v33, v32
	s_delay_alu instid0(VALU_DEP_1) | instskip(SKIP_1) | instid1(VALU_DEP_1)
	v_pack_b32_f16 v26, v26, v33
	v_mul_f32_e32 v33, 0x3fb8aa3b, v27
	v_fma_f32 v35, 0x3fb8aa3b, v27, -v33
	v_rndne_f32_e32 v36, v33
	s_delay_alu instid0(VALU_DEP_2) | instskip(NEXT) | instid1(VALU_DEP_2)
	v_fmac_f32_e32 v35, 0x32a5705f, v27
	v_sub_f32_e32 v33, v33, v36
	s_delay_alu instid0(VALU_DEP_1) | instskip(SKIP_1) | instid1(VALU_DEP_2)
	v_add_f32_e32 v33, v33, v35
	v_cvt_i32_f32_e32 v35, v36
	v_exp_f32_e32 v33, v33
	s_waitcnt_depctr 0xfff
	v_ldexp_f32 v33, v33, v35
	s_delay_alu instid0(VALU_DEP_1) | instskip(SKIP_1) | instid1(VALU_DEP_1)
	v_cndmask_b32_e64 v33, 0, v33, s4
	v_cmp_nlt_f32_e64 s4, 0x42b17218, v27
	v_cndmask_b32_e64 v137, 0x7f800000, v33, s4
	ds_bpermute_b32 v33, v83, v137
	v_cndmask_b32_e64 v27, v34, v137, s2
	v_cndmask_b32_e64 v32, v32, v137, s3
	s_waitcnt lgkmcnt(0)
	s_delay_alu instid0(VALU_DEP_2) | instskip(NEXT) | instid1(VALU_DEP_2)
	v_cndmask_b32_e64 v34, v27, v33, s1
	v_cndmask_b32_e32 v32, v32, v33, vcc_lo
	s_delay_alu instid0(VALU_DEP_2) | instskip(NEXT) | instid1(VALU_DEP_2)
	v_cvt_f16_f32_e32 v27, v34
	v_cvt_f16_f32_e32 v33, v32
	s_delay_alu instid0(VALU_DEP_1) | instskip(SKIP_1) | instid1(VALU_DEP_1)
	v_pack_b32_f16 v27, v27, v33
	v_mul_f32_e32 v33, 0x3fb8aa3b, v28
	v_fma_f32 v35, 0x3fb8aa3b, v28, -v33
	v_rndne_f32_e32 v36, v33
	s_delay_alu instid0(VALU_DEP_1) | instskip(NEXT) | instid1(VALU_DEP_3)
	v_sub_f32_e32 v33, v33, v36
	v_fmac_f32_e32 v35, 0x32a5705f, v28
	v_cmp_ngt_f32_e64 s4, 0xc2ce8ed0, v28
	s_delay_alu instid0(VALU_DEP_2) | instskip(SKIP_1) | instid1(VALU_DEP_2)
	v_add_f32_e32 v33, v33, v35
	v_cvt_i32_f32_e32 v35, v36
	v_exp_f32_e32 v33, v33
	s_waitcnt_depctr 0xfff
	v_ldexp_f32 v33, v33, v35
	s_delay_alu instid0(VALU_DEP_1) | instskip(SKIP_1) | instid1(VALU_DEP_1)
	v_cndmask_b32_e64 v33, 0, v33, s4
	v_cmp_nlt_f32_e64 s4, 0x42b17218, v28
	v_cndmask_b32_e64 v138, 0x7f800000, v33, s4
	v_cmp_ngt_f32_e64 s4, 0xc2ce8ed0, v29
	ds_bpermute_b32 v33, v83, v138
	v_cndmask_b32_e64 v28, v34, v138, s2
	v_cndmask_b32_e64 v32, v32, v138, s3
	s_waitcnt lgkmcnt(0)
	s_delay_alu instid0(VALU_DEP_2) | instskip(NEXT) | instid1(VALU_DEP_2)
	v_cndmask_b32_e64 v34, v28, v33, s1
	v_cndmask_b32_e32 v32, v32, v33, vcc_lo
	s_delay_alu instid0(VALU_DEP_2) | instskip(NEXT) | instid1(VALU_DEP_2)
	v_cvt_f16_f32_e32 v28, v34
	v_cvt_f16_f32_e32 v33, v32
	s_delay_alu instid0(VALU_DEP_1) | instskip(SKIP_1) | instid1(VALU_DEP_1)
	v_pack_b32_f16 v28, v28, v33
	v_mul_f32_e32 v33, 0x3fb8aa3b, v29
	v_fma_f32 v35, 0x3fb8aa3b, v29, -v33
	v_rndne_f32_e32 v36, v33
	s_delay_alu instid0(VALU_DEP_2) | instskip(NEXT) | instid1(VALU_DEP_2)
	v_fmac_f32_e32 v35, 0x32a5705f, v29
	v_sub_f32_e32 v33, v33, v36
	s_delay_alu instid0(VALU_DEP_1) | instskip(SKIP_1) | instid1(VALU_DEP_2)
	v_add_f32_e32 v33, v33, v35
	v_cvt_i32_f32_e32 v35, v36
	v_exp_f32_e32 v33, v33
	s_waitcnt_depctr 0xfff
	v_ldexp_f32 v33, v33, v35
	s_delay_alu instid0(VALU_DEP_1) | instskip(SKIP_1) | instid1(VALU_DEP_1)
	v_cndmask_b32_e64 v33, 0, v33, s4
	v_cmp_nlt_f32_e64 s4, 0x42b17218, v29
	v_cndmask_b32_e64 v139, 0x7f800000, v33, s4
	v_cmp_ngt_f32_e64 s4, 0xc2ce8ed0, v30
	ds_bpermute_b32 v33, v83, v139
	v_cndmask_b32_e64 v29, v34, v139, s2
	v_cndmask_b32_e64 v32, v32, v139, s3
	s_waitcnt lgkmcnt(0)
	s_delay_alu instid0(VALU_DEP_2) | instskip(NEXT) | instid1(VALU_DEP_2)
	v_cndmask_b32_e64 v34, v29, v33, s1
	v_cndmask_b32_e32 v32, v32, v33, vcc_lo
	s_delay_alu instid0(VALU_DEP_2) | instskip(NEXT) | instid1(VALU_DEP_2)
	v_cvt_f16_f32_e32 v29, v34
	v_cvt_f16_f32_e32 v33, v32
	s_delay_alu instid0(VALU_DEP_1) | instskip(SKIP_1) | instid1(VALU_DEP_1)
	v_pack_b32_f16 v29, v29, v33
	v_mul_f32_e32 v33, 0x3fb8aa3b, v30
	v_fma_f32 v35, 0x3fb8aa3b, v30, -v33
	v_rndne_f32_e32 v36, v33
	s_delay_alu instid0(VALU_DEP_2) | instskip(NEXT) | instid1(VALU_DEP_2)
	v_fmac_f32_e32 v35, 0x32a5705f, v30
	v_sub_f32_e32 v33, v33, v36
	s_delay_alu instid0(VALU_DEP_1) | instskip(SKIP_1) | instid1(VALU_DEP_2)
	v_add_f32_e32 v33, v33, v35
	v_cvt_i32_f32_e32 v35, v36
	v_exp_f32_e32 v33, v33
	s_waitcnt_depctr 0xfff
	v_ldexp_f32 v33, v33, v35
	s_delay_alu instid0(VALU_DEP_1) | instskip(SKIP_1) | instid1(VALU_DEP_1)
	v_cndmask_b32_e64 v33, 0, v33, s4
	v_cmp_nlt_f32_e64 s4, 0x42b17218, v30
	v_cndmask_b32_e64 v140, 0x7f800000, v33, s4
	v_cmp_ngt_f32_e64 s4, 0xc2ce8ed0, v31
	ds_bpermute_b32 v33, v83, v140
	v_cndmask_b32_e64 v30, v34, v140, s2
	v_cndmask_b32_e64 v32, v32, v140, s3
	s_waitcnt lgkmcnt(0)
	s_delay_alu instid0(VALU_DEP_2) | instskip(NEXT) | instid1(VALU_DEP_2)
	v_cndmask_b32_e64 v34, v30, v33, s1
	v_cndmask_b32_e32 v32, v32, v33, vcc_lo
	s_delay_alu instid0(VALU_DEP_2) | instskip(NEXT) | instid1(VALU_DEP_2)
	v_cvt_f16_f32_e32 v30, v34
	v_cvt_f16_f32_e32 v33, v32
	s_delay_alu instid0(VALU_DEP_1) | instskip(SKIP_1) | instid1(VALU_DEP_1)
	v_pack_b32_f16 v30, v30, v33
	v_mul_f32_e32 v33, 0x3fb8aa3b, v31
	v_fma_f32 v35, 0x3fb8aa3b, v31, -v33
	v_rndne_f32_e32 v36, v33
	s_delay_alu instid0(VALU_DEP_2) | instskip(NEXT) | instid1(VALU_DEP_2)
	v_fmac_f32_e32 v35, 0x32a5705f, v31
	v_sub_f32_e32 v33, v33, v36
	s_delay_alu instid0(VALU_DEP_1) | instskip(SKIP_2) | instid1(VALU_DEP_3)
	v_add_f32_e32 v33, v33, v35
	v_cvt_i32_f32_e32 v35, v36
	v_add_nc_u32_e32 v36, 0x400, v207
	v_exp_f32_e32 v33, v33
	s_waitcnt_depctr 0xfff
	v_ldexp_f32 v33, v33, v35
	s_delay_alu instid0(VALU_DEP_1) | instskip(SKIP_1) | instid1(VALU_DEP_1)
	v_cndmask_b32_e64 v33, 0, v33, s4
	v_cmp_nlt_f32_e64 s4, 0x42b17218, v31
	v_cndmask_b32_e64 v141, 0x7f800000, v33, s4
	ds_bpermute_b32 v33, v83, v141
	v_cndmask_b32_e64 v31, v34, v141, s2
	v_cndmask_b32_e64 v32, v32, v141, s3
	v_add_nc_u32_e32 v34, 0x300, v211
	s_waitcnt lgkmcnt(0)
	s_delay_alu instid0(VALU_DEP_3) | instskip(NEXT) | instid1(VALU_DEP_3)
	v_cndmask_b32_e64 v31, v31, v33, s1
	v_cndmask_b32_e32 v32, v32, v33, vcc_lo
	s_delay_alu instid0(VALU_DEP_2) | instskip(NEXT) | instid1(VALU_DEP_2)
	v_cvt_f16_f32_e32 v31, v31
	v_cvt_f16_f32_e32 v32, v32
	s_delay_alu instid0(VALU_DEP_1)
	v_pack_b32_f16 v31, v31, v32
	v_add_nc_u32_e32 v32, 0x200, v207
	ds_load_2addr_b32 v[58:59], v32 offset0:80 offset1:132
	v_add_nc_u32_e32 v32, 0xa00, v207
	ds_load_2addr_b32 v[54:55], v36 offset0:56 offset1:72
	ds_load_2addr_b32 v[44:45], v36 offset0:88 offset1:108
	;; [unrolled: 1-line block ×8, first 2 shown]
	s_waitcnt lgkmcnt(8)
	v_perm_b32 v68, v59, v58, 0x5040100
	s_waitcnt lgkmcnt(6)
	v_perm_b32 v69, v45, v54, 0x5040100
	;; [unrolled: 2-line block ×6, first 2 shown]
	s_delay_alu instid0(VALU_DEP_1)
	v_wmma_f16_16x16x16_f16 v[0:7], v[66:73], v[24:31], v[0:7]
	ds_load_2addr_b32 v[66:67], v207 offset0:68 offset1:84
	ds_load_2addr_b32 v[68:69], v207 offset0:172 offset1:188
	ds_load_2addr_b32 v[80:81], v34 offset0:16 offset1:224
	ds_load_2addr_b32 v[70:71], v36 offset0:20 offset1:36
	ds_load_2addr_b32 v[72:73], v36 offset0:124 offset1:140
	ds_load_2addr_b32 v[74:75], v36 offset0:228 offset1:244
	ds_load_2addr_b32 v[76:77], v38 offset0:76 offset1:92
	ds_load_2addr_b32 v[78:79], v38 offset0:180 offset1:196
	ds_load_b32 v118, v211 offset:2496
	ds_load_b32 v142, v212 offset:2496
	;; [unrolled: 1-line block ×5, first 2 shown]
	ds_load_2addr_b32 v[92:93], v94 offset0:28 offset1:44
	s_waitcnt lgkmcnt(13)
	v_perm_b32 v32, v66, v49, 0x5040100
	s_waitcnt lgkmcnt(12)
	v_perm_b32 v33, v68, v51, 0x5040100
	;; [unrolled: 2-line block ×8, first 2 shown]
	s_delay_alu instid0(VALU_DEP_1)
	v_wmma_f16_16x16x16_f16 v[16:23], v[32:39], v[24:31], v[16:23]
	v_perm_b32 v34, v59, v58, 0x7060302
	v_perm_b32 v36, v61, v60, 0x7060302
	;; [unrolled: 1-line block ×12, first 2 shown]
	v_wmma_f16_16x16x16_f16 v[0:7], v[32:39], v[24:31], v[0:7] op_sel:[0,0,1]
	v_perm_b32 v32, v66, v49, 0x7060302
	v_perm_b32 v33, v68, v51, 0x7060302
	;; [unrolled: 1-line block ×9, first 2 shown]
	v_add_nc_u32_e32 v81, 0x1400, v207
	s_delay_alu instid0(VALU_DEP_3)
	v_wmma_f16_16x16x16_f16 v[16:23], v[32:39], v[24:31], v[16:23] op_sel:[0,0,1]
	v_add_nc_u32_e32 v32, 0x300, v215
	v_perm_b32 v35, v67, v40, 0x7060302
	v_perm_b32 v36, v69, v42, 0x7060302
	;; [unrolled: 1-line block ×4, first 2 shown]
	ds_load_2addr_b32 v[47:48], v32 offset0:16 offset1:224
	ds_load_b32 v33, v215 offset:2496
	ds_load_b32 v80, v216 offset:2496
	;; [unrolled: 1-line block ×4, first 2 shown]
	v_perm_b32 v42, v93, v52, 0x7060302
	s_waitcnt lgkmcnt(3)
	v_perm_b32 v59, v79, v33, 0x5040100
	v_perm_b32 v41, v79, v33, 0x7060302
	v_perm_b32 v55, v71, v47, 0x5040100
	v_perm_b32 v57, v75, v48, 0x5040100
	v_perm_b32 v37, v71, v47, 0x7060302
	v_perm_b32 v39, v75, v48, 0x7060302
	v_add_nc_u32_e32 v79, 0x1000, v207
	s_delay_alu instid0(VALU_DEP_4) | instskip(NEXT) | instid1(VALU_DEP_1)
	v_wmma_f16_16x16x16_f16 v[8:15], v[53:60], v[24:31], v[8:15]
	v_wmma_f16_16x16x16_f16 v[8:15], v[35:42], v[24:31], v[8:15] op_sel:[0,0,1]
	v_sub_f32_e32 v24, v135, v82
	s_delay_alu instid0(VALU_DEP_1) | instskip(SKIP_1) | instid1(VALU_DEP_2)
	v_mul_f32_e32 v25, 0x3fb8aa3b, v24
	v_cmp_ngt_f32_e64 s4, 0xc2ce8ed0, v24
	v_fma_f32 v26, 0x3fb8aa3b, v24, -v25
	v_rndne_f32_e32 v27, v25
	s_delay_alu instid0(VALU_DEP_1) | instskip(SKIP_1) | instid1(VALU_DEP_2)
	v_dual_fmac_f32 v26, 0x32a5705f, v24 :: v_dual_sub_f32 v25, v25, v27
	v_cvt_i32_f32_e32 v27, v27
	v_add_f32_e32 v25, v25, v26
	v_sub_f32_e32 v26, v134, v82
	s_delay_alu instid0(VALU_DEP_2) | instskip(NEXT) | instid1(VALU_DEP_1)
	v_exp_f32_e32 v25, v25
	v_mul_f32_e32 v28, 0x3fb8aa3b, v26
	v_cmp_ngt_f32_e64 s5, 0xc2ce8ed0, v26
	s_delay_alu instid0(VALU_DEP_2)
	v_fma_f32 v29, 0x3fb8aa3b, v26, -v28
	v_rndne_f32_e32 v30, v28
	s_waitcnt_depctr 0xfff
	v_ldexp_f32 v25, v25, v27
	v_fmac_f32_e32 v29, 0x32a5705f, v26
	v_sub_f32_e32 v28, v28, v30
	s_delay_alu instid0(VALU_DEP_3) | instskip(SKIP_1) | instid1(VALU_DEP_3)
	v_cndmask_b32_e64 v25, 0, v25, s4
	v_cmp_nlt_f32_e64 s4, 0x42b17218, v24
	v_add_f32_e32 v28, v28, v29
	s_delay_alu instid0(VALU_DEP_2) | instskip(NEXT) | instid1(VALU_DEP_2)
	v_cndmask_b32_e64 v25, 0x7f800000, v25, s4
	v_exp_f32_e32 v27, v28
	v_cvt_i32_f32_e32 v28, v30
	s_waitcnt_depctr 0xfff
	v_ldexp_f32 v27, v27, v28
	ds_bpermute_b32 v28, v83, v25
	v_cndmask_b32_e64 v24, 0, v27, s5
	v_cmp_nlt_f32_e64 s5, 0x42b17218, v26
	s_delay_alu instid0(VALU_DEP_1) | instskip(SKIP_4) | instid1(VALU_DEP_2)
	v_cndmask_b32_e64 v24, 0x7f800000, v24, s5
	ds_bpermute_b32 v26, v83, v24
	s_waitcnt lgkmcnt(0)
	v_cndmask_b32_e64 v27, v24, v26, s1
	v_cndmask_b32_e32 v26, v24, v26, vcc_lo
	v_cndmask_b32_e64 v29, v27, v25, s2
	s_delay_alu instid0(VALU_DEP_2) | instskip(SKIP_2) | instid1(VALU_DEP_4)
	v_cndmask_b32_e64 v30, v26, v25, s3
	v_cvt_f16_f32_e32 v27, v27
	v_cvt_f16_f32_e32 v26, v26
	v_cndmask_b32_e64 v29, v29, v28, s1
	s_delay_alu instid0(VALU_DEP_4) | instskip(NEXT) | instid1(VALU_DEP_3)
	v_cndmask_b32_e32 v28, v30, v28, vcc_lo
	v_pack_b32_f16 v35, v27, v26
	v_sub_f32_e32 v26, v133, v82
	s_delay_alu instid0(VALU_DEP_4) | instskip(NEXT) | instid1(VALU_DEP_4)
	v_cvt_f16_f32_e32 v30, v29
	v_cvt_f16_f32_e32 v31, v28
	s_delay_alu instid0(VALU_DEP_3) | instskip(SKIP_1) | instid1(VALU_DEP_3)
	v_mul_f32_e32 v27, 0x3fb8aa3b, v26
	v_cmp_ngt_f32_e64 s4, 0xc2ce8ed0, v26
	v_pack_b32_f16 v36, v30, v31
	s_delay_alu instid0(VALU_DEP_3) | instskip(SKIP_1) | instid1(VALU_DEP_1)
	v_fma_f32 v30, 0x3fb8aa3b, v26, -v27
	v_rndne_f32_e32 v31, v27
	v_dual_fmac_f32 v30, 0x32a5705f, v26 :: v_dual_sub_f32 v27, v27, v31
	s_delay_alu instid0(VALU_DEP_1) | instskip(SKIP_1) | instid1(VALU_DEP_2)
	v_add_f32_e32 v27, v27, v30
	v_cvt_i32_f32_e32 v30, v31
	v_exp_f32_e32 v27, v27
	s_waitcnt_depctr 0xfff
	v_ldexp_f32 v27, v27, v30
	s_delay_alu instid0(VALU_DEP_1) | instskip(SKIP_1) | instid1(VALU_DEP_1)
	v_cndmask_b32_e64 v27, 0, v27, s4
	v_cmp_nlt_f32_e64 s4, 0x42b17218, v26
	v_cndmask_b32_e64 v26, 0x7f800000, v27, s4
	s_delay_alu instid0(VALU_DEP_1) | instskip(SKIP_4) | instid1(VALU_DEP_2)
	v_cndmask_b32_e64 v27, v29, v26, s2
	ds_bpermute_b32 v29, v83, v26
	v_cndmask_b32_e64 v28, v28, v26, s3
	s_waitcnt lgkmcnt(0)
	v_cndmask_b32_e64 v30, v27, v29, s1
	v_cndmask_b32_e32 v28, v28, v29, vcc_lo
	s_delay_alu instid0(VALU_DEP_2) | instskip(NEXT) | instid1(VALU_DEP_2)
	v_cvt_f16_f32_e32 v27, v30
	v_cvt_f16_f32_e32 v29, v28
	s_delay_alu instid0(VALU_DEP_1)
	v_pack_b32_f16 v37, v27, v29
	v_sub_f32_e32 v27, v132, v82
	ds_load_2addr_b32 v[51:52], v94 offset0:64 offset1:80
	ds_load_2addr_b32 v[53:54], v94 offset0:96 offset1:116
	;; [unrolled: 1-line block ×4, first 2 shown]
	v_mul_f32_e32 v29, 0x3fb8aa3b, v27
	v_cmp_ngt_f32_e64 s4, 0xc2ce8ed0, v27
	s_delay_alu instid0(VALU_DEP_2) | instskip(SKIP_1) | instid1(VALU_DEP_2)
	v_fma_f32 v31, 0x3fb8aa3b, v27, -v29
	v_rndne_f32_e32 v33, v29
	v_fmac_f32_e32 v31, 0x32a5705f, v27
	s_delay_alu instid0(VALU_DEP_2) | instskip(NEXT) | instid1(VALU_DEP_1)
	v_sub_f32_e32 v29, v29, v33
	v_add_f32_e32 v29, v29, v31
	v_cvt_i32_f32_e32 v31, v33
	s_delay_alu instid0(VALU_DEP_2) | instskip(SKIP_2) | instid1(VALU_DEP_1)
	v_exp_f32_e32 v29, v29
	s_waitcnt_depctr 0xfff
	v_ldexp_f32 v29, v29, v31
	v_cndmask_b32_e64 v29, 0, v29, s4
	v_cmp_nlt_f32_e64 s4, 0x42b17218, v27
	s_delay_alu instid0(VALU_DEP_1) | instskip(NEXT) | instid1(VALU_DEP_1)
	v_cndmask_b32_e64 v27, 0x7f800000, v29, s4
	v_cndmask_b32_e64 v29, v30, v27, s2
	ds_bpermute_b32 v30, v83, v27
	v_cndmask_b32_e64 v28, v28, v27, s3
	s_waitcnt lgkmcnt(0)
	v_cndmask_b32_e64 v29, v29, v30, s1
	s_delay_alu instid0(VALU_DEP_2) | instskip(NEXT) | instid1(VALU_DEP_2)
	v_cndmask_b32_e32 v30, v28, v30, vcc_lo
	v_cvt_f16_f32_e32 v28, v29
	s_delay_alu instid0(VALU_DEP_2) | instskip(NEXT) | instid1(VALU_DEP_1)
	v_cvt_f16_f32_e32 v31, v30
	v_pack_b32_f16 v38, v28, v31
	v_sub_f32_e32 v28, v131, v82
	s_delay_alu instid0(VALU_DEP_1) | instskip(SKIP_1) | instid1(VALU_DEP_2)
	v_mul_f32_e32 v31, 0x3fb8aa3b, v28
	v_cmp_ngt_f32_e64 s4, 0xc2ce8ed0, v28
	v_fma_f32 v33, 0x3fb8aa3b, v28, -v31
	v_rndne_f32_e32 v39, v31
	s_delay_alu instid0(VALU_DEP_2) | instskip(NEXT) | instid1(VALU_DEP_2)
	v_fmac_f32_e32 v33, 0x32a5705f, v28
	v_sub_f32_e32 v31, v31, v39
	s_delay_alu instid0(VALU_DEP_1) | instskip(SKIP_1) | instid1(VALU_DEP_2)
	v_add_f32_e32 v31, v31, v33
	v_cvt_i32_f32_e32 v33, v39
	v_exp_f32_e32 v31, v31
	s_waitcnt_depctr 0xfff
	v_ldexp_f32 v31, v31, v33
	s_delay_alu instid0(VALU_DEP_1) | instskip(SKIP_1) | instid1(VALU_DEP_1)
	v_cndmask_b32_e64 v31, 0, v31, s4
	v_cmp_nlt_f32_e64 s4, 0x42b17218, v28
	v_cndmask_b32_e64 v28, 0x7f800000, v31, s4
	ds_bpermute_b32 v31, v83, v28
	v_cndmask_b32_e64 v29, v29, v28, s2
	v_cndmask_b32_e64 v30, v30, v28, s3
	s_waitcnt lgkmcnt(0)
	s_delay_alu instid0(VALU_DEP_2) | instskip(NEXT) | instid1(VALU_DEP_2)
	v_cndmask_b32_e64 v33, v29, v31, s1
	v_cndmask_b32_e32 v30, v30, v31, vcc_lo
	s_delay_alu instid0(VALU_DEP_2) | instskip(NEXT) | instid1(VALU_DEP_2)
	v_cvt_f16_f32_e32 v29, v33
	v_cvt_f16_f32_e32 v31, v30
	s_delay_alu instid0(VALU_DEP_1) | instskip(SKIP_1) | instid1(VALU_DEP_1)
	v_pack_b32_f16 v39, v29, v31
	v_sub_f32_e32 v29, v130, v82
	v_mul_f32_e32 v31, 0x3fb8aa3b, v29
	v_cmp_ngt_f32_e64 s4, 0xc2ce8ed0, v29
	s_delay_alu instid0(VALU_DEP_2) | instskip(SKIP_1) | instid1(VALU_DEP_2)
	v_fma_f32 v40, 0x3fb8aa3b, v29, -v31
	v_rndne_f32_e32 v41, v31
	v_fmac_f32_e32 v40, 0x32a5705f, v29
	s_delay_alu instid0(VALU_DEP_2) | instskip(NEXT) | instid1(VALU_DEP_1)
	v_sub_f32_e32 v31, v31, v41
	v_add_f32_e32 v31, v31, v40
	v_cvt_i32_f32_e32 v40, v41
	s_delay_alu instid0(VALU_DEP_2) | instskip(SKIP_2) | instid1(VALU_DEP_1)
	v_exp_f32_e32 v31, v31
	s_waitcnt_depctr 0xfff
	v_ldexp_f32 v31, v31, v40
	v_cndmask_b32_e64 v31, 0, v31, s4
	v_cmp_nlt_f32_e64 s4, 0x42b17218, v29
	s_delay_alu instid0(VALU_DEP_1) | instskip(NEXT) | instid1(VALU_DEP_1)
	v_cndmask_b32_e64 v29, 0x7f800000, v31, s4
	v_cndmask_b32_e64 v31, v33, v29, s2
	ds_bpermute_b32 v33, v83, v29
	v_cndmask_b32_e64 v30, v30, v29, s3
	s_waitcnt lgkmcnt(0)
	v_cndmask_b32_e64 v31, v31, v33, s1
	s_delay_alu instid0(VALU_DEP_2) | instskip(NEXT) | instid1(VALU_DEP_2)
	v_cndmask_b32_e32 v33, v30, v33, vcc_lo
	v_cvt_f16_f32_e32 v30, v31
	s_delay_alu instid0(VALU_DEP_2) | instskip(NEXT) | instid1(VALU_DEP_1)
	v_cvt_f16_f32_e32 v40, v33
	v_pack_b32_f16 v40, v30, v40
	v_sub_f32_e32 v30, v129, v82
	s_delay_alu instid0(VALU_DEP_1) | instskip(SKIP_1) | instid1(VALU_DEP_2)
	v_mul_f32_e32 v41, 0x3fb8aa3b, v30
	v_cmp_ngt_f32_e64 s4, 0xc2ce8ed0, v30
	v_fma_f32 v42, 0x3fb8aa3b, v30, -v41
	v_rndne_f32_e32 v43, v41
	s_delay_alu instid0(VALU_DEP_1) | instskip(NEXT) | instid1(VALU_DEP_1)
	v_dual_fmac_f32 v42, 0x32a5705f, v30 :: v_dual_sub_f32 v41, v41, v43
	v_add_f32_e32 v41, v41, v42
	v_cvt_i32_f32_e32 v42, v43
	s_delay_alu instid0(VALU_DEP_2) | instskip(SKIP_2) | instid1(VALU_DEP_1)
	v_exp_f32_e32 v41, v41
	s_waitcnt_depctr 0xfff
	v_ldexp_f32 v41, v41, v42
	v_cndmask_b32_e64 v41, 0, v41, s4
	v_cmp_nlt_f32_e64 s4, 0x42b17218, v30
	s_delay_alu instid0(VALU_DEP_1) | instskip(SKIP_4) | instid1(VALU_DEP_2)
	v_cndmask_b32_e64 v30, 0x7f800000, v41, s4
	ds_bpermute_b32 v41, v83, v30
	v_cndmask_b32_e64 v31, v31, v30, s2
	v_cndmask_b32_e64 v33, v33, v30, s3
	s_waitcnt lgkmcnt(0)
	v_cndmask_b32_e64 v42, v31, v41, s1
	s_delay_alu instid0(VALU_DEP_2) | instskip(NEXT) | instid1(VALU_DEP_2)
	v_cndmask_b32_e32 v33, v33, v41, vcc_lo
	v_cvt_f16_f32_e32 v31, v42
	s_delay_alu instid0(VALU_DEP_2) | instskip(NEXT) | instid1(VALU_DEP_1)
	v_cvt_f16_f32_e32 v41, v33
	v_pack_b32_f16 v41, v31, v41
	v_sub_f32_e32 v31, v128, v82
	s_delay_alu instid0(VALU_DEP_1) | instskip(SKIP_1) | instid1(VALU_DEP_2)
	v_mul_f32_e32 v43, 0x3fb8aa3b, v31
	v_cmp_ngt_f32_e64 s4, 0xc2ce8ed0, v31
	v_fma_f32 v44, 0x3fb8aa3b, v31, -v43
	v_rndne_f32_e32 v45, v43
	s_delay_alu instid0(VALU_DEP_1) | instskip(NEXT) | instid1(VALU_DEP_1)
	v_dual_fmac_f32 v44, 0x32a5705f, v31 :: v_dual_sub_f32 v43, v43, v45
	v_add_f32_e32 v43, v43, v44
	v_cvt_i32_f32_e32 v44, v45
	s_delay_alu instid0(VALU_DEP_2) | instskip(SKIP_3) | instid1(VALU_DEP_2)
	v_exp_f32_e32 v43, v43
	s_waitcnt_depctr 0xfff
	v_ldexp_f32 v43, v43, v44
	v_perm_b32 v44, v58, v55, 0x5040100
	v_cndmask_b32_e64 v43, 0, v43, s4
	v_cmp_nlt_f32_e64 s4, 0x42b17218, v31
	s_delay_alu instid0(VALU_DEP_1) | instskip(SKIP_4) | instid1(VALU_DEP_2)
	v_cndmask_b32_e64 v31, 0x7f800000, v43, s4
	ds_bpermute_b32 v43, v83, v31
	v_cndmask_b32_e64 v42, v42, v31, s2
	v_cndmask_b32_e64 v33, v33, v31, s3
	s_waitcnt lgkmcnt(0)
	v_cndmask_b32_e64 v42, v42, v43, s1
	s_delay_alu instid0(VALU_DEP_2) | instskip(SKIP_1) | instid1(VALU_DEP_3)
	v_cndmask_b32_e32 v33, v33, v43, vcc_lo
	v_perm_b32 v43, v54, v51, 0x5040100
	v_cvt_f16_f32_e32 v42, v42
	s_delay_alu instid0(VALU_DEP_3) | instskip(NEXT) | instid1(VALU_DEP_1)
	v_cvt_f16_f32_e32 v33, v33
	v_pack_b32_f16 v42, v42, v33
	v_add_nc_u32_e32 v33, 0x300, v208
	ds_load_2addr_b32 v[59:60], v33 offset0:16 offset1:224
	ds_load_2addr_b32 v[61:62], v79 offset0:68 offset1:84
	v_add_nc_u32_e32 v33, 0x1200, v207
	ds_load_2addr_b32 v[63:64], v79 offset0:100 offset1:120
	ds_load_2addr_b32 v[65:66], v79 offset0:172 offset1:188
	;; [unrolled: 1-line block ×5, first 2 shown]
	ds_load_b32 v92, v209 offset:2496
	ds_load_b32 v93, v208 offset:2496
	;; [unrolled: 1-line block ×3, first 2 shown]
	ds_load_2addr_b32 v[73:74], v81 offset0:228 offset1:244
	ds_load_2addr_b32 v[75:76], v95 offset0:4 offset1:24
	;; [unrolled: 1-line block ×3, first 2 shown]
	s_waitcnt lgkmcnt(11)
	v_perm_b32 v45, v61, v59, 0x5040100
	s_waitcnt lgkmcnt(9)
	v_perm_b32 v46, v65, v64, 0x5040100
	;; [unrolled: 2-line block ×6, first 2 shown]
	s_delay_alu instid0(VALU_DEP_1)
	v_wmma_f16_16x16x16_f16 v[0:7], v[43:50], v[35:42], v[0:7]
	v_perm_b32 v45, v61, v59, 0x7060302
	v_perm_b32 v47, v68, v60, 0x7060302
	;; [unrolled: 1-line block ×8, first 2 shown]
	ds_load_2addr_b32 v[54:55], v94 offset0:132 offset1:148
	ds_load_2addr_b32 v[58:59], v94 offset0:236 offset1:252
	ds_load_2addr_b32 v[64:65], v79 offset0:136 offset1:152
	ds_load_2addr_b32 v[68:69], v81 offset0:36 offset1:52
	ds_load_2addr_b32 v[72:73], v81 offset0:140 offset1:156
	v_wmma_f16_16x16x16_f16 v[0:7], v[43:50], v[35:42], v[0:7] op_sel:[0,0,1]
	v_add_nc_u32_e32 v45, 0x300, v212
	ds_load_2addr_b32 v[76:77], v95 offset0:40 offset1:56
	v_perm_b32 v49, v74, v142, 0x5040100
	v_add_nc_u32_e32 v79, 0x2000, v207
	v_add_nc_u32_e32 v81, 0x2400, v207
	ds_load_2addr_b32 v[60:61], v45 offset0:16 offset1:224
	s_waitcnt lgkmcnt(6)
	v_perm_b32 v43, v54, v52, 0x5040100
	s_waitcnt lgkmcnt(5)
	v_perm_b32 v44, v58, v56, 0x5040100
	;; [unrolled: 2-line block ×6, first 2 shown]
	v_perm_b32 v47, v68, v61, 0x5040100
	s_delay_alu instid0(VALU_DEP_1)
	v_wmma_f16_16x16x16_f16 v[16:23], v[43:50], v[35:42], v[16:23]
	v_perm_b32 v49, v74, v142, 0x7060302
	v_perm_b32 v43, v54, v52, 0x7060302
	;; [unrolled: 1-line block ×8, first 2 shown]
	ds_load_2addr_b32 v[60:61], v95 offset0:108 offset1:128
	v_add_nc_u32_e32 v78, 0x1c00, v207
	v_wmma_f16_16x16x16_f16 v[16:23], v[43:50], v[35:42], v[16:23] op_sel:[0,0,1]
	v_add_nc_u32_e32 v45, 0x300, v216
	v_perm_b32 v43, v55, v53, 0x5040100
	v_perm_b32 v44, v59, v57, 0x5040100
	;; [unrolled: 1-line block ×4, first 2 shown]
	ds_load_2addr_b32 v[51:52], v45 offset0:16 offset1:224
	v_perm_b32 v49, v75, v80, 0x5040100
	s_waitcnt lgkmcnt(1)
	v_perm_b32 v50, v60, v77, 0x5040100
	s_waitcnt lgkmcnt(0)
	v_perm_b32 v45, v63, v51, 0x5040100
	v_perm_b32 v47, v69, v52, 0x5040100
	s_delay_alu instid0(VALU_DEP_1)
	v_wmma_f16_16x16x16_f16 v[8:15], v[43:50], v[35:42], v[8:15]
	v_perm_b32 v43, v55, v53, 0x7060302
	v_perm_b32 v44, v59, v57, 0x7060302
	;; [unrolled: 1-line block ×8, first 2 shown]
	ds_load_2addr_b32 v[51:52], v95 offset0:180 offset1:196
	ds_load_2addr_b32 v[53:54], v95 offset0:212 offset1:232
	;; [unrolled: 1-line block ×3, first 2 shown]
	v_wmma_f16_16x16x16_f16 v[8:15], v[43:50], v[35:42], v[8:15] op_sel:[0,0,1]
	v_sub_f32_e32 v35, v127, v82
	v_add_nc_u32_e32 v49, 0x2200, v207
	s_delay_alu instid0(VALU_DEP_2) | instskip(SKIP_1) | instid1(VALU_DEP_2)
	v_mul_f32_e32 v36, 0x3fb8aa3b, v35
	v_cmp_ngt_f32_e64 s4, 0xc2ce8ed0, v35
	v_fma_f32 v37, 0x3fb8aa3b, v35, -v36
	v_rndne_f32_e32 v38, v36
	s_delay_alu instid0(VALU_DEP_1) | instskip(SKIP_1) | instid1(VALU_DEP_2)
	v_dual_fmac_f32 v37, 0x32a5705f, v35 :: v_dual_sub_f32 v36, v36, v38
	v_cvt_i32_f32_e32 v38, v38
	v_dual_add_f32 v36, v36, v37 :: v_dual_sub_f32 v37, v126, v82
	s_delay_alu instid0(VALU_DEP_1) | instskip(NEXT) | instid1(VALU_DEP_1)
	v_exp_f32_e32 v36, v36
	v_mul_f32_e32 v39, 0x3fb8aa3b, v37
	v_cmp_ngt_f32_e64 s5, 0xc2ce8ed0, v37
	s_delay_alu instid0(VALU_DEP_2)
	v_fma_f32 v40, 0x3fb8aa3b, v37, -v39
	v_rndne_f32_e32 v41, v39
	s_waitcnt_depctr 0xfff
	v_ldexp_f32 v36, v36, v38
	v_fmac_f32_e32 v40, 0x32a5705f, v37
	v_sub_f32_e32 v39, v39, v41
	s_delay_alu instid0(VALU_DEP_3) | instskip(SKIP_1) | instid1(VALU_DEP_3)
	v_cndmask_b32_e64 v36, 0, v36, s4
	v_cmp_nlt_f32_e64 s4, 0x42b17218, v35
	v_add_f32_e32 v39, v39, v40
	s_delay_alu instid0(VALU_DEP_2) | instskip(NEXT) | instid1(VALU_DEP_2)
	v_cndmask_b32_e64 v100, 0x7f800000, v36, s4
	v_exp_f32_e32 v38, v39
	v_cvt_i32_f32_e32 v39, v41
	s_waitcnt_depctr 0xfff
	v_ldexp_f32 v38, v38, v39
	s_delay_alu instid0(VALU_DEP_1)
	v_cndmask_b32_e64 v35, 0, v38, s5
	v_cmp_nlt_f32_e64 s5, 0x42b17218, v37
	ds_bpermute_b32 v37, v83, v100
	v_cndmask_b32_e64 v99, 0x7f800000, v35, s5
	ds_bpermute_b32 v35, v83, v99
	s_waitcnt lgkmcnt(0)
	v_cndmask_b32_e64 v36, v99, v35, s1
	v_cndmask_b32_e32 v35, v99, v35, vcc_lo
	s_delay_alu instid0(VALU_DEP_2) | instskip(NEXT) | instid1(VALU_DEP_2)
	v_cndmask_b32_e64 v38, v36, v100, s2
	v_cndmask_b32_e64 v39, v35, v100, s3
	v_cvt_f16_f32_e32 v36, v36
	v_cvt_f16_f32_e32 v35, v35
	s_delay_alu instid0(VALU_DEP_4) | instskip(NEXT) | instid1(VALU_DEP_4)
	v_cndmask_b32_e64 v38, v38, v37, s1
	v_cndmask_b32_e32 v37, v39, v37, vcc_lo
	s_delay_alu instid0(VALU_DEP_3) | instskip(NEXT) | instid1(VALU_DEP_3)
	v_pack_b32_f16 v35, v36, v35
	v_cvt_f16_f32_e32 v39, v38
	s_delay_alu instid0(VALU_DEP_3) | instskip(NEXT) | instid1(VALU_DEP_1)
	v_cvt_f16_f32_e32 v40, v37
	v_pack_b32_f16 v36, v39, v40
	v_sub_f32_e32 v39, v125, v82
	s_delay_alu instid0(VALU_DEP_1) | instskip(SKIP_1) | instid1(VALU_DEP_2)
	v_mul_f32_e32 v40, 0x3fb8aa3b, v39
	v_cmp_ngt_f32_e64 s4, 0xc2ce8ed0, v39
	v_fma_f32 v41, 0x3fb8aa3b, v39, -v40
	v_rndne_f32_e32 v42, v40
	s_delay_alu instid0(VALU_DEP_1) | instskip(NEXT) | instid1(VALU_DEP_1)
	v_dual_fmac_f32 v41, 0x32a5705f, v39 :: v_dual_sub_f32 v40, v40, v42
	v_add_f32_e32 v40, v40, v41
	v_cvt_i32_f32_e32 v41, v42
	s_delay_alu instid0(VALU_DEP_2) | instskip(SKIP_2) | instid1(VALU_DEP_1)
	v_exp_f32_e32 v40, v40
	s_waitcnt_depctr 0xfff
	v_ldexp_f32 v40, v40, v41
	v_cndmask_b32_e64 v40, 0, v40, s4
	v_cmp_nlt_f32_e64 s4, 0x42b17218, v39
	s_delay_alu instid0(VALU_DEP_1) | instskip(SKIP_4) | instid1(VALU_DEP_2)
	v_cndmask_b32_e64 v101, 0x7f800000, v40, s4
	ds_bpermute_b32 v39, v83, v101
	v_cndmask_b32_e64 v38, v38, v101, s2
	v_cndmask_b32_e64 v37, v37, v101, s3
	s_waitcnt lgkmcnt(0)
	v_cndmask_b32_e64 v38, v38, v39, s1
	s_delay_alu instid0(VALU_DEP_2) | instskip(NEXT) | instid1(VALU_DEP_2)
	v_cndmask_b32_e32 v39, v37, v39, vcc_lo
	v_cvt_f16_f32_e32 v37, v38
	s_delay_alu instid0(VALU_DEP_2) | instskip(NEXT) | instid1(VALU_DEP_1)
	v_cvt_f16_f32_e32 v40, v39
	v_pack_b32_f16 v37, v37, v40
	v_sub_f32_e32 v40, v124, v82
	s_delay_alu instid0(VALU_DEP_1) | instskip(SKIP_1) | instid1(VALU_DEP_2)
	v_mul_f32_e32 v41, 0x3fb8aa3b, v40
	v_cmp_ngt_f32_e64 s4, 0xc2ce8ed0, v40
	v_fma_f32 v42, 0x3fb8aa3b, v40, -v41
	v_rndne_f32_e32 v43, v41
	s_delay_alu instid0(VALU_DEP_1) | instskip(NEXT) | instid1(VALU_DEP_1)
	v_dual_fmac_f32 v42, 0x32a5705f, v40 :: v_dual_sub_f32 v41, v41, v43
	v_add_f32_e32 v41, v41, v42
	v_cvt_i32_f32_e32 v42, v43
	s_delay_alu instid0(VALU_DEP_2) | instskip(SKIP_2) | instid1(VALU_DEP_1)
	v_exp_f32_e32 v41, v41
	s_waitcnt_depctr 0xfff
	v_ldexp_f32 v41, v41, v42
	v_cndmask_b32_e64 v41, 0, v41, s4
	v_cmp_nlt_f32_e64 s4, 0x42b17218, v40
	s_delay_alu instid0(VALU_DEP_1) | instskip(SKIP_4) | instid1(VALU_DEP_2)
	v_cndmask_b32_e64 v102, 0x7f800000, v41, s4
	ds_bpermute_b32 v40, v83, v102
	v_cndmask_b32_e64 v38, v38, v102, s2
	v_cndmask_b32_e64 v39, v39, v102, s3
	s_waitcnt lgkmcnt(0)
	v_cndmask_b32_e64 v41, v38, v40, s1
	s_delay_alu instid0(VALU_DEP_2) | instskip(NEXT) | instid1(VALU_DEP_2)
	v_cndmask_b32_e32 v39, v39, v40, vcc_lo
	v_cvt_f16_f32_e32 v38, v41
	s_delay_alu instid0(VALU_DEP_2) | instskip(NEXT) | instid1(VALU_DEP_1)
	v_cvt_f16_f32_e32 v40, v39
	v_pack_b32_f16 v38, v38, v40
	v_sub_f32_e32 v40, v123, v82
	s_delay_alu instid0(VALU_DEP_1) | instskip(SKIP_1) | instid1(VALU_DEP_2)
	v_mul_f32_e32 v42, 0x3fb8aa3b, v40
	v_cmp_ngt_f32_e64 s4, 0xc2ce8ed0, v40
	v_fma_f32 v43, 0x3fb8aa3b, v40, -v42
	v_rndne_f32_e32 v44, v42
	s_delay_alu instid0(VALU_DEP_2) | instskip(NEXT) | instid1(VALU_DEP_2)
	v_fmac_f32_e32 v43, 0x32a5705f, v40
	v_sub_f32_e32 v42, v42, v44
	s_delay_alu instid0(VALU_DEP_1) | instskip(SKIP_1) | instid1(VALU_DEP_2)
	v_add_f32_e32 v42, v42, v43
	v_cvt_i32_f32_e32 v43, v44
	v_exp_f32_e32 v42, v42
	s_waitcnt_depctr 0xfff
	v_ldexp_f32 v42, v42, v43
	s_delay_alu instid0(VALU_DEP_1) | instskip(SKIP_1) | instid1(VALU_DEP_1)
	v_cndmask_b32_e64 v42, 0, v42, s4
	v_cmp_nlt_f32_e64 s4, 0x42b17218, v40
	v_cndmask_b32_e64 v103, 0x7f800000, v42, s4
	s_delay_alu instid0(VALU_DEP_1) | instskip(SKIP_4) | instid1(VALU_DEP_2)
	v_cndmask_b32_e64 v40, v41, v103, s2
	ds_bpermute_b32 v41, v83, v103
	v_cndmask_b32_e64 v39, v39, v103, s3
	s_waitcnt lgkmcnt(0)
	v_cndmask_b32_e64 v40, v40, v41, s1
	v_cndmask_b32_e32 v41, v39, v41, vcc_lo
	s_delay_alu instid0(VALU_DEP_2) | instskip(NEXT) | instid1(VALU_DEP_2)
	v_cvt_f16_f32_e32 v39, v40
	v_cvt_f16_f32_e32 v42, v41
	s_delay_alu instid0(VALU_DEP_1) | instskip(SKIP_1) | instid1(VALU_DEP_1)
	v_pack_b32_f16 v39, v39, v42
	v_sub_f32_e32 v42, v122, v82
	v_mul_f32_e32 v43, 0x3fb8aa3b, v42
	v_cmp_ngt_f32_e64 s4, 0xc2ce8ed0, v42
	s_delay_alu instid0(VALU_DEP_2) | instskip(SKIP_1) | instid1(VALU_DEP_1)
	v_fma_f32 v44, 0x3fb8aa3b, v42, -v43
	v_rndne_f32_e32 v45, v43
	v_dual_fmac_f32 v44, 0x32a5705f, v42 :: v_dual_sub_f32 v43, v43, v45
	s_delay_alu instid0(VALU_DEP_1) | instskip(SKIP_1) | instid1(VALU_DEP_2)
	v_add_f32_e32 v43, v43, v44
	v_cvt_i32_f32_e32 v44, v45
	v_exp_f32_e32 v43, v43
	s_waitcnt_depctr 0xfff
	v_ldexp_f32 v43, v43, v44
	s_delay_alu instid0(VALU_DEP_1) | instskip(SKIP_1) | instid1(VALU_DEP_1)
	v_cndmask_b32_e64 v43, 0, v43, s4
	v_cmp_nlt_f32_e64 s4, 0x42b17218, v42
	v_cndmask_b32_e64 v104, 0x7f800000, v43, s4
	ds_bpermute_b32 v42, v83, v104
	v_cndmask_b32_e64 v40, v40, v104, s2
	v_cndmask_b32_e64 v41, v41, v104, s3
	s_waitcnt lgkmcnt(0)
	s_delay_alu instid0(VALU_DEP_2) | instskip(NEXT) | instid1(VALU_DEP_2)
	v_cndmask_b32_e64 v43, v40, v42, s1
	v_cndmask_b32_e32 v41, v41, v42, vcc_lo
	s_delay_alu instid0(VALU_DEP_2) | instskip(NEXT) | instid1(VALU_DEP_2)
	v_cvt_f16_f32_e32 v40, v43
	v_cvt_f16_f32_e32 v42, v41
	s_delay_alu instid0(VALU_DEP_1) | instskip(SKIP_1) | instid1(VALU_DEP_1)
	v_pack_b32_f16 v40, v40, v42
	v_sub_f32_e32 v42, v121, v82
	v_mul_f32_e32 v44, 0x3fb8aa3b, v42
	v_cmp_ngt_f32_e64 s4, 0xc2ce8ed0, v42
	s_delay_alu instid0(VALU_DEP_2) | instskip(SKIP_1) | instid1(VALU_DEP_2)
	v_fma_f32 v45, 0x3fb8aa3b, v42, -v44
	v_rndne_f32_e32 v46, v44
	v_fmac_f32_e32 v45, 0x32a5705f, v42
	s_delay_alu instid0(VALU_DEP_2) | instskip(NEXT) | instid1(VALU_DEP_1)
	v_sub_f32_e32 v44, v44, v46
	v_add_f32_e32 v44, v44, v45
	v_cvt_i32_f32_e32 v45, v46
	s_delay_alu instid0(VALU_DEP_2) | instskip(SKIP_2) | instid1(VALU_DEP_1)
	v_exp_f32_e32 v44, v44
	s_waitcnt_depctr 0xfff
	v_ldexp_f32 v44, v44, v45
	v_cndmask_b32_e64 v44, 0, v44, s4
	v_cmp_nlt_f32_e64 s4, 0x42b17218, v42
	s_delay_alu instid0(VALU_DEP_1) | instskip(NEXT) | instid1(VALU_DEP_1)
	v_cndmask_b32_e64 v105, 0x7f800000, v44, s4
	v_cndmask_b32_e64 v42, v43, v105, s2
	ds_bpermute_b32 v43, v83, v105
	v_cndmask_b32_e64 v41, v41, v105, s3
	s_waitcnt lgkmcnt(0)
	v_cndmask_b32_e64 v42, v42, v43, s1
	s_delay_alu instid0(VALU_DEP_2) | instskip(NEXT) | instid1(VALU_DEP_2)
	v_cndmask_b32_e32 v43, v41, v43, vcc_lo
	v_cvt_f16_f32_e32 v41, v42
	s_delay_alu instid0(VALU_DEP_2) | instskip(NEXT) | instid1(VALU_DEP_1)
	v_cvt_f16_f32_e32 v44, v43
	v_pack_b32_f16 v41, v41, v44
	v_sub_f32_e32 v44, v120, v82
	s_delay_alu instid0(VALU_DEP_1) | instskip(SKIP_1) | instid1(VALU_DEP_2)
	v_mul_f32_e32 v45, 0x3fb8aa3b, v44
	v_cmp_ngt_f32_e64 s4, 0xc2ce8ed0, v44
	v_fma_f32 v46, 0x3fb8aa3b, v44, -v45
	v_rndne_f32_e32 v47, v45
	s_delay_alu instid0(VALU_DEP_1) | instskip(NEXT) | instid1(VALU_DEP_1)
	v_dual_fmac_f32 v46, 0x32a5705f, v44 :: v_dual_sub_f32 v45, v45, v47
	v_add_f32_e32 v45, v45, v46
	v_cvt_i32_f32_e32 v46, v47
	s_delay_alu instid0(VALU_DEP_2) | instskip(SKIP_2) | instid1(VALU_DEP_1)
	v_exp_f32_e32 v45, v45
	s_waitcnt_depctr 0xfff
	v_ldexp_f32 v45, v45, v46
	v_cndmask_b32_e64 v45, 0, v45, s4
	v_cmp_nlt_f32_e64 s4, 0x42b17218, v44
	s_delay_alu instid0(VALU_DEP_1)
	v_cndmask_b32_e64 v118, 0x7f800000, v45, s4
	v_add_nc_u32_e32 v45, 0x300, v209
	ds_load_2addr_b32 v[57:58], v45 offset0:16 offset1:224
	ds_load_2addr_b32 v[59:60], v78 offset0:60 offset1:132
	ds_bpermute_b32 v44, v83, v118
	ds_load_2addr_b32 v[62:63], v78 offset0:184 offset1:200
	ds_load_2addr_b32 v[64:65], v78 offset0:216 offset1:236
	;; [unrolled: 1-line block ×8, first 2 shown]
	v_cndmask_b32_e64 v42, v42, v118, s2
	v_cndmask_b32_e64 v43, v43, v118, s3
	s_waitcnt lgkmcnt(9)
	v_perm_b32 v45, v60, v57, 0x5040100
	s_waitcnt lgkmcnt(8)
	v_cndmask_b32_e64 v42, v42, v44, s1
	v_cndmask_b32_e32 v43, v43, v44, vcc_lo
	v_perm_b32 v44, v55, v54, 0x5040100
	s_waitcnt lgkmcnt(6)
	v_perm_b32 v46, v65, v62, 0x5040100
	s_waitcnt lgkmcnt(5)
	v_perm_b32 v47, v66, v58, 0x5040100
	v_cvt_f16_f32_e32 v42, v42
	v_cvt_f16_f32_e32 v43, v43
	s_waitcnt lgkmcnt(3)
	v_perm_b32 v48, v70, v69, 0x5040100
	s_waitcnt lgkmcnt(2)
	v_perm_b32 v49, v73, v92, 0x5040100
	;; [unrolled: 2-line block ×3, first 2 shown]
	v_pack_b32_f16 v42, v42, v43
	v_perm_b32 v43, v51, v61, 0x5040100
	s_delay_alu instid0(VALU_DEP_1)
	v_wmma_f16_16x16x16_f16 v[0:7], v[43:50], v[35:42], v[0:7]
	v_perm_b32 v43, v51, v61, 0x7060302
	v_perm_b32 v45, v60, v57, 0x7060302
	;; [unrolled: 1-line block ×8, first 2 shown]
	s_delay_alu instid0(VALU_DEP_1)
	v_wmma_f16_16x16x16_f16 v[0:7], v[43:50], v[35:42], v[0:7] op_sel:[0,0,1]
	v_add_nc_u32_e32 v45, 0x300, v213
	v_add_nc_u32_e32 v46, 0x1e00, v207
	v_add_nc_u32_e32 v43, 0x1a00, v207
	ds_load_2addr_b32 v[54:55], v95 offset0:144 offset1:160
	ds_load_2addr_b32 v[57:58], v43 offset0:120 offset1:136
	;; [unrolled: 1-line block ×8, first 2 shown]
	s_waitcnt lgkmcnt(7)
	v_perm_b32 v43, v52, v54, 0x5040100
	s_waitcnt lgkmcnt(6)
	v_perm_b32 v44, v56, v57, 0x5040100
	;; [unrolled: 2-line block ×4, first 2 shown]
	v_perm_b32 v47, v67, v61, 0x5040100
	s_waitcnt lgkmcnt(2)
	v_perm_b32 v48, v71, v73, 0x5040100
	s_waitcnt lgkmcnt(1)
	;; [unrolled: 2-line block ×3, first 2 shown]
	v_perm_b32 v50, v79, v75, 0x5040100
	s_delay_alu instid0(VALU_DEP_1)
	v_wmma_f16_16x16x16_f16 v[16:23], v[43:50], v[35:42], v[16:23]
	v_perm_b32 v43, v52, v54, 0x7060302
	v_perm_b32 v44, v56, v57, 0x7060302
	;; [unrolled: 1-line block ×8, first 2 shown]
	s_delay_alu instid0(VALU_DEP_1)
	v_wmma_f16_16x16x16_f16 v[16:23], v[43:50], v[35:42], v[16:23] op_sel:[0,0,1]
	v_add_nc_u32_e32 v45, 0x300, v217
	v_perm_b32 v43, v53, v55, 0x5040100
	v_perm_b32 v44, v59, v58, 0x5040100
	;; [unrolled: 1-line block ×4, first 2 shown]
	ds_load_2addr_b32 v[51:52], v45 offset0:16 offset1:224
	v_perm_b32 v49, v78, v34, 0x5040100
	v_perm_b32 v50, v80, v76, 0x5040100
	s_waitcnt lgkmcnt(0)
	v_perm_b32 v45, v66, v51, 0x5040100
	v_perm_b32 v47, v68, v52, 0x5040100
	s_delay_alu instid0(VALU_DEP_1)
	v_wmma_f16_16x16x16_f16 v[8:15], v[43:50], v[35:42], v[8:15]
	v_perm_b32 v43, v53, v55, 0x7060302
	v_perm_b32 v44, v59, v58, 0x7060302
	;; [unrolled: 1-line block ×8, first 2 shown]
	v_sub_f32_e32 v34, v119, v82
	v_add_nc_u32_e32 v80, 0x2800, v207
	s_delay_alu instid0(VALU_DEP_3) | instskip(NEXT) | instid1(VALU_DEP_3)
	v_wmma_f16_16x16x16_f16 v[8:15], v[43:50], v[35:42], v[8:15] op_sel:[0,0,1]
	v_mul_f32_e32 v35, 0x3fb8aa3b, v34
	v_cmp_ngt_f32_e64 s4, 0xc2ce8ed0, v34
	s_delay_alu instid0(VALU_DEP_2) | instskip(SKIP_1) | instid1(VALU_DEP_1)
	v_fma_f32 v36, 0x3fb8aa3b, v34, -v35
	v_rndne_f32_e32 v37, v35
	v_dual_fmac_f32 v36, 0x32a5705f, v34 :: v_dual_sub_f32 v35, v35, v37
	v_cvt_i32_f32_e32 v37, v37
	s_delay_alu instid0(VALU_DEP_2) | instskip(NEXT) | instid1(VALU_DEP_1)
	v_dual_add_f32 v35, v35, v36 :: v_dual_sub_f32 v36, v116, v82
	v_exp_f32_e32 v35, v35
	s_delay_alu instid0(VALU_DEP_1) | instskip(SKIP_1) | instid1(VALU_DEP_2)
	v_mul_f32_e32 v38, 0x3fb8aa3b, v36
	v_cmp_ngt_f32_e64 s5, 0xc2ce8ed0, v36
	v_fma_f32 v39, 0x3fb8aa3b, v36, -v38
	v_rndne_f32_e32 v40, v38
	s_waitcnt_depctr 0xfff
	v_ldexp_f32 v35, v35, v37
	v_fmac_f32_e32 v39, 0x32a5705f, v36
	v_sub_f32_e32 v38, v38, v40
	s_delay_alu instid0(VALU_DEP_3) | instskip(SKIP_1) | instid1(VALU_DEP_3)
	v_cndmask_b32_e64 v35, 0, v35, s4
	v_cmp_nlt_f32_e64 s4, 0x42b17218, v34
	v_add_f32_e32 v38, v38, v39
	s_delay_alu instid0(VALU_DEP_2) | instskip(NEXT) | instid1(VALU_DEP_2)
	v_cndmask_b32_e64 v119, 0x7f800000, v35, s4
	v_exp_f32_e32 v37, v38
	v_cvt_i32_f32_e32 v38, v40
	s_waitcnt_depctr 0xfff
	v_ldexp_f32 v37, v37, v38
	s_delay_alu instid0(VALU_DEP_1)
	v_cndmask_b32_e64 v34, 0, v37, s5
	v_cmp_nlt_f32_e64 s5, 0x42b17218, v36
	ds_bpermute_b32 v36, v83, v119
	v_cndmask_b32_e64 v116, 0x7f800000, v34, s5
	v_add_nc_u32_e32 v95, 0x3000, v207
	ds_bpermute_b32 v34, v83, v116
	s_waitcnt lgkmcnt(0)
	v_cndmask_b32_e64 v35, v116, v34, s1
	v_cndmask_b32_e32 v34, v116, v34, vcc_lo
	s_delay_alu instid0(VALU_DEP_2) | instskip(NEXT) | instid1(VALU_DEP_2)
	v_cndmask_b32_e64 v37, v35, v119, s2
	v_cndmask_b32_e64 v38, v34, v119, s3
	v_cvt_f16_f32_e32 v35, v35
	v_cvt_f16_f32_e32 v34, v34
	s_delay_alu instid0(VALU_DEP_4) | instskip(NEXT) | instid1(VALU_DEP_4)
	v_cndmask_b32_e64 v37, v37, v36, s1
	v_cndmask_b32_e32 v36, v38, v36, vcc_lo
	s_delay_alu instid0(VALU_DEP_3) | instskip(NEXT) | instid1(VALU_DEP_3)
	v_pack_b32_f16 v34, v35, v34
	v_cvt_f16_f32_e32 v38, v37
	s_delay_alu instid0(VALU_DEP_3) | instskip(NEXT) | instid1(VALU_DEP_1)
	v_cvt_f16_f32_e32 v39, v36
	v_pack_b32_f16 v35, v38, v39
	v_dual_sub_f32 v38, v91, v82 :: v_dual_add_nc_u32 v91, 0x2c00, v207
	s_delay_alu instid0(VALU_DEP_1) | instskip(SKIP_1) | instid1(VALU_DEP_2)
	v_mul_f32_e32 v39, 0x3fb8aa3b, v38
	v_cmp_ngt_f32_e64 s4, 0xc2ce8ed0, v38
	v_fma_f32 v40, 0x3fb8aa3b, v38, -v39
	v_rndne_f32_e32 v41, v39
	s_delay_alu instid0(VALU_DEP_1) | instskip(NEXT) | instid1(VALU_DEP_1)
	v_dual_fmac_f32 v40, 0x32a5705f, v38 :: v_dual_sub_f32 v39, v39, v41
	v_add_f32_e32 v39, v39, v40
	v_cvt_i32_f32_e32 v40, v41
	s_delay_alu instid0(VALU_DEP_2) | instskip(SKIP_2) | instid1(VALU_DEP_1)
	v_exp_f32_e32 v39, v39
	s_waitcnt_depctr 0xfff
	v_ldexp_f32 v39, v39, v40
	v_cndmask_b32_e64 v39, 0, v39, s4
	v_cmp_nlt_f32_e64 s4, 0x42b17218, v38
	s_delay_alu instid0(VALU_DEP_1) | instskip(SKIP_4) | instid1(VALU_DEP_2)
	v_cndmask_b32_e64 v120, 0x7f800000, v39, s4
	ds_bpermute_b32 v38, v83, v120
	v_cndmask_b32_e64 v37, v37, v120, s2
	v_cndmask_b32_e64 v36, v36, v120, s3
	s_waitcnt lgkmcnt(0)
	v_cndmask_b32_e64 v37, v37, v38, s1
	s_delay_alu instid0(VALU_DEP_2) | instskip(NEXT) | instid1(VALU_DEP_2)
	v_cndmask_b32_e32 v38, v36, v38, vcc_lo
	v_cvt_f16_f32_e32 v36, v37
	s_delay_alu instid0(VALU_DEP_2) | instskip(NEXT) | instid1(VALU_DEP_1)
	v_cvt_f16_f32_e32 v39, v38
	v_pack_b32_f16 v36, v36, v39
	v_sub_f32_e32 v39, v88, v82
	s_delay_alu instid0(VALU_DEP_1) | instskip(SKIP_1) | instid1(VALU_DEP_2)
	v_mul_f32_e32 v40, 0x3fb8aa3b, v39
	v_cmp_ngt_f32_e64 s4, 0xc2ce8ed0, v39
	v_fma_f32 v41, 0x3fb8aa3b, v39, -v40
	v_rndne_f32_e32 v42, v40
	s_delay_alu instid0(VALU_DEP_1) | instskip(NEXT) | instid1(VALU_DEP_1)
	v_dual_fmac_f32 v41, 0x32a5705f, v39 :: v_dual_sub_f32 v40, v40, v42
	v_add_f32_e32 v40, v40, v41
	v_cvt_i32_f32_e32 v41, v42
	s_delay_alu instid0(VALU_DEP_2) | instskip(SKIP_2) | instid1(VALU_DEP_1)
	v_exp_f32_e32 v40, v40
	s_waitcnt_depctr 0xfff
	v_ldexp_f32 v40, v40, v41
	v_cndmask_b32_e64 v40, 0, v40, s4
	v_cmp_nlt_f32_e64 s4, 0x42b17218, v39
	s_delay_alu instid0(VALU_DEP_1) | instskip(SKIP_4) | instid1(VALU_DEP_2)
	v_cndmask_b32_e64 v88, 0x7f800000, v40, s4
	ds_bpermute_b32 v39, v83, v88
	v_cndmask_b32_e64 v37, v37, v88, s2
	v_cndmask_b32_e64 v38, v38, v88, s3
	s_waitcnt lgkmcnt(0)
	v_cndmask_b32_e64 v40, v37, v39, s1
	s_delay_alu instid0(VALU_DEP_2) | instskip(NEXT) | instid1(VALU_DEP_2)
	v_cndmask_b32_e32 v38, v38, v39, vcc_lo
	v_cvt_f16_f32_e32 v37, v40
	s_delay_alu instid0(VALU_DEP_2) | instskip(NEXT) | instid1(VALU_DEP_1)
	v_cvt_f16_f32_e32 v39, v38
	v_pack_b32_f16 v37, v37, v39
	v_sub_f32_e32 v39, v87, v82
	s_delay_alu instid0(VALU_DEP_1) | instskip(SKIP_1) | instid1(VALU_DEP_2)
	v_mul_f32_e32 v41, 0x3fb8aa3b, v39
	v_cmp_ngt_f32_e64 s4, 0xc2ce8ed0, v39
	v_fma_f32 v42, 0x3fb8aa3b, v39, -v41
	v_rndne_f32_e32 v43, v41
	s_delay_alu instid0(VALU_DEP_2) | instskip(NEXT) | instid1(VALU_DEP_2)
	v_fmac_f32_e32 v42, 0x32a5705f, v39
	v_sub_f32_e32 v41, v41, v43
	s_delay_alu instid0(VALU_DEP_1) | instskip(SKIP_1) | instid1(VALU_DEP_2)
	v_add_f32_e32 v41, v41, v42
	v_cvt_i32_f32_e32 v42, v43
	v_exp_f32_e32 v41, v41
	s_waitcnt_depctr 0xfff
	v_ldexp_f32 v41, v41, v42
	s_delay_alu instid0(VALU_DEP_1) | instskip(SKIP_1) | instid1(VALU_DEP_1)
	v_cndmask_b32_e64 v41, 0, v41, s4
	v_cmp_nlt_f32_e64 s4, 0x42b17218, v39
	v_cndmask_b32_e64 v121, 0x7f800000, v41, s4
	s_delay_alu instid0(VALU_DEP_1) | instskip(SKIP_4) | instid1(VALU_DEP_2)
	v_cndmask_b32_e64 v39, v40, v121, s2
	ds_bpermute_b32 v40, v83, v121
	v_cndmask_b32_e64 v38, v38, v121, s3
	s_waitcnt lgkmcnt(0)
	v_cndmask_b32_e64 v39, v39, v40, s1
	v_cndmask_b32_e32 v40, v38, v40, vcc_lo
	s_delay_alu instid0(VALU_DEP_2) | instskip(NEXT) | instid1(VALU_DEP_2)
	v_cvt_f16_f32_e32 v38, v39
	v_cvt_f16_f32_e32 v41, v40
	s_delay_alu instid0(VALU_DEP_1) | instskip(SKIP_1) | instid1(VALU_DEP_1)
	v_pack_b32_f16 v38, v38, v41
	v_sub_f32_e32 v41, v86, v82
	v_mul_f32_e32 v42, 0x3fb8aa3b, v41
	v_cmp_ngt_f32_e64 s4, 0xc2ce8ed0, v41
	s_delay_alu instid0(VALU_DEP_2) | instskip(SKIP_1) | instid1(VALU_DEP_1)
	v_fma_f32 v43, 0x3fb8aa3b, v41, -v42
	v_rndne_f32_e32 v44, v42
	v_dual_fmac_f32 v43, 0x32a5705f, v41 :: v_dual_sub_f32 v42, v42, v44
	s_delay_alu instid0(VALU_DEP_1) | instskip(SKIP_1) | instid1(VALU_DEP_2)
	v_add_f32_e32 v42, v42, v43
	v_cvt_i32_f32_e32 v43, v44
	v_exp_f32_e32 v42, v42
	s_waitcnt_depctr 0xfff
	v_ldexp_f32 v42, v42, v43
	s_delay_alu instid0(VALU_DEP_1) | instskip(SKIP_1) | instid1(VALU_DEP_1)
	v_cndmask_b32_e64 v42, 0, v42, s4
	v_cmp_nlt_f32_e64 s4, 0x42b17218, v41
	v_cndmask_b32_e64 v122, 0x7f800000, v42, s4
	ds_bpermute_b32 v41, v83, v122
	v_cndmask_b32_e64 v39, v39, v122, s2
	v_cndmask_b32_e64 v40, v40, v122, s3
	s_waitcnt lgkmcnt(0)
	s_delay_alu instid0(VALU_DEP_2) | instskip(NEXT) | instid1(VALU_DEP_2)
	v_cndmask_b32_e64 v42, v39, v41, s1
	v_cndmask_b32_e32 v40, v40, v41, vcc_lo
	s_delay_alu instid0(VALU_DEP_2) | instskip(NEXT) | instid1(VALU_DEP_2)
	v_cvt_f16_f32_e32 v39, v42
	v_cvt_f16_f32_e32 v41, v40
	s_delay_alu instid0(VALU_DEP_1) | instskip(SKIP_1) | instid1(VALU_DEP_1)
	v_pack_b32_f16 v39, v39, v41
	v_sub_f32_e32 v41, v85, v82
	v_mul_f32_e32 v43, 0x3fb8aa3b, v41
	v_cmp_ngt_f32_e64 s4, 0xc2ce8ed0, v41
	s_delay_alu instid0(VALU_DEP_2) | instskip(SKIP_1) | instid1(VALU_DEP_2)
	v_fma_f32 v44, 0x3fb8aa3b, v41, -v43
	v_rndne_f32_e32 v45, v43
	v_fmac_f32_e32 v44, 0x32a5705f, v41
	s_delay_alu instid0(VALU_DEP_2) | instskip(NEXT) | instid1(VALU_DEP_1)
	v_sub_f32_e32 v43, v43, v45
	v_add_f32_e32 v43, v43, v44
	v_cvt_i32_f32_e32 v44, v45
	s_delay_alu instid0(VALU_DEP_2) | instskip(SKIP_2) | instid1(VALU_DEP_1)
	v_exp_f32_e32 v43, v43
	s_waitcnt_depctr 0xfff
	v_ldexp_f32 v43, v43, v44
	v_cndmask_b32_e64 v43, 0, v43, s4
	v_cmp_nlt_f32_e64 s4, 0x42b17218, v41
	s_delay_alu instid0(VALU_DEP_1) | instskip(NEXT) | instid1(VALU_DEP_1)
	v_cndmask_b32_e64 v123, 0x7f800000, v43, s4
	v_cndmask_b32_e64 v41, v42, v123, s2
	ds_bpermute_b32 v42, v83, v123
	v_cndmask_b32_e64 v40, v40, v123, s3
	s_waitcnt lgkmcnt(0)
	v_cndmask_b32_e64 v41, v41, v42, s1
	s_delay_alu instid0(VALU_DEP_2) | instskip(NEXT) | instid1(VALU_DEP_2)
	v_cndmask_b32_e32 v42, v40, v42, vcc_lo
	v_cvt_f16_f32_e32 v40, v41
	s_delay_alu instid0(VALU_DEP_2) | instskip(NEXT) | instid1(VALU_DEP_1)
	v_cvt_f16_f32_e32 v43, v42
	v_pack_b32_f16 v40, v40, v43
	v_sub_f32_e32 v43, v84, v82
	s_delay_alu instid0(VALU_DEP_1) | instskip(SKIP_1) | instid1(VALU_DEP_2)
	v_mul_f32_e32 v44, 0x3fb8aa3b, v43
	v_cmp_ngt_f32_e64 s4, 0xc2ce8ed0, v43
	v_fma_f32 v45, 0x3fb8aa3b, v43, -v44
	v_rndne_f32_e32 v46, v44
	s_delay_alu instid0(VALU_DEP_1) | instskip(NEXT) | instid1(VALU_DEP_1)
	v_dual_fmac_f32 v45, 0x32a5705f, v43 :: v_dual_sub_f32 v44, v44, v46
	v_add_f32_e32 v44, v44, v45
	v_cvt_i32_f32_e32 v45, v46
	s_delay_alu instid0(VALU_DEP_2) | instskip(SKIP_2) | instid1(VALU_DEP_1)
	v_exp_f32_e32 v44, v44
	s_waitcnt_depctr 0xfff
	v_ldexp_f32 v44, v44, v45
	v_cndmask_b32_e64 v44, 0, v44, s4
	v_cmp_nlt_f32_e64 s4, 0x42b17218, v43
	s_delay_alu instid0(VALU_DEP_1) | instskip(SKIP_4) | instid1(VALU_DEP_2)
	v_cndmask_b32_e64 v124, 0x7f800000, v44, s4
	ds_bpermute_b32 v43, v83, v124
	v_cndmask_b32_e64 v41, v41, v124, s2
	v_cndmask_b32_e64 v42, v42, v124, s3
	s_waitcnt lgkmcnt(0)
	v_cndmask_b32_e64 v41, v41, v43, s1
	s_delay_alu instid0(VALU_DEP_2) | instskip(NEXT) | instid1(VALU_DEP_2)
	v_cndmask_b32_e32 v42, v42, v43, vcc_lo
	v_cvt_f16_f32_e32 v41, v41
	s_delay_alu instid0(VALU_DEP_2) | instskip(NEXT) | instid1(VALU_DEP_1)
	v_cvt_f16_f32_e32 v42, v42
	v_pack_b32_f16 v41, v41, v42
	v_add_nc_u32_e32 v42, 0x300, v210
	ds_load_2addr_b32 v[50:51], v42 offset0:16 offset1:224
	ds_load_2addr_b32 v[52:53], v80 offset0:196 offset1:212
	;; [unrolled: 1-line block ×20, first 2 shown]
	s_waitcnt lgkmcnt(18)
	v_perm_b32 v44, v52, v50, 0x5040100
	s_waitcnt lgkmcnt(17)
	v_perm_b32 v46, v55, v51, 0x5040100
	;; [unrolled: 2-line block ×8, first 2 shown]
	s_delay_alu instid0(VALU_DEP_1)
	v_wmma_f16_16x16x16_f16 v[0:7], v[42:49], v[34:41], v[0:7]
	v_add_nc_u32_e32 v44, 0x300, v214
	s_waitcnt lgkmcnt(5)
	v_perm_b32 v42, v78, v57, 0x5040100
	s_waitcnt lgkmcnt(4)
	v_perm_b32 v43, v80, v61, 0x5040100
	;; [unrolled: 2-line block ×4, first 2 shown]
	ds_load_2addr_b32 v[84:85], v44 offset0:16 offset1:224
	v_perm_b32 v48, v73, v144, 0x5040100
	s_waitcnt lgkmcnt(1)
	v_perm_b32 v49, v77, v95, 0x5040100
	s_waitcnt lgkmcnt(0)
	v_perm_b32 v44, v53, v84, 0x5040100
	v_perm_b32 v46, v91, v85, 0x5040100
	s_delay_alu instid0(VALU_DEP_1)
	v_wmma_f16_16x16x16_f16 v[16:23], v[42:49], v[34:41], v[16:23]
	v_add_nc_u32_e32 v44, 0x300, v218
	v_perm_b32 v42, v79, v58, 0x5040100
	v_perm_b32 v43, v81, v62, 0x5040100
	;; [unrolled: 1-line block ×4, first 2 shown]
	ds_load_2addr_b32 v[97:98], v44 offset0:16 offset1:224
	v_perm_b32 v48, v74, v32, 0x5040100
	v_perm_b32 v49, v33, v96, 0x5040100
	s_waitcnt lgkmcnt(0)
	s_barrier
	buffer_gl0_inv
	v_perm_b32 v44, v64, v97, 0x5040100
	v_perm_b32 v46, v92, v98, 0x5040100
	s_delay_alu instid0(VALU_DEP_1)
	v_wmma_f16_16x16x16_f16 v[8:15], v[42:49], v[34:41], v[8:15]
	v_perm_b32 v44, v52, v50, 0x7060302
	v_perm_b32 v46, v55, v51, 0x7060302
	;; [unrolled: 1-line block ×8, first 2 shown]
	s_delay_alu instid0(VALU_DEP_1)
	v_wmma_f16_16x16x16_f16 v[0:7], v[42:49], v[34:41], v[0:7] op_sel:[0,0,1]
	v_perm_b32 v48, v73, v144, 0x7060302
	v_perm_b32 v42, v78, v57, 0x7060302
	;; [unrolled: 1-line block ×8, first 2 shown]
	s_delay_alu instid0(VALU_DEP_1)
	v_wmma_f16_16x16x16_f16 v[16:23], v[42:49], v[34:41], v[16:23] op_sel:[0,0,1]
	v_perm_b32 v48, v74, v32, 0x7060302
	v_add_f32_e32 v32, v89, v90
	v_perm_b32 v42, v79, v58, 0x7060302
	v_perm_b32 v43, v81, v62, 0x7060302
	;; [unrolled: 1-line block ×4, first 2 shown]
	v_add_f32_e32 v32, v117, v32
	v_perm_b32 v46, v92, v98, 0x7060302
	v_perm_b32 v47, v94, v70, 0x7060302
	;; [unrolled: 1-line block ×3, first 2 shown]
	s_delay_alu instid0(VALU_DEP_4) | instskip(NEXT) | instid1(VALU_DEP_2)
	v_add_f32_e32 v32, v137, v32
	v_wmma_f16_16x16x16_f16 v[8:15], v[42:49], v[34:41], v[8:15] op_sel:[0,0,1]
	s_delay_alu instid0(VALU_DEP_2) | instskip(NEXT) | instid1(VALU_DEP_1)
	v_add_f32_e32 v32, v138, v32
	v_add_f32_e32 v32, v139, v32
	s_delay_alu instid0(VALU_DEP_1) | instskip(NEXT) | instid1(VALU_DEP_1)
	v_add_f32_e32 v32, v140, v32
	v_add_f32_e32 v32, v141, v32
	s_delay_alu instid0(VALU_DEP_1) | instskip(NEXT) | instid1(VALU_DEP_1)
	;; [unrolled: 3-line block ×13, first 2 shown]
	v_add_f32_e32 v24, v123, v24
	v_add_f32_e32 v24, v124, v24
	s_delay_alu instid0(VALU_DEP_1)
	v_fmac_f32_e32 v24, v181, v136
	ds_bpermute_b32 v25, v83, v24
	s_waitcnt lgkmcnt(0)
	v_add_f32_e32 v24, v24, v25
	s_cbranch_scc1 .LBB14_352
; %bb.351:                              ;   in Loop: Header=BB14_13 Depth=1
	scratch_load_b32 v25, off, off offset:144 ; 4-byte Folded Reload
	s_waitcnt vmcnt(0)
	v_dual_max_f32 v26, v82, v82 :: v_dual_lshlrev_b32 v25, 2, v25
	global_load_b32 v25, v25, s[72:73]
	s_waitcnt vmcnt(0)
	v_max_f32_e32 v27, v25, v25
	s_delay_alu instid0(VALU_DEP_1) | instskip(NEXT) | instid1(VALU_DEP_1)
	v_max_f32_e32 v26, v26, v27
	v_sub_f32_e32 v25, v25, v26
	s_delay_alu instid0(VALU_DEP_1) | instskip(SKIP_2) | instid1(VALU_DEP_3)
	v_mul_f32_e32 v31, 0x3fb8aa3b, v25
	v_sub_f32_e32 v27, v82, v26
	v_mov_b32_e32 v82, v26
	v_rndne_f32_e32 v33, v31
	s_delay_alu instid0(VALU_DEP_3) | instskip(NEXT) | instid1(VALU_DEP_1)
	v_mul_f32_e32 v28, 0x3fb8aa3b, v27
	v_fma_f32 v29, 0x3fb8aa3b, v27, -v28
	v_rndne_f32_e32 v30, v28
	s_delay_alu instid0(VALU_DEP_1) | instskip(SKIP_1) | instid1(VALU_DEP_2)
	v_dual_fmac_f32 v29, 0x32a5705f, v27 :: v_dual_sub_f32 v28, v28, v30
	v_cvt_i32_f32_e32 v30, v30
	v_add_f32_e32 v28, v28, v29
	v_cmp_ngt_f32_e32 vcc_lo, 0xc2ce8ed0, v27
	v_sub_f32_e32 v29, v31, v33
	s_delay_alu instid0(VALU_DEP_3) | instskip(SKIP_3) | instid1(VALU_DEP_2)
	v_exp_f32_e32 v28, v28
	s_waitcnt_depctr 0xfff
	v_ldexp_f32 v28, v28, v30
	v_cvt_i32_f32_e32 v30, v33
	v_cndmask_b32_e32 v28, 0, v28, vcc_lo
	v_fma_f32 v32, 0x3fb8aa3b, v25, -v31
	v_cmp_nlt_f32_e32 vcc_lo, 0x42b17218, v27
	s_delay_alu instid0(VALU_DEP_2) | instskip(NEXT) | instid1(VALU_DEP_4)
	v_fmac_f32_e32 v32, 0x32a5705f, v25
	v_cndmask_b32_e32 v28, 0x7f800000, v28, vcc_lo
	v_cmp_ngt_f32_e32 vcc_lo, 0xc2ce8ed0, v25
	s_delay_alu instid0(VALU_DEP_3) | instskip(NEXT) | instid1(VALU_DEP_1)
	v_add_f32_e32 v29, v29, v32
	v_exp_f32_e32 v29, v29
	s_waitcnt_depctr 0xfff
	v_ldexp_f32 v29, v29, v30
	s_delay_alu instid0(VALU_DEP_1) | instskip(SKIP_3) | instid1(VALU_DEP_2)
	v_cndmask_b32_e32 v29, 0, v29, vcc_lo
	v_cmp_le_f32_e32 vcc_lo, 0xc1a00000, v27
	v_cndmask_b32_e32 v27, 0, v28, vcc_lo
	v_cmp_nlt_f32_e32 vcc_lo, 0x42b17218, v25
	v_cvt_f16_f32_e32 v28, v27
	v_cndmask_b32_e32 v25, 0x7f800000, v29, vcc_lo
	s_delay_alu instid0(VALU_DEP_2) | instskip(NEXT) | instid1(VALU_DEP_2)
	v_pk_mul_f16 v0, v28, v0 op_sel_hi:[0,1]
	v_fmac_f32_e32 v25, v24, v27
	v_pk_mul_f16 v1, v28, v1 op_sel_hi:[0,1]
	v_pk_mul_f16 v2, v28, v2 op_sel_hi:[0,1]
	;; [unrolled: 1-line block ×4, first 2 shown]
	v_mov_b32_e32 v24, v25
	v_pk_mul_f16 v5, v28, v5 op_sel_hi:[0,1]
	v_pk_mul_f16 v6, v28, v6 op_sel_hi:[0,1]
	;; [unrolled: 1-line block ×19, first 2 shown]
.LBB14_352:                             ;   in Loop: Header=BB14_13 Depth=1
	s_clause 0x1
	scratch_load_b64 v[26:27], off, off offset:120
	scratch_load_b64 v[27:28], off, off offset:132
	s_mov_b32 s1, exec_lo
	v_readlane_b32 s2, v255, 20
	s_delay_alu instid0(VALU_DEP_1) | instskip(NEXT) | instid1(SALU_CYCLE_1)
	s_and_b32 s2, s1, s2
	s_mov_b32 exec_lo, s2
	s_cbranch_execz .LBB14_354
; %bb.353:                              ;   in Loop: Header=BB14_13 Depth=1
	scratch_load_b32 v25, off, off offset:440 ; 4-byte Folded Reload
	s_waitcnt vmcnt(0)
	ds_store_2addr_b32 v25, v82, v24 offset0:48 offset1:49
.LBB14_354:                             ;   in Loop: Header=BB14_13 Depth=1
	s_or_b32 exec_lo, exec_lo, s1
	s_waitcnt vmcnt(0) lgkmcnt(0)
	s_barrier
	buffer_gl0_inv
	scratch_load_b32 v24, off, off offset:128 ; 4-byte Folded Reload
	s_waitcnt vmcnt(0)
	ds_store_2addr_b32 v24, v0, v1 offset1:2
	ds_store_2addr_b32 v24, v2, v3 offset0:4 offset1:6
	ds_store_2addr_b32 v24, v4, v5 offset0:8 offset1:10
	;; [unrolled: 1-line block ×10, first 2 shown]
	v_mov_b32_e32 v0, 50
	ds_store_2addr_b32 v24, v14, v15 offset0:44 offset1:46
	s_waitcnt lgkmcnt(0)
	s_barrier
	buffer_gl0_inv
	s_and_saveexec_b32 s2, s53
	s_cbranch_execz .LBB14_356
; %bb.355:                              ;   in Loop: Header=BB14_13 Depth=1
	s_clause 0x1
	scratch_load_b32 v1, off, off offset:292
	scratch_load_b32 v2, off, off offset:40
	ds_load_b32 v0, v152
	s_waitcnt vmcnt(1)
	ds_load_b32 v3, v1 offset:196
	s_waitcnt lgkmcnt(1)
	v_lshrrev_b32_e32 v1, 16, v0
	v_cvt_f32_f16_e32 v0, v0
	s_delay_alu instid0(VALU_DEP_2) | instskip(NEXT) | instid1(VALU_DEP_1)
	v_cvt_f32_f16_e32 v1, v1
	v_dual_add_f32 v4, 0, v0 :: v_dual_add_f32 v5, 0, v1
	s_waitcnt lgkmcnt(0)
	s_delay_alu instid0(VALU_DEP_1) | instskip(NEXT) | instid1(VALU_DEP_2)
	v_div_scale_f32 v6, null, v3, v3, v4
	v_div_scale_f32 v7, null, v3, v3, v5
	v_div_scale_f32 v10, vcc_lo, v4, v3, v4
	s_delay_alu instid0(VALU_DEP_3) | instskip(NEXT) | instid1(VALU_DEP_2)
	v_rcp_f32_e32 v8, v6
	v_rcp_f32_e32 v9, v7
	v_div_scale_f32 v11, s1, v5, v3, v5
	s_waitcnt_depctr 0xfff
	v_fma_f32 v0, -v6, v8, 1.0
	v_fma_f32 v1, -v7, v9, 1.0
	s_delay_alu instid0(VALU_DEP_1) | instskip(SKIP_2) | instid1(VALU_DEP_2)
	v_dual_fmac_f32 v8, v0, v8 :: v_dual_fmac_f32 v9, v1, v9
	s_waitcnt vmcnt(0)
	v_mad_u64_u32 v[0:1], null, v2, s9, v[146:147]
	v_dual_mul_f32 v12, v10, v8 :: v_dual_mul_f32 v13, v11, v9
	s_delay_alu instid0(VALU_DEP_2) | instskip(NEXT) | instid1(VALU_DEP_2)
	v_mad_u64_u32 v[1:2], null, v0, 48, v[161:162]
	v_fma_f32 v14, -v6, v12, v10
	s_delay_alu instid0(VALU_DEP_3) | instskip(NEXT) | instid1(VALU_DEP_1)
	v_fma_f32 v15, -v7, v13, v11
	v_dual_fmac_f32 v12, v14, v8 :: v_dual_fmac_f32 v13, v15, v9
	s_delay_alu instid0(VALU_DEP_4) | instskip(NEXT) | instid1(VALU_DEP_2)
	v_ashrrev_i32_e32 v2, 31, v1
	v_fma_f32 v0, -v6, v12, v10
	s_delay_alu instid0(VALU_DEP_3) | instskip(NEXT) | instid1(VALU_DEP_2)
	v_fma_f32 v6, -v7, v13, v11
	v_div_fmas_f32 v7, v0, v8, v12
	s_delay_alu instid0(VALU_DEP_4) | instskip(SKIP_1) | instid1(VALU_DEP_3)
	v_lshlrev_b64 v[0:1], 3, v[1:2]
	s_mov_b32 vcc_lo, s1
	v_div_fmas_f32 v6, v6, v9, v13
	s_delay_alu instid0(VALU_DEP_3) | instskip(NEXT) | instid1(VALU_DEP_3)
	v_div_fixup_f32 v2, v7, v3, v4
	v_add_co_u32 v4, vcc_lo, s49, v0
	s_delay_alu instid0(VALU_DEP_3)
	v_div_fixup_f32 v3, v6, v3, v5
	v_add_co_ci_u32_e32 v5, vcc_lo, s67, v1, vcc_lo
	v_mov_b32_e32 v0, 0
	global_store_b64 v[4:5], v[2:3], off
.LBB14_356:                             ;   in Loop: Header=BB14_13 Depth=1
	s_or_b32 exec_lo, exec_lo, s2
	s_mov_b32 s1, -1
	s_mov_b32 s2, exec_lo
	v_cmpx_gt_i32_e32 50, v0
; %bb.357:                              ;   in Loop: Header=BB14_13 Depth=1
	v_cmp_eq_u32_e32 vcc_lo, 0, v0
	s_or_not1_b32 s1, vcc_lo, exec_lo
; %bb.358:                              ;   in Loop: Header=BB14_13 Depth=1
	s_or_b32 exec_lo, exec_lo, s2
	s_and_saveexec_b32 s2, s1
	s_cbranch_execz .LBB14_431
; %bb.359:                              ;   in Loop: Header=BB14_13 Depth=1
	v_mov_b32_e32 v0, 50
	s_and_saveexec_b32 s3, s52
	s_cbranch_execz .LBB14_361
; %bb.360:                              ;   in Loop: Header=BB14_13 Depth=1
	s_clause 0x1
	scratch_load_b32 v1, off, off offset:292
	scratch_load_b32 v2, off, off offset:44
	ds_load_b32 v0, v198
	s_waitcnt vmcnt(1)
	ds_load_b32 v3, v1 offset:1028
	s_waitcnt lgkmcnt(1)
	v_lshrrev_b32_e32 v1, 16, v0
	v_cvt_f32_f16_e32 v0, v0
	s_delay_alu instid0(VALU_DEP_2) | instskip(NEXT) | instid1(VALU_DEP_1)
	v_cvt_f32_f16_e32 v1, v1
	v_dual_add_f32 v4, 0, v0 :: v_dual_add_f32 v5, 0, v1
	s_waitcnt lgkmcnt(0)
	s_delay_alu instid0(VALU_DEP_1) | instskip(NEXT) | instid1(VALU_DEP_2)
	v_div_scale_f32 v6, null, v3, v3, v4
	v_div_scale_f32 v7, null, v3, v3, v5
	v_div_scale_f32 v10, vcc_lo, v4, v3, v4
	s_delay_alu instid0(VALU_DEP_3) | instskip(NEXT) | instid1(VALU_DEP_2)
	v_rcp_f32_e32 v8, v6
	v_rcp_f32_e32 v9, v7
	v_div_scale_f32 v11, s1, v5, v3, v5
	s_waitcnt_depctr 0xfff
	v_fma_f32 v0, -v6, v8, 1.0
	v_fma_f32 v1, -v7, v9, 1.0
	s_delay_alu instid0(VALU_DEP_1) | instskip(SKIP_2) | instid1(VALU_DEP_2)
	v_dual_fmac_f32 v8, v0, v8 :: v_dual_fmac_f32 v9, v1, v9
	s_waitcnt vmcnt(0)
	v_mad_u64_u32 v[0:1], null, v2, s9, v[146:147]
	v_dual_mul_f32 v12, v10, v8 :: v_dual_mul_f32 v13, v11, v9
	s_delay_alu instid0(VALU_DEP_2) | instskip(NEXT) | instid1(VALU_DEP_2)
	v_mad_u64_u32 v[1:2], null, v0, 48, v[161:162]
	v_fma_f32 v14, -v6, v12, v10
	s_delay_alu instid0(VALU_DEP_3) | instskip(NEXT) | instid1(VALU_DEP_1)
	v_fma_f32 v15, -v7, v13, v11
	v_dual_fmac_f32 v12, v14, v8 :: v_dual_fmac_f32 v13, v15, v9
	s_delay_alu instid0(VALU_DEP_4) | instskip(NEXT) | instid1(VALU_DEP_2)
	v_ashrrev_i32_e32 v2, 31, v1
	v_fma_f32 v0, -v6, v12, v10
	s_delay_alu instid0(VALU_DEP_3) | instskip(NEXT) | instid1(VALU_DEP_2)
	v_fma_f32 v6, -v7, v13, v11
	v_div_fmas_f32 v7, v0, v8, v12
	s_delay_alu instid0(VALU_DEP_4) | instskip(SKIP_1) | instid1(VALU_DEP_3)
	v_lshlrev_b64 v[0:1], 3, v[1:2]
	s_mov_b32 vcc_lo, s1
	v_div_fmas_f32 v6, v6, v9, v13
	s_delay_alu instid0(VALU_DEP_3) | instskip(NEXT) | instid1(VALU_DEP_3)
	v_div_fixup_f32 v2, v7, v3, v4
	v_add_co_u32 v4, vcc_lo, s49, v0
	s_delay_alu instid0(VALU_DEP_3)
	v_div_fixup_f32 v3, v6, v3, v5
	v_add_co_ci_u32_e32 v5, vcc_lo, s67, v1, vcc_lo
	v_mov_b32_e32 v0, 0
	global_store_b64 v[4:5], v[2:3], off
.LBB14_361:                             ;   in Loop: Header=BB14_13 Depth=1
	s_or_b32 exec_lo, exec_lo, s3
	s_mov_b32 s1, -1
	s_mov_b32 s3, exec_lo
	v_cmpx_gt_i32_e32 50, v0
; %bb.362:                              ;   in Loop: Header=BB14_13 Depth=1
	v_cmp_eq_u32_e32 vcc_lo, 0, v0
	s_or_not1_b32 s1, vcc_lo, exec_lo
; %bb.363:                              ;   in Loop: Header=BB14_13 Depth=1
	s_or_b32 exec_lo, exec_lo, s3
	s_delay_alu instid0(SALU_CYCLE_1)
	s_and_b32 exec_lo, exec_lo, s1
	s_cbranch_execz .LBB14_431
; %bb.364:                              ;   in Loop: Header=BB14_13 Depth=1
	v_mov_b32_e32 v0, 50
	s_and_saveexec_b32 s3, s51
	s_cbranch_execz .LBB14_366
; %bb.365:                              ;   in Loop: Header=BB14_13 Depth=1
	s_clause 0x1
	scratch_load_b32 v1, off, off offset:292
	scratch_load_b32 v2, off, off offset:48
	ds_load_b32 v0, v229
	s_waitcnt vmcnt(1)
	ds_load_b32 v3, v1 offset:1860
	s_waitcnt lgkmcnt(1)
	v_lshrrev_b32_e32 v1, 16, v0
	v_cvt_f32_f16_e32 v0, v0
	s_delay_alu instid0(VALU_DEP_2) | instskip(NEXT) | instid1(VALU_DEP_1)
	v_cvt_f32_f16_e32 v1, v1
	v_dual_add_f32 v4, 0, v0 :: v_dual_add_f32 v5, 0, v1
	s_waitcnt lgkmcnt(0)
	s_delay_alu instid0(VALU_DEP_1) | instskip(NEXT) | instid1(VALU_DEP_2)
	v_div_scale_f32 v6, null, v3, v3, v4
	v_div_scale_f32 v7, null, v3, v3, v5
	v_div_scale_f32 v10, vcc_lo, v4, v3, v4
	s_delay_alu instid0(VALU_DEP_3) | instskip(NEXT) | instid1(VALU_DEP_2)
	v_rcp_f32_e32 v8, v6
	v_rcp_f32_e32 v9, v7
	v_div_scale_f32 v11, s1, v5, v3, v5
	s_waitcnt_depctr 0xfff
	v_fma_f32 v0, -v6, v8, 1.0
	v_fma_f32 v1, -v7, v9, 1.0
	s_delay_alu instid0(VALU_DEP_1) | instskip(SKIP_2) | instid1(VALU_DEP_2)
	v_dual_fmac_f32 v8, v0, v8 :: v_dual_fmac_f32 v9, v1, v9
	s_waitcnt vmcnt(0)
	v_mad_u64_u32 v[0:1], null, v2, s9, v[146:147]
	v_dual_mul_f32 v12, v10, v8 :: v_dual_mul_f32 v13, v11, v9
	s_delay_alu instid0(VALU_DEP_2) | instskip(NEXT) | instid1(VALU_DEP_2)
	v_mad_u64_u32 v[1:2], null, v0, 48, v[161:162]
	v_fma_f32 v14, -v6, v12, v10
	s_delay_alu instid0(VALU_DEP_3) | instskip(NEXT) | instid1(VALU_DEP_1)
	v_fma_f32 v15, -v7, v13, v11
	v_dual_fmac_f32 v12, v14, v8 :: v_dual_fmac_f32 v13, v15, v9
	s_delay_alu instid0(VALU_DEP_4) | instskip(NEXT) | instid1(VALU_DEP_2)
	v_ashrrev_i32_e32 v2, 31, v1
	v_fma_f32 v0, -v6, v12, v10
	s_delay_alu instid0(VALU_DEP_3) | instskip(NEXT) | instid1(VALU_DEP_2)
	v_fma_f32 v6, -v7, v13, v11
	v_div_fmas_f32 v7, v0, v8, v12
	s_delay_alu instid0(VALU_DEP_4) | instskip(SKIP_1) | instid1(VALU_DEP_3)
	v_lshlrev_b64 v[0:1], 3, v[1:2]
	s_mov_b32 vcc_lo, s1
	v_div_fmas_f32 v6, v6, v9, v13
	s_delay_alu instid0(VALU_DEP_3) | instskip(NEXT) | instid1(VALU_DEP_3)
	v_div_fixup_f32 v2, v7, v3, v4
	v_add_co_u32 v4, vcc_lo, s49, v0
	s_delay_alu instid0(VALU_DEP_3)
	v_div_fixup_f32 v3, v6, v3, v5
	v_add_co_ci_u32_e32 v5, vcc_lo, s67, v1, vcc_lo
	v_mov_b32_e32 v0, 0
	global_store_b64 v[4:5], v[2:3], off
.LBB14_366:                             ;   in Loop: Header=BB14_13 Depth=1
	s_or_b32 exec_lo, exec_lo, s3
	s_mov_b32 s1, -1
	s_mov_b32 s3, exec_lo
	v_cmpx_gt_i32_e32 50, v0
; %bb.367:                              ;   in Loop: Header=BB14_13 Depth=1
	v_cmp_eq_u32_e32 vcc_lo, 0, v0
	s_or_not1_b32 s1, vcc_lo, exec_lo
; %bb.368:                              ;   in Loop: Header=BB14_13 Depth=1
	s_or_b32 exec_lo, exec_lo, s3
	s_delay_alu instid0(SALU_CYCLE_1)
	s_and_b32 exec_lo, exec_lo, s1
	s_cbranch_execz .LBB14_431
; %bb.369:                              ;   in Loop: Header=BB14_13 Depth=1
	v_mov_b32_e32 v0, 50
	s_and_saveexec_b32 s3, s50
	s_cbranch_execz .LBB14_371
; %bb.370:                              ;   in Loop: Header=BB14_13 Depth=1
	s_clause 0x1
	scratch_load_b32 v1, off, off offset:292
	scratch_load_b32 v2, off, off offset:52
	ds_load_b32 v0, v232
	s_waitcnt vmcnt(1)
	ds_load_b32 v3, v1 offset:2692
	s_waitcnt lgkmcnt(1)
	v_lshrrev_b32_e32 v1, 16, v0
	v_cvt_f32_f16_e32 v0, v0
	s_delay_alu instid0(VALU_DEP_2) | instskip(NEXT) | instid1(VALU_DEP_1)
	v_cvt_f32_f16_e32 v1, v1
	v_dual_add_f32 v4, 0, v0 :: v_dual_add_f32 v5, 0, v1
	s_waitcnt lgkmcnt(0)
	s_delay_alu instid0(VALU_DEP_1) | instskip(NEXT) | instid1(VALU_DEP_2)
	v_div_scale_f32 v6, null, v3, v3, v4
	v_div_scale_f32 v7, null, v3, v3, v5
	v_div_scale_f32 v10, vcc_lo, v4, v3, v4
	s_delay_alu instid0(VALU_DEP_3) | instskip(NEXT) | instid1(VALU_DEP_2)
	v_rcp_f32_e32 v8, v6
	v_rcp_f32_e32 v9, v7
	v_div_scale_f32 v11, s1, v5, v3, v5
	s_waitcnt_depctr 0xfff
	v_fma_f32 v0, -v6, v8, 1.0
	v_fma_f32 v1, -v7, v9, 1.0
	s_delay_alu instid0(VALU_DEP_1) | instskip(SKIP_2) | instid1(VALU_DEP_2)
	v_dual_fmac_f32 v8, v0, v8 :: v_dual_fmac_f32 v9, v1, v9
	s_waitcnt vmcnt(0)
	v_mad_u64_u32 v[0:1], null, v2, s9, v[146:147]
	v_dual_mul_f32 v12, v10, v8 :: v_dual_mul_f32 v13, v11, v9
	s_delay_alu instid0(VALU_DEP_2) | instskip(NEXT) | instid1(VALU_DEP_2)
	v_mad_u64_u32 v[1:2], null, v0, 48, v[161:162]
	v_fma_f32 v14, -v6, v12, v10
	s_delay_alu instid0(VALU_DEP_3) | instskip(NEXT) | instid1(VALU_DEP_1)
	v_fma_f32 v15, -v7, v13, v11
	v_dual_fmac_f32 v12, v14, v8 :: v_dual_fmac_f32 v13, v15, v9
	s_delay_alu instid0(VALU_DEP_4) | instskip(NEXT) | instid1(VALU_DEP_2)
	v_ashrrev_i32_e32 v2, 31, v1
	v_fma_f32 v0, -v6, v12, v10
	s_delay_alu instid0(VALU_DEP_3) | instskip(NEXT) | instid1(VALU_DEP_2)
	v_fma_f32 v6, -v7, v13, v11
	v_div_fmas_f32 v7, v0, v8, v12
	s_delay_alu instid0(VALU_DEP_4) | instskip(SKIP_1) | instid1(VALU_DEP_3)
	v_lshlrev_b64 v[0:1], 3, v[1:2]
	s_mov_b32 vcc_lo, s1
	v_div_fmas_f32 v6, v6, v9, v13
	s_delay_alu instid0(VALU_DEP_3) | instskip(NEXT) | instid1(VALU_DEP_3)
	v_div_fixup_f32 v2, v7, v3, v4
	v_add_co_u32 v4, vcc_lo, s49, v0
	s_delay_alu instid0(VALU_DEP_3)
	v_div_fixup_f32 v3, v6, v3, v5
	v_add_co_ci_u32_e32 v5, vcc_lo, s67, v1, vcc_lo
	v_mov_b32_e32 v0, 0
	global_store_b64 v[4:5], v[2:3], off
.LBB14_371:                             ;   in Loop: Header=BB14_13 Depth=1
	s_or_b32 exec_lo, exec_lo, s3
	s_mov_b32 s1, -1
	s_mov_b32 s3, exec_lo
	v_cmpx_gt_i32_e32 50, v0
; %bb.372:                              ;   in Loop: Header=BB14_13 Depth=1
	v_cmp_eq_u32_e32 vcc_lo, 0, v0
	s_or_not1_b32 s1, vcc_lo, exec_lo
; %bb.373:                              ;   in Loop: Header=BB14_13 Depth=1
	s_or_b32 exec_lo, exec_lo, s3
	s_delay_alu instid0(SALU_CYCLE_1)
	s_and_b32 exec_lo, exec_lo, s1
	s_cbranch_execz .LBB14_431
; %bb.374:                              ;   in Loop: Header=BB14_13 Depth=1
	v_mov_b32_e32 v0, 50
	s_and_saveexec_b32 s3, s0
	s_cbranch_execz .LBB14_376
; %bb.375:                              ;   in Loop: Header=BB14_13 Depth=1
	s_clause 0x2
	scratch_load_b32 v0, off, off offset:516
	scratch_load_b32 v1, off, off offset:524
	;; [unrolled: 1-line block ×3, first 2 shown]
	s_waitcnt vmcnt(2)
	ds_load_b32 v0, v0
	s_waitcnt vmcnt(1)
	ds_load_b32 v3, v1 offset:196
	s_waitcnt lgkmcnt(1)
	v_lshrrev_b32_e32 v1, 16, v0
	v_cvt_f32_f16_e32 v0, v0
	s_delay_alu instid0(VALU_DEP_2) | instskip(NEXT) | instid1(VALU_DEP_1)
	v_cvt_f32_f16_e32 v1, v1
	v_dual_add_f32 v4, 0, v0 :: v_dual_add_f32 v5, 0, v1
	s_waitcnt lgkmcnt(0)
	s_delay_alu instid0(VALU_DEP_1) | instskip(SKIP_1) | instid1(VALU_DEP_3)
	v_div_scale_f32 v6, null, v3, v3, v4
	v_div_scale_f32 v10, vcc_lo, v4, v3, v4
	v_div_scale_f32 v7, null, v3, v3, v5
	s_delay_alu instid0(VALU_DEP_3) | instskip(SKIP_1) | instid1(VALU_DEP_2)
	v_rcp_f32_e32 v8, v6
	v_div_scale_f32 v11, s1, v5, v3, v5
	v_rcp_f32_e32 v9, v7
	s_waitcnt_depctr 0xfff
	v_fma_f32 v0, -v6, v8, 1.0
	v_fma_f32 v1, -v7, v9, 1.0
	s_delay_alu instid0(VALU_DEP_1) | instskip(SKIP_2) | instid1(VALU_DEP_2)
	v_dual_fmac_f32 v8, v0, v8 :: v_dual_fmac_f32 v9, v1, v9
	s_waitcnt vmcnt(0)
	v_mad_u64_u32 v[0:1], null, v2, s9, v[146:147]
	v_dual_mul_f32 v12, v10, v8 :: v_dual_mul_f32 v13, v11, v9
	s_delay_alu instid0(VALU_DEP_1) | instskip(NEXT) | instid1(VALU_DEP_3)
	v_fma_f32 v14, -v6, v12, v10
	v_mad_u64_u32 v[1:2], null, v0, 48, v[161:162]
	s_delay_alu instid0(VALU_DEP_3) | instskip(NEXT) | instid1(VALU_DEP_1)
	v_fma_f32 v15, -v7, v13, v11
	v_dual_fmac_f32 v12, v14, v8 :: v_dual_fmac_f32 v13, v15, v9
	s_delay_alu instid0(VALU_DEP_3) | instskip(NEXT) | instid1(VALU_DEP_2)
	v_ashrrev_i32_e32 v2, 31, v1
	v_fma_f32 v0, -v6, v12, v10
	s_delay_alu instid0(VALU_DEP_3) | instskip(NEXT) | instid1(VALU_DEP_2)
	v_fma_f32 v6, -v7, v13, v11
	v_div_fmas_f32 v7, v0, v8, v12
	s_delay_alu instid0(VALU_DEP_4) | instskip(SKIP_1) | instid1(VALU_DEP_3)
	v_lshlrev_b64 v[0:1], 3, v[1:2]
	s_mov_b32 vcc_lo, s1
	v_div_fmas_f32 v6, v6, v9, v13
	s_delay_alu instid0(VALU_DEP_3) | instskip(NEXT) | instid1(VALU_DEP_3)
	v_div_fixup_f32 v2, v7, v3, v4
	v_add_co_u32 v4, vcc_lo, s49, v0
	s_delay_alu instid0(VALU_DEP_3)
	v_div_fixup_f32 v3, v6, v3, v5
	v_add_co_ci_u32_e32 v5, vcc_lo, s67, v1, vcc_lo
	v_mov_b32_e32 v0, 0
	global_store_b64 v[4:5], v[2:3], off
.LBB14_376:                             ;   in Loop: Header=BB14_13 Depth=1
	s_or_b32 exec_lo, exec_lo, s3
	s_mov_b32 s0, -1
	s_mov_b32 s1, exec_lo
	v_cmpx_gt_i32_e32 50, v0
; %bb.377:                              ;   in Loop: Header=BB14_13 Depth=1
	v_cmp_eq_u32_e32 vcc_lo, 0, v0
	s_or_not1_b32 s0, vcc_lo, exec_lo
; %bb.378:                              ;   in Loop: Header=BB14_13 Depth=1
	s_or_b32 exec_lo, exec_lo, s1
	s_delay_alu instid0(SALU_CYCLE_1)
	s_and_b32 exec_lo, exec_lo, s0
	s_cbranch_execz .LBB14_431
; %bb.379:                              ;   in Loop: Header=BB14_13 Depth=1
	v_mov_b32_e32 v0, 50
	s_and_saveexec_b32 s0, s82
	s_cbranch_execz .LBB14_381
; %bb.380:                              ;   in Loop: Header=BB14_13 Depth=1
	s_clause 0x1
	scratch_load_b32 v1, off, off offset:292
	scratch_load_b32 v2, off, off offset:60
	ds_load_b32 v0, v232 offset:1664
	s_waitcnt vmcnt(1)
	ds_load_b32 v3, v1 offset:4356
	s_waitcnt lgkmcnt(1)
	v_lshrrev_b32_e32 v1, 16, v0
	v_cvt_f32_f16_e32 v0, v0
	s_delay_alu instid0(VALU_DEP_2) | instskip(NEXT) | instid1(VALU_DEP_1)
	v_cvt_f32_f16_e32 v1, v1
	v_dual_add_f32 v4, 0, v0 :: v_dual_add_f32 v5, 0, v1
	s_waitcnt lgkmcnt(0)
	s_delay_alu instid0(VALU_DEP_1) | instskip(NEXT) | instid1(VALU_DEP_2)
	v_div_scale_f32 v6, null, v3, v3, v4
	v_div_scale_f32 v7, null, v3, v3, v5
	v_div_scale_f32 v10, vcc_lo, v4, v3, v4
	s_delay_alu instid0(VALU_DEP_3) | instskip(NEXT) | instid1(VALU_DEP_2)
	v_rcp_f32_e32 v8, v6
	v_rcp_f32_e32 v9, v7
	v_div_scale_f32 v11, s1, v5, v3, v5
	s_waitcnt_depctr 0xfff
	v_fma_f32 v0, -v6, v8, 1.0
	v_fma_f32 v1, -v7, v9, 1.0
	s_delay_alu instid0(VALU_DEP_1) | instskip(SKIP_2) | instid1(VALU_DEP_2)
	v_dual_fmac_f32 v8, v0, v8 :: v_dual_fmac_f32 v9, v1, v9
	s_waitcnt vmcnt(0)
	v_mad_u64_u32 v[0:1], null, v2, s9, v[146:147]
	v_dual_mul_f32 v12, v10, v8 :: v_dual_mul_f32 v13, v11, v9
	s_delay_alu instid0(VALU_DEP_2) | instskip(NEXT) | instid1(VALU_DEP_2)
	v_mad_u64_u32 v[1:2], null, v0, 48, v[161:162]
	v_fma_f32 v14, -v6, v12, v10
	s_delay_alu instid0(VALU_DEP_3) | instskip(NEXT) | instid1(VALU_DEP_1)
	v_fma_f32 v15, -v7, v13, v11
	v_dual_fmac_f32 v12, v14, v8 :: v_dual_fmac_f32 v13, v15, v9
	s_delay_alu instid0(VALU_DEP_4) | instskip(NEXT) | instid1(VALU_DEP_2)
	v_ashrrev_i32_e32 v2, 31, v1
	v_fma_f32 v0, -v6, v12, v10
	s_delay_alu instid0(VALU_DEP_3) | instskip(NEXT) | instid1(VALU_DEP_2)
	v_fma_f32 v6, -v7, v13, v11
	v_div_fmas_f32 v7, v0, v8, v12
	s_delay_alu instid0(VALU_DEP_4) | instskip(SKIP_1) | instid1(VALU_DEP_3)
	v_lshlrev_b64 v[0:1], 3, v[1:2]
	s_mov_b32 vcc_lo, s1
	v_div_fmas_f32 v6, v6, v9, v13
	s_delay_alu instid0(VALU_DEP_3) | instskip(NEXT) | instid1(VALU_DEP_3)
	v_div_fixup_f32 v2, v7, v3, v4
	v_add_co_u32 v4, vcc_lo, s49, v0
	s_delay_alu instid0(VALU_DEP_3)
	v_div_fixup_f32 v3, v6, v3, v5
	v_add_co_ci_u32_e32 v5, vcc_lo, s67, v1, vcc_lo
	v_mov_b32_e32 v0, 0
	global_store_b64 v[4:5], v[2:3], off
.LBB14_381:                             ;   in Loop: Header=BB14_13 Depth=1
	s_or_b32 exec_lo, exec_lo, s0
	s_mov_b32 s0, -1
	s_mov_b32 s1, exec_lo
	v_cmpx_gt_i32_e32 50, v0
; %bb.382:                              ;   in Loop: Header=BB14_13 Depth=1
	v_cmp_eq_u32_e32 vcc_lo, 0, v0
	s_or_not1_b32 s0, vcc_lo, exec_lo
; %bb.383:                              ;   in Loop: Header=BB14_13 Depth=1
	s_or_b32 exec_lo, exec_lo, s1
	s_delay_alu instid0(SALU_CYCLE_1)
	s_and_b32 exec_lo, exec_lo, s0
	s_cbranch_execz .LBB14_431
; %bb.384:                              ;   in Loop: Header=BB14_13 Depth=1
	v_mov_b32_e32 v0, 50
	s_and_saveexec_b32 s0, s57
	s_cbranch_execz .LBB14_386
; %bb.385:                              ;   in Loop: Header=BB14_13 Depth=1
	s_clause 0x1
	scratch_load_b32 v1, off, off offset:292
	scratch_load_b32 v2, off, off offset:64
	ds_load_b32 v0, v232 offset:2496
	s_waitcnt vmcnt(1)
	ds_load_b32 v3, v1 offset:5188
	s_waitcnt lgkmcnt(1)
	v_lshrrev_b32_e32 v1, 16, v0
	v_cvt_f32_f16_e32 v0, v0
	s_delay_alu instid0(VALU_DEP_2) | instskip(NEXT) | instid1(VALU_DEP_1)
	v_cvt_f32_f16_e32 v1, v1
	v_dual_add_f32 v4, 0, v0 :: v_dual_add_f32 v5, 0, v1
	s_waitcnt lgkmcnt(0)
	s_delay_alu instid0(VALU_DEP_1) | instskip(NEXT) | instid1(VALU_DEP_2)
	v_div_scale_f32 v6, null, v3, v3, v4
	v_div_scale_f32 v7, null, v3, v3, v5
	v_div_scale_f32 v10, vcc_lo, v4, v3, v4
	s_delay_alu instid0(VALU_DEP_3) | instskip(NEXT) | instid1(VALU_DEP_2)
	v_rcp_f32_e32 v8, v6
	v_rcp_f32_e32 v9, v7
	v_div_scale_f32 v11, s1, v5, v3, v5
	s_waitcnt_depctr 0xfff
	v_fma_f32 v0, -v6, v8, 1.0
	v_fma_f32 v1, -v7, v9, 1.0
	s_delay_alu instid0(VALU_DEP_1) | instskip(SKIP_2) | instid1(VALU_DEP_2)
	v_dual_fmac_f32 v8, v0, v8 :: v_dual_fmac_f32 v9, v1, v9
	s_waitcnt vmcnt(0)
	v_mad_u64_u32 v[0:1], null, v2, s9, v[146:147]
	v_dual_mul_f32 v12, v10, v8 :: v_dual_mul_f32 v13, v11, v9
	s_delay_alu instid0(VALU_DEP_2) | instskip(NEXT) | instid1(VALU_DEP_2)
	v_mad_u64_u32 v[1:2], null, v0, 48, v[161:162]
	v_fma_f32 v14, -v6, v12, v10
	s_delay_alu instid0(VALU_DEP_3) | instskip(NEXT) | instid1(VALU_DEP_1)
	v_fma_f32 v15, -v7, v13, v11
	v_dual_fmac_f32 v12, v14, v8 :: v_dual_fmac_f32 v13, v15, v9
	s_delay_alu instid0(VALU_DEP_4) | instskip(NEXT) | instid1(VALU_DEP_2)
	v_ashrrev_i32_e32 v2, 31, v1
	v_fma_f32 v0, -v6, v12, v10
	s_delay_alu instid0(VALU_DEP_3) | instskip(NEXT) | instid1(VALU_DEP_2)
	v_fma_f32 v6, -v7, v13, v11
	v_div_fmas_f32 v7, v0, v8, v12
	s_delay_alu instid0(VALU_DEP_4) | instskip(SKIP_1) | instid1(VALU_DEP_3)
	v_lshlrev_b64 v[0:1], 3, v[1:2]
	s_mov_b32 vcc_lo, s1
	v_div_fmas_f32 v6, v6, v9, v13
	s_delay_alu instid0(VALU_DEP_3) | instskip(NEXT) | instid1(VALU_DEP_3)
	v_div_fixup_f32 v2, v7, v3, v4
	v_add_co_u32 v4, vcc_lo, s49, v0
	s_delay_alu instid0(VALU_DEP_3)
	v_div_fixup_f32 v3, v6, v3, v5
	v_add_co_ci_u32_e32 v5, vcc_lo, s67, v1, vcc_lo
	v_mov_b32_e32 v0, 0
	global_store_b64 v[4:5], v[2:3], off
.LBB14_386:                             ;   in Loop: Header=BB14_13 Depth=1
	s_or_b32 exec_lo, exec_lo, s0
	s_mov_b32 s0, -1
	s_mov_b32 s1, exec_lo
	v_cmpx_gt_i32_e32 50, v0
; %bb.387:                              ;   in Loop: Header=BB14_13 Depth=1
	v_cmp_eq_u32_e32 vcc_lo, 0, v0
	s_or_not1_b32 s0, vcc_lo, exec_lo
; %bb.388:                              ;   in Loop: Header=BB14_13 Depth=1
	s_or_b32 exec_lo, exec_lo, s1
	s_delay_alu instid0(SALU_CYCLE_1)
	s_and_b32 exec_lo, exec_lo, s0
	s_cbranch_execz .LBB14_431
; %bb.389:                              ;   in Loop: Header=BB14_13 Depth=1
	v_mov_b32_e32 v0, 50
	s_and_saveexec_b32 s0, s56
	s_cbranch_execz .LBB14_391
; %bb.390:                              ;   in Loop: Header=BB14_13 Depth=1
	s_clause 0x1
	scratch_load_b32 v1, off, off offset:292
	scratch_load_b32 v2, off, off offset:68
	ds_load_b32 v0, v232 offset:3328
	s_waitcnt vmcnt(1)
	ds_load_b32 v3, v1 offset:6020
	s_waitcnt lgkmcnt(1)
	v_lshrrev_b32_e32 v1, 16, v0
	v_cvt_f32_f16_e32 v0, v0
	s_delay_alu instid0(VALU_DEP_2) | instskip(NEXT) | instid1(VALU_DEP_1)
	v_cvt_f32_f16_e32 v1, v1
	v_dual_add_f32 v4, 0, v0 :: v_dual_add_f32 v5, 0, v1
	s_waitcnt lgkmcnt(0)
	s_delay_alu instid0(VALU_DEP_1) | instskip(NEXT) | instid1(VALU_DEP_2)
	v_div_scale_f32 v6, null, v3, v3, v4
	v_div_scale_f32 v7, null, v3, v3, v5
	v_div_scale_f32 v10, vcc_lo, v4, v3, v4
	s_delay_alu instid0(VALU_DEP_3) | instskip(NEXT) | instid1(VALU_DEP_2)
	v_rcp_f32_e32 v8, v6
	v_rcp_f32_e32 v9, v7
	v_div_scale_f32 v11, s1, v5, v3, v5
	s_waitcnt_depctr 0xfff
	v_fma_f32 v0, -v6, v8, 1.0
	v_fma_f32 v1, -v7, v9, 1.0
	s_delay_alu instid0(VALU_DEP_1) | instskip(SKIP_2) | instid1(VALU_DEP_2)
	v_dual_fmac_f32 v8, v0, v8 :: v_dual_fmac_f32 v9, v1, v9
	s_waitcnt vmcnt(0)
	v_mad_u64_u32 v[0:1], null, v2, s9, v[146:147]
	v_dual_mul_f32 v12, v10, v8 :: v_dual_mul_f32 v13, v11, v9
	s_delay_alu instid0(VALU_DEP_2) | instskip(NEXT) | instid1(VALU_DEP_2)
	v_mad_u64_u32 v[1:2], null, v0, 48, v[161:162]
	v_fma_f32 v14, -v6, v12, v10
	s_delay_alu instid0(VALU_DEP_3) | instskip(NEXT) | instid1(VALU_DEP_1)
	v_fma_f32 v15, -v7, v13, v11
	v_dual_fmac_f32 v12, v14, v8 :: v_dual_fmac_f32 v13, v15, v9
	s_delay_alu instid0(VALU_DEP_4) | instskip(NEXT) | instid1(VALU_DEP_2)
	v_ashrrev_i32_e32 v2, 31, v1
	v_fma_f32 v0, -v6, v12, v10
	s_delay_alu instid0(VALU_DEP_3) | instskip(NEXT) | instid1(VALU_DEP_2)
	v_fma_f32 v6, -v7, v13, v11
	v_div_fmas_f32 v7, v0, v8, v12
	s_delay_alu instid0(VALU_DEP_4) | instskip(SKIP_1) | instid1(VALU_DEP_3)
	v_lshlrev_b64 v[0:1], 3, v[1:2]
	s_mov_b32 vcc_lo, s1
	v_div_fmas_f32 v6, v6, v9, v13
	s_delay_alu instid0(VALU_DEP_3) | instskip(NEXT) | instid1(VALU_DEP_3)
	v_div_fixup_f32 v2, v7, v3, v4
	v_add_co_u32 v4, vcc_lo, s49, v0
	s_delay_alu instid0(VALU_DEP_3)
	v_div_fixup_f32 v3, v6, v3, v5
	v_add_co_ci_u32_e32 v5, vcc_lo, s67, v1, vcc_lo
	v_mov_b32_e32 v0, 0
	global_store_b64 v[4:5], v[2:3], off
.LBB14_391:                             ;   in Loop: Header=BB14_13 Depth=1
	s_or_b32 exec_lo, exec_lo, s0
	s_mov_b32 s0, -1
	s_mov_b32 s1, exec_lo
	v_cmpx_gt_i32_e32 50, v0
; %bb.392:                              ;   in Loop: Header=BB14_13 Depth=1
	v_cmp_eq_u32_e32 vcc_lo, 0, v0
	s_or_not1_b32 s0, vcc_lo, exec_lo
; %bb.393:                              ;   in Loop: Header=BB14_13 Depth=1
	s_or_b32 exec_lo, exec_lo, s1
	s_delay_alu instid0(SALU_CYCLE_1)
	s_and_b32 exec_lo, exec_lo, s0
	s_cbranch_execz .LBB14_431
; %bb.394:                              ;   in Loop: Header=BB14_13 Depth=1
	v_mov_b32_e32 v0, 50
	s_and_saveexec_b32 s0, s66
	s_cbranch_execz .LBB14_396
; %bb.395:                              ;   in Loop: Header=BB14_13 Depth=1
	s_clause 0x2
	scratch_load_b32 v0, off, off offset:540
	scratch_load_b32 v1, off, off offset:544
	;; [unrolled: 1-line block ×3, first 2 shown]
	s_waitcnt vmcnt(2)
	ds_load_b32 v0, v0
	s_waitcnt vmcnt(1)
	ds_load_b32 v3, v1 offset:196
	s_waitcnt lgkmcnt(1)
	v_lshrrev_b32_e32 v1, 16, v0
	v_cvt_f32_f16_e32 v0, v0
	s_delay_alu instid0(VALU_DEP_2) | instskip(NEXT) | instid1(VALU_DEP_1)
	v_cvt_f32_f16_e32 v1, v1
	v_dual_add_f32 v4, 0, v0 :: v_dual_add_f32 v5, 0, v1
	s_waitcnt lgkmcnt(0)
	s_delay_alu instid0(VALU_DEP_1) | instskip(SKIP_1) | instid1(VALU_DEP_3)
	v_div_scale_f32 v6, null, v3, v3, v4
	v_div_scale_f32 v10, vcc_lo, v4, v3, v4
	v_div_scale_f32 v7, null, v3, v3, v5
	s_delay_alu instid0(VALU_DEP_3) | instskip(SKIP_1) | instid1(VALU_DEP_2)
	v_rcp_f32_e32 v8, v6
	v_div_scale_f32 v11, s1, v5, v3, v5
	v_rcp_f32_e32 v9, v7
	s_waitcnt_depctr 0xfff
	v_fma_f32 v0, -v6, v8, 1.0
	v_fma_f32 v1, -v7, v9, 1.0
	s_delay_alu instid0(VALU_DEP_1) | instskip(SKIP_2) | instid1(VALU_DEP_2)
	v_dual_fmac_f32 v8, v0, v8 :: v_dual_fmac_f32 v9, v1, v9
	s_waitcnt vmcnt(0)
	v_mad_u64_u32 v[0:1], null, v2, s9, v[146:147]
	v_dual_mul_f32 v12, v10, v8 :: v_dual_mul_f32 v13, v11, v9
	s_delay_alu instid0(VALU_DEP_1) | instskip(NEXT) | instid1(VALU_DEP_3)
	v_fma_f32 v14, -v6, v12, v10
	v_mad_u64_u32 v[1:2], null, v0, 48, v[161:162]
	s_delay_alu instid0(VALU_DEP_3) | instskip(NEXT) | instid1(VALU_DEP_1)
	v_fma_f32 v15, -v7, v13, v11
	v_dual_fmac_f32 v12, v14, v8 :: v_dual_fmac_f32 v13, v15, v9
	s_delay_alu instid0(VALU_DEP_3) | instskip(NEXT) | instid1(VALU_DEP_2)
	v_ashrrev_i32_e32 v2, 31, v1
	v_fma_f32 v0, -v6, v12, v10
	s_delay_alu instid0(VALU_DEP_3) | instskip(NEXT) | instid1(VALU_DEP_2)
	v_fma_f32 v6, -v7, v13, v11
	v_div_fmas_f32 v7, v0, v8, v12
	s_delay_alu instid0(VALU_DEP_4) | instskip(SKIP_1) | instid1(VALU_DEP_3)
	v_lshlrev_b64 v[0:1], 3, v[1:2]
	s_mov_b32 vcc_lo, s1
	v_div_fmas_f32 v6, v6, v9, v13
	s_delay_alu instid0(VALU_DEP_3) | instskip(NEXT) | instid1(VALU_DEP_3)
	v_div_fixup_f32 v2, v7, v3, v4
	v_add_co_u32 v4, vcc_lo, s49, v0
	s_delay_alu instid0(VALU_DEP_3)
	v_div_fixup_f32 v3, v6, v3, v5
	v_add_co_ci_u32_e32 v5, vcc_lo, s67, v1, vcc_lo
	v_mov_b32_e32 v0, 0
	global_store_b64 v[4:5], v[2:3], off
.LBB14_396:                             ;   in Loop: Header=BB14_13 Depth=1
	s_or_b32 exec_lo, exec_lo, s0
	s_mov_b32 s0, -1
	s_mov_b32 s1, exec_lo
	v_cmpx_gt_i32_e32 50, v0
; %bb.397:                              ;   in Loop: Header=BB14_13 Depth=1
	v_cmp_eq_u32_e32 vcc_lo, 0, v0
	s_or_not1_b32 s0, vcc_lo, exec_lo
; %bb.398:                              ;   in Loop: Header=BB14_13 Depth=1
	s_or_b32 exec_lo, exec_lo, s1
	s_delay_alu instid0(SALU_CYCLE_1)
	s_and_b32 exec_lo, exec_lo, s0
	s_cbranch_execz .LBB14_431
; %bb.399:                              ;   in Loop: Header=BB14_13 Depth=1
	v_mov_b32_e32 v0, 50
	s_and_saveexec_b32 s0, s94
	s_cbranch_execz .LBB14_401
; %bb.400:                              ;   in Loop: Header=BB14_13 Depth=1
	s_clause 0x1
	scratch_load_b32 v1, off, off offset:292
	scratch_load_b32 v2, off, off offset:76
	ds_load_b32 v0, v232 offset:4992
	s_waitcnt vmcnt(1)
	ds_load_b32 v3, v1 offset:7684
	s_waitcnt lgkmcnt(1)
	v_lshrrev_b32_e32 v1, 16, v0
	v_cvt_f32_f16_e32 v0, v0
	s_delay_alu instid0(VALU_DEP_2) | instskip(NEXT) | instid1(VALU_DEP_1)
	v_cvt_f32_f16_e32 v1, v1
	v_dual_add_f32 v4, 0, v0 :: v_dual_add_f32 v5, 0, v1
	s_waitcnt lgkmcnt(0)
	s_delay_alu instid0(VALU_DEP_1) | instskip(NEXT) | instid1(VALU_DEP_2)
	v_div_scale_f32 v6, null, v3, v3, v4
	v_div_scale_f32 v7, null, v3, v3, v5
	v_div_scale_f32 v10, vcc_lo, v4, v3, v4
	s_delay_alu instid0(VALU_DEP_3) | instskip(NEXT) | instid1(VALU_DEP_2)
	v_rcp_f32_e32 v8, v6
	v_rcp_f32_e32 v9, v7
	v_div_scale_f32 v11, s1, v5, v3, v5
	s_waitcnt_depctr 0xfff
	v_fma_f32 v0, -v6, v8, 1.0
	v_fma_f32 v1, -v7, v9, 1.0
	s_delay_alu instid0(VALU_DEP_1) | instskip(SKIP_2) | instid1(VALU_DEP_2)
	v_dual_fmac_f32 v8, v0, v8 :: v_dual_fmac_f32 v9, v1, v9
	s_waitcnt vmcnt(0)
	v_mad_u64_u32 v[0:1], null, v2, s9, v[146:147]
	v_dual_mul_f32 v12, v10, v8 :: v_dual_mul_f32 v13, v11, v9
	s_delay_alu instid0(VALU_DEP_2) | instskip(NEXT) | instid1(VALU_DEP_2)
	v_mad_u64_u32 v[1:2], null, v0, 48, v[161:162]
	v_fma_f32 v14, -v6, v12, v10
	s_delay_alu instid0(VALU_DEP_3) | instskip(NEXT) | instid1(VALU_DEP_1)
	v_fma_f32 v15, -v7, v13, v11
	v_dual_fmac_f32 v12, v14, v8 :: v_dual_fmac_f32 v13, v15, v9
	s_delay_alu instid0(VALU_DEP_4) | instskip(NEXT) | instid1(VALU_DEP_2)
	v_ashrrev_i32_e32 v2, 31, v1
	v_fma_f32 v0, -v6, v12, v10
	s_delay_alu instid0(VALU_DEP_3) | instskip(NEXT) | instid1(VALU_DEP_2)
	v_fma_f32 v6, -v7, v13, v11
	v_div_fmas_f32 v7, v0, v8, v12
	s_delay_alu instid0(VALU_DEP_4) | instskip(SKIP_1) | instid1(VALU_DEP_3)
	v_lshlrev_b64 v[0:1], 3, v[1:2]
	s_mov_b32 vcc_lo, s1
	v_div_fmas_f32 v6, v6, v9, v13
	s_delay_alu instid0(VALU_DEP_3) | instskip(NEXT) | instid1(VALU_DEP_3)
	v_div_fixup_f32 v2, v7, v3, v4
	v_add_co_u32 v4, vcc_lo, s49, v0
	s_delay_alu instid0(VALU_DEP_3)
	v_div_fixup_f32 v3, v6, v3, v5
	v_add_co_ci_u32_e32 v5, vcc_lo, s67, v1, vcc_lo
	v_mov_b32_e32 v0, 0
	global_store_b64 v[4:5], v[2:3], off
.LBB14_401:                             ;   in Loop: Header=BB14_13 Depth=1
	s_or_b32 exec_lo, exec_lo, s0
	s_mov_b32 s0, -1
	s_mov_b32 s1, exec_lo
	v_cmpx_gt_i32_e32 50, v0
; %bb.402:                              ;   in Loop: Header=BB14_13 Depth=1
	v_cmp_eq_u32_e32 vcc_lo, 0, v0
	s_or_not1_b32 s0, vcc_lo, exec_lo
; %bb.403:                              ;   in Loop: Header=BB14_13 Depth=1
	s_or_b32 exec_lo, exec_lo, s1
	s_delay_alu instid0(SALU_CYCLE_1)
	s_and_b32 exec_lo, exec_lo, s0
	s_cbranch_execz .LBB14_431
; %bb.404:                              ;   in Loop: Header=BB14_13 Depth=1
	v_mov_b32_e32 v0, 50
	s_and_saveexec_b32 s0, s93
	s_cbranch_execz .LBB14_406
; %bb.405:                              ;   in Loop: Header=BB14_13 Depth=1
	scratch_load_b32 v1, off, off offset:292 ; 4-byte Folded Reload
	ds_load_b32 v0, v232 offset:5824
	s_waitcnt vmcnt(0)
	ds_load_b32 v3, v1 offset:8516
	s_waitcnt lgkmcnt(1)
	v_lshrrev_b32_e32 v1, 16, v0
	v_cvt_f32_f16_e32 v0, v0
	s_delay_alu instid0(VALU_DEP_2) | instskip(NEXT) | instid1(VALU_DEP_1)
	v_cvt_f32_f16_e32 v1, v1
	v_dual_add_f32 v4, 0, v0 :: v_dual_add_f32 v5, 0, v1
	s_waitcnt lgkmcnt(0)
	s_delay_alu instid0(VALU_DEP_1) | instskip(NEXT) | instid1(VALU_DEP_2)
	v_div_scale_f32 v6, null, v3, v3, v4
	v_div_scale_f32 v7, null, v3, v3, v5
	v_div_scale_f32 v10, vcc_lo, v4, v3, v4
	s_delay_alu instid0(VALU_DEP_3) | instskip(NEXT) | instid1(VALU_DEP_2)
	v_rcp_f32_e32 v8, v6
	v_rcp_f32_e32 v9, v7
	v_div_scale_f32 v11, s1, v5, v3, v5
	s_waitcnt_depctr 0xfff
	v_fma_f32 v0, -v6, v8, 1.0
	v_fma_f32 v1, -v7, v9, 1.0
	s_delay_alu instid0(VALU_DEP_1) | instskip(SKIP_1) | instid1(VALU_DEP_2)
	v_dual_fmac_f32 v8, v0, v8 :: v_dual_fmac_f32 v9, v1, v9
	v_mad_u64_u32 v[0:1], null, v243, s9, v[146:147]
	v_dual_mul_f32 v12, v10, v8 :: v_dual_mul_f32 v13, v11, v9
	s_delay_alu instid0(VALU_DEP_2) | instskip(NEXT) | instid1(VALU_DEP_2)
	v_mad_u64_u32 v[1:2], null, v0, 48, v[161:162]
	v_fma_f32 v14, -v6, v12, v10
	s_delay_alu instid0(VALU_DEP_3) | instskip(NEXT) | instid1(VALU_DEP_1)
	v_fma_f32 v15, -v7, v13, v11
	v_dual_fmac_f32 v12, v14, v8 :: v_dual_fmac_f32 v13, v15, v9
	s_delay_alu instid0(VALU_DEP_4) | instskip(NEXT) | instid1(VALU_DEP_2)
	v_ashrrev_i32_e32 v2, 31, v1
	v_fma_f32 v0, -v6, v12, v10
	s_delay_alu instid0(VALU_DEP_3) | instskip(NEXT) | instid1(VALU_DEP_2)
	v_fma_f32 v6, -v7, v13, v11
	v_div_fmas_f32 v7, v0, v8, v12
	s_delay_alu instid0(VALU_DEP_4) | instskip(SKIP_1) | instid1(VALU_DEP_3)
	v_lshlrev_b64 v[0:1], 3, v[1:2]
	s_mov_b32 vcc_lo, s1
	v_div_fmas_f32 v6, v6, v9, v13
	s_delay_alu instid0(VALU_DEP_3) | instskip(NEXT) | instid1(VALU_DEP_3)
	v_div_fixup_f32 v2, v7, v3, v4
	v_add_co_u32 v4, vcc_lo, s49, v0
	s_delay_alu instid0(VALU_DEP_3)
	v_div_fixup_f32 v3, v6, v3, v5
	v_add_co_ci_u32_e32 v5, vcc_lo, s67, v1, vcc_lo
	v_mov_b32_e32 v0, 0
	global_store_b64 v[4:5], v[2:3], off
.LBB14_406:                             ;   in Loop: Header=BB14_13 Depth=1
	s_or_b32 exec_lo, exec_lo, s0
	s_mov_b32 s0, -1
	s_mov_b32 s1, exec_lo
	v_cmpx_gt_i32_e32 50, v0
; %bb.407:                              ;   in Loop: Header=BB14_13 Depth=1
	v_cmp_eq_u32_e32 vcc_lo, 0, v0
	s_or_not1_b32 s0, vcc_lo, exec_lo
; %bb.408:                              ;   in Loop: Header=BB14_13 Depth=1
	s_or_b32 exec_lo, exec_lo, s1
	s_delay_alu instid0(SALU_CYCLE_1)
	s_and_b32 exec_lo, exec_lo, s0
	s_cbranch_execz .LBB14_431
; %bb.409:                              ;   in Loop: Header=BB14_13 Depth=1
	v_mov_b32_e32 v0, 50
	s_and_saveexec_b32 s0, s92
	s_cbranch_execz .LBB14_411
; %bb.410:                              ;   in Loop: Header=BB14_13 Depth=1
	scratch_load_b32 v1, off, off offset:292 ; 4-byte Folded Reload
	ds_load_b32 v0, v232 offset:6656
	s_waitcnt vmcnt(0)
	ds_load_b32 v3, v1 offset:9348
	s_waitcnt lgkmcnt(1)
	v_lshrrev_b32_e32 v1, 16, v0
	v_cvt_f32_f16_e32 v0, v0
	s_delay_alu instid0(VALU_DEP_2) | instskip(NEXT) | instid1(VALU_DEP_1)
	v_cvt_f32_f16_e32 v1, v1
	v_dual_add_f32 v4, 0, v0 :: v_dual_add_f32 v5, 0, v1
	s_waitcnt lgkmcnt(0)
	s_delay_alu instid0(VALU_DEP_1) | instskip(NEXT) | instid1(VALU_DEP_2)
	v_div_scale_f32 v6, null, v3, v3, v4
	v_div_scale_f32 v7, null, v3, v3, v5
	v_div_scale_f32 v10, vcc_lo, v4, v3, v4
	s_delay_alu instid0(VALU_DEP_3) | instskip(NEXT) | instid1(VALU_DEP_2)
	v_rcp_f32_e32 v8, v6
	v_rcp_f32_e32 v9, v7
	v_div_scale_f32 v11, s1, v5, v3, v5
	s_waitcnt_depctr 0xfff
	v_fma_f32 v0, -v6, v8, 1.0
	v_fma_f32 v1, -v7, v9, 1.0
	s_delay_alu instid0(VALU_DEP_1) | instskip(SKIP_1) | instid1(VALU_DEP_2)
	v_dual_fmac_f32 v8, v0, v8 :: v_dual_fmac_f32 v9, v1, v9
	v_mad_u64_u32 v[0:1], null, v238, s9, v[146:147]
	v_dual_mul_f32 v12, v10, v8 :: v_dual_mul_f32 v13, v11, v9
	s_delay_alu instid0(VALU_DEP_2) | instskip(NEXT) | instid1(VALU_DEP_2)
	v_mad_u64_u32 v[1:2], null, v0, 48, v[161:162]
	v_fma_f32 v14, -v6, v12, v10
	s_delay_alu instid0(VALU_DEP_3) | instskip(NEXT) | instid1(VALU_DEP_1)
	v_fma_f32 v15, -v7, v13, v11
	v_dual_fmac_f32 v12, v14, v8 :: v_dual_fmac_f32 v13, v15, v9
	s_delay_alu instid0(VALU_DEP_4) | instskip(NEXT) | instid1(VALU_DEP_2)
	v_ashrrev_i32_e32 v2, 31, v1
	v_fma_f32 v0, -v6, v12, v10
	s_delay_alu instid0(VALU_DEP_3) | instskip(NEXT) | instid1(VALU_DEP_2)
	v_fma_f32 v6, -v7, v13, v11
	v_div_fmas_f32 v7, v0, v8, v12
	s_delay_alu instid0(VALU_DEP_4) | instskip(SKIP_1) | instid1(VALU_DEP_3)
	v_lshlrev_b64 v[0:1], 3, v[1:2]
	s_mov_b32 vcc_lo, s1
	v_div_fmas_f32 v6, v6, v9, v13
	s_delay_alu instid0(VALU_DEP_3) | instskip(NEXT) | instid1(VALU_DEP_3)
	v_div_fixup_f32 v2, v7, v3, v4
	v_add_co_u32 v4, vcc_lo, s49, v0
	s_delay_alu instid0(VALU_DEP_3)
	v_div_fixup_f32 v3, v6, v3, v5
	v_add_co_ci_u32_e32 v5, vcc_lo, s67, v1, vcc_lo
	v_mov_b32_e32 v0, 0
	global_store_b64 v[4:5], v[2:3], off
.LBB14_411:                             ;   in Loop: Header=BB14_13 Depth=1
	s_or_b32 exec_lo, exec_lo, s0
	s_mov_b32 s0, -1
	s_mov_b32 s1, exec_lo
	v_cmpx_gt_i32_e32 50, v0
; %bb.412:                              ;   in Loop: Header=BB14_13 Depth=1
	v_cmp_eq_u32_e32 vcc_lo, 0, v0
	s_or_not1_b32 s0, vcc_lo, exec_lo
; %bb.413:                              ;   in Loop: Header=BB14_13 Depth=1
	s_or_b32 exec_lo, exec_lo, s1
	s_delay_alu instid0(SALU_CYCLE_1)
	s_and_b32 exec_lo, exec_lo, s0
	s_cbranch_execz .LBB14_431
; %bb.414:                              ;   in Loop: Header=BB14_13 Depth=1
	v_mov_b32_e32 v0, 50
	s_and_saveexec_b32 s0, s91
	s_cbranch_execz .LBB14_416
; %bb.415:                              ;   in Loop: Header=BB14_13 Depth=1
	s_clause 0x1
	scratch_load_b32 v0, off, off offset:548
	scratch_load_b32 v1, off, off offset:552
	s_waitcnt vmcnt(1)
	ds_load_b32 v0, v0
	s_waitcnt vmcnt(0)
	ds_load_b32 v3, v1 offset:196
	s_waitcnt lgkmcnt(1)
	v_lshrrev_b32_e32 v1, 16, v0
	v_cvt_f32_f16_e32 v0, v0
	s_delay_alu instid0(VALU_DEP_2) | instskip(NEXT) | instid1(VALU_DEP_1)
	v_cvt_f32_f16_e32 v1, v1
	v_dual_add_f32 v4, 0, v0 :: v_dual_add_f32 v5, 0, v1
	s_waitcnt lgkmcnt(0)
	s_delay_alu instid0(VALU_DEP_1) | instskip(SKIP_1) | instid1(VALU_DEP_3)
	v_div_scale_f32 v6, null, v3, v3, v4
	v_div_scale_f32 v10, vcc_lo, v4, v3, v4
	v_div_scale_f32 v7, null, v3, v3, v5
	s_delay_alu instid0(VALU_DEP_3) | instskip(SKIP_1) | instid1(VALU_DEP_2)
	v_rcp_f32_e32 v8, v6
	v_div_scale_f32 v11, s1, v5, v3, v5
	v_rcp_f32_e32 v9, v7
	s_waitcnt_depctr 0xfff
	v_fma_f32 v0, -v6, v8, 1.0
	v_fma_f32 v1, -v7, v9, 1.0
	s_delay_alu instid0(VALU_DEP_1) | instskip(SKIP_1) | instid1(VALU_DEP_2)
	v_dual_fmac_f32 v8, v0, v8 :: v_dual_fmac_f32 v9, v1, v9
	v_mad_u64_u32 v[0:1], null, v237, s9, v[146:147]
	v_dual_mul_f32 v12, v10, v8 :: v_dual_mul_f32 v13, v11, v9
	s_delay_alu instid0(VALU_DEP_1) | instskip(NEXT) | instid1(VALU_DEP_3)
	v_fma_f32 v14, -v6, v12, v10
	v_mad_u64_u32 v[1:2], null, v0, 48, v[161:162]
	s_delay_alu instid0(VALU_DEP_3) | instskip(NEXT) | instid1(VALU_DEP_1)
	v_fma_f32 v15, -v7, v13, v11
	v_dual_fmac_f32 v12, v14, v8 :: v_dual_fmac_f32 v13, v15, v9
	s_delay_alu instid0(VALU_DEP_3) | instskip(NEXT) | instid1(VALU_DEP_2)
	v_ashrrev_i32_e32 v2, 31, v1
	v_fma_f32 v0, -v6, v12, v10
	s_delay_alu instid0(VALU_DEP_3) | instskip(NEXT) | instid1(VALU_DEP_2)
	v_fma_f32 v6, -v7, v13, v11
	v_div_fmas_f32 v7, v0, v8, v12
	s_delay_alu instid0(VALU_DEP_4) | instskip(SKIP_1) | instid1(VALU_DEP_3)
	v_lshlrev_b64 v[0:1], 3, v[1:2]
	s_mov_b32 vcc_lo, s1
	v_div_fmas_f32 v6, v6, v9, v13
	s_delay_alu instid0(VALU_DEP_3) | instskip(NEXT) | instid1(VALU_DEP_3)
	v_div_fixup_f32 v2, v7, v3, v4
	v_add_co_u32 v4, vcc_lo, s49, v0
	s_delay_alu instid0(VALU_DEP_3)
	v_div_fixup_f32 v3, v6, v3, v5
	v_add_co_ci_u32_e32 v5, vcc_lo, s67, v1, vcc_lo
	v_mov_b32_e32 v0, 0
	global_store_b64 v[4:5], v[2:3], off
.LBB14_416:                             ;   in Loop: Header=BB14_13 Depth=1
	s_or_b32 exec_lo, exec_lo, s0
	s_mov_b32 s0, -1
	s_mov_b32 s1, exec_lo
	v_cmpx_gt_i32_e32 50, v0
; %bb.417:                              ;   in Loop: Header=BB14_13 Depth=1
	v_cmp_eq_u32_e32 vcc_lo, 0, v0
	s_or_not1_b32 s0, vcc_lo, exec_lo
; %bb.418:                              ;   in Loop: Header=BB14_13 Depth=1
	s_or_b32 exec_lo, exec_lo, s1
	s_delay_alu instid0(SALU_CYCLE_1)
	s_and_b32 exec_lo, exec_lo, s0
	s_cbranch_execz .LBB14_431
; %bb.419:                              ;   in Loop: Header=BB14_13 Depth=1
	v_mov_b32_e32 v0, 50
	s_and_saveexec_b32 s0, s90
	s_cbranch_execz .LBB14_421
; %bb.420:                              ;   in Loop: Header=BB14_13 Depth=1
	scratch_load_b32 v1, off, off offset:292 ; 4-byte Folded Reload
	ds_load_b32 v0, v232 offset:8320
	s_waitcnt vmcnt(0)
	ds_load_b32 v3, v1 offset:11012
	s_waitcnt lgkmcnt(1)
	v_lshrrev_b32_e32 v1, 16, v0
	v_cvt_f32_f16_e32 v0, v0
	s_delay_alu instid0(VALU_DEP_2) | instskip(NEXT) | instid1(VALU_DEP_1)
	v_cvt_f32_f16_e32 v1, v1
	v_dual_add_f32 v4, 0, v0 :: v_dual_add_f32 v5, 0, v1
	s_waitcnt lgkmcnt(0)
	s_delay_alu instid0(VALU_DEP_1) | instskip(NEXT) | instid1(VALU_DEP_2)
	v_div_scale_f32 v6, null, v3, v3, v4
	v_div_scale_f32 v7, null, v3, v3, v5
	v_div_scale_f32 v10, vcc_lo, v4, v3, v4
	s_delay_alu instid0(VALU_DEP_3) | instskip(NEXT) | instid1(VALU_DEP_2)
	v_rcp_f32_e32 v8, v6
	v_rcp_f32_e32 v9, v7
	v_div_scale_f32 v11, s1, v5, v3, v5
	s_waitcnt_depctr 0xfff
	v_fma_f32 v0, -v6, v8, 1.0
	v_fma_f32 v1, -v7, v9, 1.0
	s_delay_alu instid0(VALU_DEP_1) | instskip(SKIP_1) | instid1(VALU_DEP_2)
	v_dual_fmac_f32 v8, v0, v8 :: v_dual_fmac_f32 v9, v1, v9
	v_mad_u64_u32 v[0:1], null, v227, s9, v[146:147]
	v_dual_mul_f32 v12, v10, v8 :: v_dual_mul_f32 v13, v11, v9
	s_delay_alu instid0(VALU_DEP_2) | instskip(NEXT) | instid1(VALU_DEP_2)
	v_mad_u64_u32 v[1:2], null, v0, 48, v[161:162]
	v_fma_f32 v14, -v6, v12, v10
	s_delay_alu instid0(VALU_DEP_3) | instskip(NEXT) | instid1(VALU_DEP_1)
	v_fma_f32 v15, -v7, v13, v11
	v_dual_fmac_f32 v12, v14, v8 :: v_dual_fmac_f32 v13, v15, v9
	s_delay_alu instid0(VALU_DEP_4) | instskip(NEXT) | instid1(VALU_DEP_2)
	v_ashrrev_i32_e32 v2, 31, v1
	v_fma_f32 v0, -v6, v12, v10
	s_delay_alu instid0(VALU_DEP_3) | instskip(NEXT) | instid1(VALU_DEP_2)
	v_fma_f32 v6, -v7, v13, v11
	v_div_fmas_f32 v7, v0, v8, v12
	s_delay_alu instid0(VALU_DEP_4) | instskip(SKIP_1) | instid1(VALU_DEP_3)
	v_lshlrev_b64 v[0:1], 3, v[1:2]
	s_mov_b32 vcc_lo, s1
	v_div_fmas_f32 v6, v6, v9, v13
	s_delay_alu instid0(VALU_DEP_3) | instskip(NEXT) | instid1(VALU_DEP_3)
	v_div_fixup_f32 v2, v7, v3, v4
	v_add_co_u32 v4, vcc_lo, s49, v0
	s_delay_alu instid0(VALU_DEP_3)
	v_div_fixup_f32 v3, v6, v3, v5
	v_add_co_ci_u32_e32 v5, vcc_lo, s67, v1, vcc_lo
	v_mov_b32_e32 v0, 0
	global_store_b64 v[4:5], v[2:3], off
.LBB14_421:                             ;   in Loop: Header=BB14_13 Depth=1
	s_or_b32 exec_lo, exec_lo, s0
	s_mov_b32 s0, -1
	s_mov_b32 s1, exec_lo
	v_cmpx_gt_i32_e32 50, v0
; %bb.422:                              ;   in Loop: Header=BB14_13 Depth=1
	v_cmp_eq_u32_e32 vcc_lo, 0, v0
	s_or_not1_b32 s0, vcc_lo, exec_lo
; %bb.423:                              ;   in Loop: Header=BB14_13 Depth=1
	s_or_b32 exec_lo, exec_lo, s1
	s_delay_alu instid0(SALU_CYCLE_1)
	s_and_b32 exec_lo, exec_lo, s0
	s_cbranch_execz .LBB14_431
; %bb.424:                              ;   in Loop: Header=BB14_13 Depth=1
	v_mov_b32_e32 v0, 50
	s_and_saveexec_b32 s0, s89
	s_cbranch_execz .LBB14_426
; %bb.425:                              ;   in Loop: Header=BB14_13 Depth=1
	scratch_load_b32 v1, off, off offset:292 ; 4-byte Folded Reload
	ds_load_b32 v0, v232 offset:9152
	s_waitcnt vmcnt(0)
	ds_load_b32 v3, v1 offset:11844
	s_waitcnt lgkmcnt(1)
	v_lshrrev_b32_e32 v1, 16, v0
	v_cvt_f32_f16_e32 v0, v0
	s_delay_alu instid0(VALU_DEP_2) | instskip(NEXT) | instid1(VALU_DEP_1)
	v_cvt_f32_f16_e32 v1, v1
	v_dual_add_f32 v4, 0, v0 :: v_dual_add_f32 v5, 0, v1
	s_waitcnt lgkmcnt(0)
	s_delay_alu instid0(VALU_DEP_1) | instskip(NEXT) | instid1(VALU_DEP_2)
	v_div_scale_f32 v6, null, v3, v3, v4
	v_div_scale_f32 v7, null, v3, v3, v5
	v_div_scale_f32 v10, vcc_lo, v4, v3, v4
	s_delay_alu instid0(VALU_DEP_3) | instskip(NEXT) | instid1(VALU_DEP_2)
	v_rcp_f32_e32 v8, v6
	v_rcp_f32_e32 v9, v7
	v_div_scale_f32 v11, s1, v5, v3, v5
	s_waitcnt_depctr 0xfff
	v_fma_f32 v0, -v6, v8, 1.0
	v_fma_f32 v1, -v7, v9, 1.0
	s_delay_alu instid0(VALU_DEP_1) | instskip(SKIP_1) | instid1(VALU_DEP_2)
	v_dual_fmac_f32 v8, v0, v8 :: v_dual_fmac_f32 v9, v1, v9
	v_mad_u64_u32 v[0:1], null, v226, s9, v[146:147]
	v_dual_mul_f32 v12, v10, v8 :: v_dual_mul_f32 v13, v11, v9
	s_delay_alu instid0(VALU_DEP_2) | instskip(NEXT) | instid1(VALU_DEP_2)
	v_mad_u64_u32 v[1:2], null, v0, 48, v[161:162]
	v_fma_f32 v14, -v6, v12, v10
	s_delay_alu instid0(VALU_DEP_3) | instskip(NEXT) | instid1(VALU_DEP_1)
	v_fma_f32 v15, -v7, v13, v11
	v_dual_fmac_f32 v12, v14, v8 :: v_dual_fmac_f32 v13, v15, v9
	s_delay_alu instid0(VALU_DEP_4) | instskip(NEXT) | instid1(VALU_DEP_2)
	v_ashrrev_i32_e32 v2, 31, v1
	v_fma_f32 v0, -v6, v12, v10
	s_delay_alu instid0(VALU_DEP_3) | instskip(NEXT) | instid1(VALU_DEP_2)
	v_fma_f32 v6, -v7, v13, v11
	v_div_fmas_f32 v7, v0, v8, v12
	s_delay_alu instid0(VALU_DEP_4) | instskip(SKIP_1) | instid1(VALU_DEP_3)
	v_lshlrev_b64 v[0:1], 3, v[1:2]
	s_mov_b32 vcc_lo, s1
	v_div_fmas_f32 v6, v6, v9, v13
	s_delay_alu instid0(VALU_DEP_3) | instskip(NEXT) | instid1(VALU_DEP_3)
	v_div_fixup_f32 v2, v7, v3, v4
	v_add_co_u32 v4, vcc_lo, s49, v0
	s_delay_alu instid0(VALU_DEP_3)
	v_div_fixup_f32 v3, v6, v3, v5
	v_add_co_ci_u32_e32 v5, vcc_lo, s67, v1, vcc_lo
	v_mov_b32_e32 v0, 0
	global_store_b64 v[4:5], v[2:3], off
.LBB14_426:                             ;   in Loop: Header=BB14_13 Depth=1
	s_or_b32 exec_lo, exec_lo, s0
	s_mov_b32 s0, -1
	s_mov_b32 s1, exec_lo
	v_cmpx_gt_i32_e32 50, v0
; %bb.427:                              ;   in Loop: Header=BB14_13 Depth=1
	v_cmp_eq_u32_e32 vcc_lo, 0, v0
	s_or_not1_b32 s0, vcc_lo, exec_lo
; %bb.428:                              ;   in Loop: Header=BB14_13 Depth=1
	s_or_b32 exec_lo, exec_lo, s1
	s_delay_alu instid0(SALU_CYCLE_1)
	s_and_b32 exec_lo, exec_lo, s0
	s_cbranch_execz .LBB14_431
; %bb.429:                              ;   in Loop: Header=BB14_13 Depth=1
	s_and_b32 exec_lo, exec_lo, s88
	s_cbranch_execz .LBB14_431
; %bb.430:                              ;   in Loop: Header=BB14_13 Depth=1
	scratch_load_b32 v1, off, off offset:292 ; 4-byte Folded Reload
	ds_load_b32 v0, v232 offset:9984
	s_waitcnt vmcnt(0)
	ds_load_b32 v3, v1 offset:12676
	s_waitcnt lgkmcnt(1)
	v_lshrrev_b32_e32 v1, 16, v0
	v_cvt_f32_f16_e32 v0, v0
	s_delay_alu instid0(VALU_DEP_2) | instskip(NEXT) | instid1(VALU_DEP_1)
	v_cvt_f32_f16_e32 v1, v1
	v_dual_add_f32 v4, 0, v0 :: v_dual_add_f32 v5, 0, v1
	s_waitcnt lgkmcnt(0)
	s_delay_alu instid0(VALU_DEP_1) | instskip(NEXT) | instid1(VALU_DEP_2)
	v_div_scale_f32 v6, null, v3, v3, v4
	v_div_scale_f32 v7, null, v3, v3, v5
	v_div_scale_f32 v10, vcc_lo, v4, v3, v4
	s_delay_alu instid0(VALU_DEP_3) | instskip(NEXT) | instid1(VALU_DEP_2)
	v_rcp_f32_e32 v8, v6
	v_rcp_f32_e32 v9, v7
	v_div_scale_f32 v11, s1, v5, v3, v5
	s_waitcnt_depctr 0xfff
	v_fma_f32 v0, -v6, v8, 1.0
	v_fma_f32 v1, -v7, v9, 1.0
	s_delay_alu instid0(VALU_DEP_1) | instskip(SKIP_1) | instid1(VALU_DEP_2)
	v_dual_fmac_f32 v8, v0, v8 :: v_dual_fmac_f32 v9, v1, v9
	v_mad_u64_u32 v[0:1], null, v225, s9, v[146:147]
	v_dual_mul_f32 v12, v10, v8 :: v_dual_mul_f32 v13, v11, v9
	s_delay_alu instid0(VALU_DEP_2) | instskip(NEXT) | instid1(VALU_DEP_2)
	v_mad_u64_u32 v[1:2], null, v0, 48, v[161:162]
	v_fma_f32 v14, -v6, v12, v10
	s_delay_alu instid0(VALU_DEP_3) | instskip(NEXT) | instid1(VALU_DEP_1)
	v_fma_f32 v15, -v7, v13, v11
	v_dual_fmac_f32 v12, v14, v8 :: v_dual_fmac_f32 v13, v15, v9
	s_delay_alu instid0(VALU_DEP_4) | instskip(NEXT) | instid1(VALU_DEP_2)
	v_ashrrev_i32_e32 v2, 31, v1
	v_fma_f32 v0, -v6, v12, v10
	s_delay_alu instid0(VALU_DEP_3) | instskip(NEXT) | instid1(VALU_DEP_2)
	v_fma_f32 v6, -v7, v13, v11
	v_div_fmas_f32 v7, v0, v8, v12
	s_delay_alu instid0(VALU_DEP_4) | instskip(SKIP_1) | instid1(VALU_DEP_3)
	v_lshlrev_b64 v[0:1], 3, v[1:2]
	s_mov_b32 vcc_lo, s1
	v_div_fmas_f32 v6, v6, v9, v13
	s_delay_alu instid0(VALU_DEP_3) | instskip(NEXT) | instid1(VALU_DEP_3)
	v_div_fixup_f32 v2, v7, v3, v4
	v_add_co_u32 v0, vcc_lo, s49, v0
	s_delay_alu instid0(VALU_DEP_3)
	v_div_fixup_f32 v3, v6, v3, v5
	v_add_co_ci_u32_e32 v1, vcc_lo, s67, v1, vcc_lo
	global_store_b64 v[0:1], v[2:3], off
.LBB14_431:                             ;   in Loop: Header=BB14_13 Depth=1
	s_or_b32 exec_lo, exec_lo, s2
	v_mov_b32_e32 v0, 50
	s_and_saveexec_b32 s0, s61
	s_cbranch_execz .LBB14_433
; %bb.432:                              ;   in Loop: Header=BB14_13 Depth=1
	scratch_load_b32 v1, off, off offset:372 ; 4-byte Folded Reload
	ds_load_b32 v0, v191 offset:128
	s_waitcnt vmcnt(0)
	ds_load_b32 v3, v1 offset:196
	s_waitcnt lgkmcnt(1)
	v_lshrrev_b32_e32 v1, 16, v0
	v_cvt_f32_f16_e32 v0, v0
	s_delay_alu instid0(VALU_DEP_2) | instskip(NEXT) | instid1(VALU_DEP_2)
	v_cvt_f32_f16_e32 v1, v1
	v_add_f32_e32 v2, 0, v0
	s_waitcnt lgkmcnt(0)
	s_delay_alu instid0(VALU_DEP_1) | instskip(NEXT) | instid1(VALU_DEP_1)
	v_div_scale_f32 v5, null, v3, v3, v2
	v_rcp_f32_e32 v7, v5
	s_waitcnt_depctr 0xfff
	v_fma_f32 v9, -v5, v7, 1.0
	s_delay_alu instid0(VALU_DEP_1) | instskip(SKIP_3) | instid1(VALU_DEP_3)
	v_fmac_f32_e32 v7, v9, v7
	v_div_scale_f32 v10, vcc_lo, v2, v3, v2
	v_add_f32_e32 v4, 0, v1
	v_mad_u64_u32 v[0:1], null, v188, s9, v[244:245]
	v_mul_f32_e32 v11, v10, v7
	s_delay_alu instid0(VALU_DEP_3) | instskip(SKIP_1) | instid1(VALU_DEP_4)
	v_div_scale_f32 v6, null, v3, v3, v4
	v_div_scale_f32 v9, s1, v4, v3, v4
	v_mul_lo_u32 v0, v0, 48
	s_delay_alu instid0(VALU_DEP_3) | instskip(SKIP_2) | instid1(VALU_DEP_1)
	v_rcp_f32_e32 v8, v6
	s_waitcnt_depctr 0xfff
	v_fma_f32 v1, -v6, v8, 1.0
	v_fmac_f32_e32 v8, v1, v8
	v_fma_f32 v1, -v5, v11, v10
	s_delay_alu instid0(VALU_DEP_2) | instskip(NEXT) | instid1(VALU_DEP_2)
	v_mul_f32_e32 v12, v9, v8
	v_fmac_f32_e32 v11, v1, v7
	v_ashrrev_i32_e32 v1, 31, v0
	v_or_b32_e32 v0, v0, v148
	s_delay_alu instid0(VALU_DEP_4) | instskip(NEXT) | instid1(VALU_DEP_4)
	v_fma_f32 v13, -v6, v12, v9
	v_fma_f32 v5, -v5, v11, v10
	s_delay_alu instid0(VALU_DEP_4) | instskip(NEXT) | instid1(VALU_DEP_3)
	v_or_b32_e32 v1, 0, v1
	v_fmac_f32_e32 v12, v13, v8
	s_delay_alu instid0(VALU_DEP_3) | instskip(SKIP_1) | instid1(VALU_DEP_3)
	v_div_fmas_f32 v5, v5, v7, v11
	s_mov_b32 vcc_lo, s1
	v_lshlrev_b64 v[0:1], 3, v[0:1]
	s_delay_alu instid0(VALU_DEP_3) | instskip(NEXT) | instid1(VALU_DEP_3)
	v_fma_f32 v6, -v6, v12, v9
	v_div_fixup_f32 v2, v5, v3, v2
	s_delay_alu instid0(VALU_DEP_2) | instskip(NEXT) | instid1(VALU_DEP_1)
	v_div_fmas_f32 v6, v6, v8, v12
	v_div_fixup_f32 v3, v6, v3, v4
	v_add_co_u32 v4, vcc_lo, s49, v0
	v_mov_b32_e32 v0, 0
	v_add_co_ci_u32_e32 v5, vcc_lo, s67, v1, vcc_lo
	global_store_b64 v[4:5], v[2:3], off offset:256
.LBB14_433:                             ;   in Loop: Header=BB14_13 Depth=1
	s_or_b32 exec_lo, exec_lo, s0
	v_readlane_b32 s50, v255, 30
	s_mov_b32 s1, -1
	s_mov_b32 s0, exec_lo
	v_readlane_b32 s51, v255, 31
	v_cmpx_gt_i32_e32 50, v0
; %bb.434:                              ;   in Loop: Header=BB14_13 Depth=1
	v_cmp_eq_u32_e32 vcc_lo, 0, v0
	s_or_not1_b32 s1, vcc_lo, exec_lo
; %bb.435:                              ;   in Loop: Header=BB14_13 Depth=1
	s_or_b32 exec_lo, exec_lo, s0
                                        ; implicit-def: $vgpr1
                                        ; implicit-def: $vgpr2
	s_and_saveexec_b32 s0, s1
	s_cbranch_execz .LBB14_475
; %bb.436:                              ;   in Loop: Header=BB14_13 Depth=1
	v_mov_b32_e32 v0, 50
	s_and_saveexec_b32 s2, s54
	s_cbranch_execz .LBB14_438
; %bb.437:                              ;   in Loop: Header=BB14_13 Depth=1
	scratch_load_b32 v1, off, off offset:372 ; 4-byte Folded Reload
	ds_load_b32 v0, v191 offset:1792
	s_waitcnt vmcnt(0)
	ds_load_b32 v3, v1 offset:1860
	s_waitcnt lgkmcnt(1)
	v_lshrrev_b32_e32 v1, 16, v0
	v_cvt_f32_f16_e32 v0, v0
	s_delay_alu instid0(VALU_DEP_2) | instskip(NEXT) | instid1(VALU_DEP_2)
	v_cvt_f32_f16_e32 v1, v1
	v_add_f32_e32 v2, 0, v0
	s_waitcnt lgkmcnt(0)
	s_delay_alu instid0(VALU_DEP_1) | instskip(NEXT) | instid1(VALU_DEP_1)
	v_div_scale_f32 v5, null, v3, v3, v2
	v_rcp_f32_e32 v7, v5
	s_waitcnt_depctr 0xfff
	v_fma_f32 v9, -v5, v7, 1.0
	s_delay_alu instid0(VALU_DEP_1) | instskip(SKIP_3) | instid1(VALU_DEP_3)
	v_fmac_f32_e32 v7, v9, v7
	v_div_scale_f32 v10, vcc_lo, v2, v3, v2
	v_add_f32_e32 v4, 0, v1
	v_mad_u64_u32 v[0:1], null, v183, s9, v[244:245]
	v_mul_f32_e32 v11, v10, v7
	s_delay_alu instid0(VALU_DEP_3) | instskip(SKIP_1) | instid1(VALU_DEP_4)
	v_div_scale_f32 v6, null, v3, v3, v4
	v_div_scale_f32 v9, s1, v4, v3, v4
	v_mul_lo_u32 v0, v0, 48
	s_delay_alu instid0(VALU_DEP_3) | instskip(SKIP_2) | instid1(VALU_DEP_1)
	v_rcp_f32_e32 v8, v6
	s_waitcnt_depctr 0xfff
	v_fma_f32 v1, -v6, v8, 1.0
	v_fmac_f32_e32 v8, v1, v8
	v_fma_f32 v1, -v5, v11, v10
	s_delay_alu instid0(VALU_DEP_2) | instskip(NEXT) | instid1(VALU_DEP_2)
	v_mul_f32_e32 v12, v9, v8
	v_fmac_f32_e32 v11, v1, v7
	v_ashrrev_i32_e32 v1, 31, v0
	v_or_b32_e32 v0, v0, v148
	s_delay_alu instid0(VALU_DEP_4) | instskip(NEXT) | instid1(VALU_DEP_4)
	v_fma_f32 v13, -v6, v12, v9
	v_fma_f32 v5, -v5, v11, v10
	s_delay_alu instid0(VALU_DEP_4) | instskip(NEXT) | instid1(VALU_DEP_3)
	v_or_b32_e32 v1, 0, v1
	v_fmac_f32_e32 v12, v13, v8
	s_delay_alu instid0(VALU_DEP_3) | instskip(SKIP_1) | instid1(VALU_DEP_3)
	v_div_fmas_f32 v5, v5, v7, v11
	s_mov_b32 vcc_lo, s1
	v_lshlrev_b64 v[0:1], 3, v[0:1]
	s_delay_alu instid0(VALU_DEP_3) | instskip(NEXT) | instid1(VALU_DEP_3)
	v_fma_f32 v6, -v6, v12, v9
	v_div_fixup_f32 v2, v5, v3, v2
	s_delay_alu instid0(VALU_DEP_2) | instskip(NEXT) | instid1(VALU_DEP_1)
	v_div_fmas_f32 v6, v6, v8, v12
	v_div_fixup_f32 v3, v6, v3, v4
	v_add_co_u32 v4, vcc_lo, s49, v0
	v_mov_b32_e32 v0, 0
	v_add_co_ci_u32_e32 v5, vcc_lo, s67, v1, vcc_lo
	global_store_b64 v[4:5], v[2:3], off offset:256
.LBB14_438:                             ;   in Loop: Header=BB14_13 Depth=1
	s_or_b32 exec_lo, exec_lo, s2
	s_mov_b32 s3, -1
	s_mov_b32 s1, exec_lo
	v_cmpx_gt_i32_e32 50, v0
; %bb.439:                              ;   in Loop: Header=BB14_13 Depth=1
	v_cmp_eq_u32_e32 vcc_lo, 0, v0
	s_or_not1_b32 s3, vcc_lo, exec_lo
; %bb.440:                              ;   in Loop: Header=BB14_13 Depth=1
	s_or_b32 exec_lo, exec_lo, s1
	s_mov_b32 s1, s75
                                        ; implicit-def: $vgpr1
                                        ; implicit-def: $vgpr2
	s_and_saveexec_b32 s2, s3
	s_cbranch_execz .LBB14_474
; %bb.441:                              ;   in Loop: Header=BB14_13 Depth=1
	v_mov_b32_e32 v0, 50
	s_and_saveexec_b32 s3, s76
	s_cbranch_execz .LBB14_443
; %bb.442:                              ;   in Loop: Header=BB14_13 Depth=1
	s_clause 0x1
	scratch_load_b32 v0, off, off offset:508
	scratch_load_b32 v1, off, off offset:512
	s_waitcnt vmcnt(1)
	ds_load_b32 v0, v0 offset:128
	s_waitcnt vmcnt(0)
	ds_load_b32 v3, v1 offset:196
	s_waitcnt lgkmcnt(1)
	v_lshrrev_b32_e32 v1, 16, v0
	v_cvt_f32_f16_e32 v0, v0
	s_delay_alu instid0(VALU_DEP_2) | instskip(NEXT) | instid1(VALU_DEP_2)
	v_cvt_f32_f16_e32 v1, v1
	v_add_f32_e32 v2, 0, v0
	s_waitcnt lgkmcnt(0)
	s_delay_alu instid0(VALU_DEP_1) | instskip(NEXT) | instid1(VALU_DEP_1)
	v_div_scale_f32 v5, null, v3, v3, v2
	v_rcp_f32_e32 v7, v5
	s_waitcnt_depctr 0xfff
	v_fma_f32 v9, -v5, v7, 1.0
	s_delay_alu instid0(VALU_DEP_1) | instskip(SKIP_3) | instid1(VALU_DEP_3)
	v_fmac_f32_e32 v7, v9, v7
	v_div_scale_f32 v10, vcc_lo, v2, v3, v2
	v_add_f32_e32 v4, 0, v1
	v_mad_u64_u32 v[0:1], null, v180, s9, v[244:245]
	v_mul_f32_e32 v11, v10, v7
	s_delay_alu instid0(VALU_DEP_3) | instskip(SKIP_1) | instid1(VALU_DEP_4)
	v_div_scale_f32 v6, null, v3, v3, v4
	v_div_scale_f32 v9, s1, v4, v3, v4
	v_mul_lo_u32 v0, v0, 48
	s_delay_alu instid0(VALU_DEP_3) | instskip(SKIP_2) | instid1(VALU_DEP_1)
	v_rcp_f32_e32 v8, v6
	s_waitcnt_depctr 0xfff
	v_fma_f32 v1, -v6, v8, 1.0
	v_fmac_f32_e32 v8, v1, v8
	v_fma_f32 v1, -v5, v11, v10
	s_delay_alu instid0(VALU_DEP_2) | instskip(NEXT) | instid1(VALU_DEP_2)
	v_mul_f32_e32 v12, v9, v8
	v_fmac_f32_e32 v11, v1, v7
	v_ashrrev_i32_e32 v1, 31, v0
	v_or_b32_e32 v0, v0, v148
	s_delay_alu instid0(VALU_DEP_4) | instskip(NEXT) | instid1(VALU_DEP_4)
	v_fma_f32 v13, -v6, v12, v9
	v_fma_f32 v5, -v5, v11, v10
	s_delay_alu instid0(VALU_DEP_4) | instskip(NEXT) | instid1(VALU_DEP_3)
	v_or_b32_e32 v1, 0, v1
	v_fmac_f32_e32 v12, v13, v8
	s_delay_alu instid0(VALU_DEP_3) | instskip(SKIP_1) | instid1(VALU_DEP_3)
	v_div_fmas_f32 v5, v5, v7, v11
	s_mov_b32 vcc_lo, s1
	v_lshlrev_b64 v[0:1], 3, v[0:1]
	s_delay_alu instid0(VALU_DEP_3) | instskip(NEXT) | instid1(VALU_DEP_3)
	v_fma_f32 v6, -v6, v12, v9
	v_div_fixup_f32 v2, v5, v3, v2
	s_delay_alu instid0(VALU_DEP_2) | instskip(NEXT) | instid1(VALU_DEP_1)
	v_div_fmas_f32 v6, v6, v8, v12
	v_div_fixup_f32 v3, v6, v3, v4
	v_add_co_u32 v4, vcc_lo, s49, v0
	v_mov_b32_e32 v0, 0
	v_add_co_ci_u32_e32 v5, vcc_lo, s67, v1, vcc_lo
	global_store_b64 v[4:5], v[2:3], off offset:256
.LBB14_443:                             ;   in Loop: Header=BB14_13 Depth=1
	s_or_b32 exec_lo, exec_lo, s3
	s_mov_b32 s4, -1
	s_mov_b32 s1, exec_lo
	v_cmpx_gt_i32_e32 50, v0
; %bb.444:                              ;   in Loop: Header=BB14_13 Depth=1
	v_cmp_eq_u32_e32 vcc_lo, 0, v0
	s_or_not1_b32 s4, vcc_lo, exec_lo
; %bb.445:                              ;   in Loop: Header=BB14_13 Depth=1
	s_or_b32 exec_lo, exec_lo, s1
	s_mov_b32 s1, s75
                                        ; implicit-def: $vgpr1
                                        ; implicit-def: $vgpr2
	s_and_saveexec_b32 s3, s4
	s_cbranch_execz .LBB14_473
; %bb.446:                              ;   in Loop: Header=BB14_13 Depth=1
	v_mov_b32_e32 v0, 50
	s_and_saveexec_b32 s4, s79
	s_cbranch_execz .LBB14_448
; %bb.447:                              ;   in Loop: Header=BB14_13 Depth=1
	scratch_load_b32 v1, off, off offset:372 ; 4-byte Folded Reload
	ds_load_b32 v0, v191 offset:5120
	s_waitcnt vmcnt(0)
	ds_load_b32 v3, v1 offset:5188
	s_waitcnt lgkmcnt(1)
	v_lshrrev_b32_e32 v1, 16, v0
	v_cvt_f32_f16_e32 v0, v0
	s_delay_alu instid0(VALU_DEP_2) | instskip(NEXT) | instid1(VALU_DEP_2)
	v_cvt_f32_f16_e32 v1, v1
	v_add_f32_e32 v2, 0, v0
	s_waitcnt lgkmcnt(0)
	s_delay_alu instid0(VALU_DEP_1) | instskip(NEXT) | instid1(VALU_DEP_1)
	v_div_scale_f32 v5, null, v3, v3, v2
	v_rcp_f32_e32 v7, v5
	s_waitcnt_depctr 0xfff
	v_fma_f32 v9, -v5, v7, 1.0
	s_delay_alu instid0(VALU_DEP_1) | instskip(SKIP_3) | instid1(VALU_DEP_3)
	v_fmac_f32_e32 v7, v9, v7
	v_div_scale_f32 v10, vcc_lo, v2, v3, v2
	v_add_f32_e32 v4, 0, v1
	v_mad_u64_u32 v[0:1], null, v178, s9, v[244:245]
	v_mul_f32_e32 v11, v10, v7
	s_delay_alu instid0(VALU_DEP_3) | instskip(SKIP_1) | instid1(VALU_DEP_4)
	v_div_scale_f32 v6, null, v3, v3, v4
	v_div_scale_f32 v9, s1, v4, v3, v4
	v_mul_lo_u32 v0, v0, 48
	s_delay_alu instid0(VALU_DEP_3) | instskip(SKIP_2) | instid1(VALU_DEP_1)
	v_rcp_f32_e32 v8, v6
	s_waitcnt_depctr 0xfff
	v_fma_f32 v1, -v6, v8, 1.0
	v_fmac_f32_e32 v8, v1, v8
	v_fma_f32 v1, -v5, v11, v10
	s_delay_alu instid0(VALU_DEP_2) | instskip(NEXT) | instid1(VALU_DEP_2)
	v_mul_f32_e32 v12, v9, v8
	v_fmac_f32_e32 v11, v1, v7
	v_ashrrev_i32_e32 v1, 31, v0
	v_or_b32_e32 v0, v0, v148
	s_delay_alu instid0(VALU_DEP_4) | instskip(NEXT) | instid1(VALU_DEP_4)
	v_fma_f32 v13, -v6, v12, v9
	v_fma_f32 v5, -v5, v11, v10
	s_delay_alu instid0(VALU_DEP_4) | instskip(NEXT) | instid1(VALU_DEP_3)
	v_or_b32_e32 v1, 0, v1
	v_fmac_f32_e32 v12, v13, v8
	s_delay_alu instid0(VALU_DEP_3) | instskip(SKIP_1) | instid1(VALU_DEP_3)
	v_div_fmas_f32 v5, v5, v7, v11
	s_mov_b32 vcc_lo, s1
	v_lshlrev_b64 v[0:1], 3, v[0:1]
	s_delay_alu instid0(VALU_DEP_3) | instskip(NEXT) | instid1(VALU_DEP_3)
	v_fma_f32 v6, -v6, v12, v9
	v_div_fixup_f32 v2, v5, v3, v2
	s_delay_alu instid0(VALU_DEP_2) | instskip(NEXT) | instid1(VALU_DEP_1)
	v_div_fmas_f32 v6, v6, v8, v12
	v_div_fixup_f32 v3, v6, v3, v4
	v_add_co_u32 v4, vcc_lo, s49, v0
	v_mov_b32_e32 v0, 0
	v_add_co_ci_u32_e32 v5, vcc_lo, s67, v1, vcc_lo
	global_store_b64 v[4:5], v[2:3], off offset:256
.LBB14_448:                             ;   in Loop: Header=BB14_13 Depth=1
	s_or_b32 exec_lo, exec_lo, s4
	s_mov_b32 s5, -1
	s_mov_b32 s1, exec_lo
	v_cmpx_gt_i32_e32 50, v0
; %bb.449:                              ;   in Loop: Header=BB14_13 Depth=1
	v_cmp_eq_u32_e32 vcc_lo, 0, v0
	s_or_not1_b32 s5, vcc_lo, exec_lo
; %bb.450:                              ;   in Loop: Header=BB14_13 Depth=1
	s_or_b32 exec_lo, exec_lo, s1
	s_mov_b32 s1, s75
                                        ; implicit-def: $vgpr1
                                        ; implicit-def: $vgpr2
	s_and_saveexec_b32 s4, s5
	s_cbranch_execz .LBB14_472
; %bb.451:                              ;   in Loop: Header=BB14_13 Depth=1
	v_mov_b32_e32 v0, 50
	s_and_saveexec_b32 s5, s102
	s_cbranch_execz .LBB14_453
; %bb.452:                              ;   in Loop: Header=BB14_13 Depth=1
	s_clause 0x1
	scratch_load_b32 v0, off, off offset:520
	scratch_load_b32 v1, off, off offset:528
	s_waitcnt vmcnt(1)
	ds_load_b32 v0, v0 offset:128
	s_waitcnt vmcnt(0)
	ds_load_b32 v3, v1 offset:196
	s_waitcnt lgkmcnt(1)
	v_lshrrev_b32_e32 v1, 16, v0
	v_cvt_f32_f16_e32 v0, v0
	s_delay_alu instid0(VALU_DEP_2) | instskip(NEXT) | instid1(VALU_DEP_2)
	v_cvt_f32_f16_e32 v1, v1
	v_add_f32_e32 v2, 0, v0
	s_waitcnt lgkmcnt(0)
	s_delay_alu instid0(VALU_DEP_1) | instskip(NEXT) | instid1(VALU_DEP_1)
	v_div_scale_f32 v5, null, v3, v3, v2
	v_rcp_f32_e32 v7, v5
	s_waitcnt_depctr 0xfff
	v_fma_f32 v9, -v5, v7, 1.0
	s_delay_alu instid0(VALU_DEP_1) | instskip(SKIP_3) | instid1(VALU_DEP_3)
	v_fmac_f32_e32 v7, v9, v7
	v_div_scale_f32 v10, vcc_lo, v2, v3, v2
	v_add_f32_e32 v4, 0, v1
	v_mad_u64_u32 v[0:1], null, v175, s9, v[244:245]
	v_mul_f32_e32 v11, v10, v7
	s_delay_alu instid0(VALU_DEP_3) | instskip(SKIP_1) | instid1(VALU_DEP_4)
	v_div_scale_f32 v6, null, v3, v3, v4
	v_div_scale_f32 v9, s1, v4, v3, v4
	v_mul_lo_u32 v0, v0, 48
	s_delay_alu instid0(VALU_DEP_3) | instskip(SKIP_2) | instid1(VALU_DEP_1)
	v_rcp_f32_e32 v8, v6
	s_waitcnt_depctr 0xfff
	v_fma_f32 v1, -v6, v8, 1.0
	v_fmac_f32_e32 v8, v1, v8
	v_fma_f32 v1, -v5, v11, v10
	s_delay_alu instid0(VALU_DEP_2) | instskip(NEXT) | instid1(VALU_DEP_2)
	v_mul_f32_e32 v12, v9, v8
	v_fmac_f32_e32 v11, v1, v7
	v_ashrrev_i32_e32 v1, 31, v0
	v_or_b32_e32 v0, v0, v148
	s_delay_alu instid0(VALU_DEP_4) | instskip(NEXT) | instid1(VALU_DEP_4)
	v_fma_f32 v13, -v6, v12, v9
	v_fma_f32 v5, -v5, v11, v10
	s_delay_alu instid0(VALU_DEP_4) | instskip(NEXT) | instid1(VALU_DEP_3)
	v_or_b32_e32 v1, 0, v1
	v_fmac_f32_e32 v12, v13, v8
	s_delay_alu instid0(VALU_DEP_3) | instskip(SKIP_1) | instid1(VALU_DEP_3)
	v_div_fmas_f32 v5, v5, v7, v11
	s_mov_b32 vcc_lo, s1
	v_lshlrev_b64 v[0:1], 3, v[0:1]
	s_delay_alu instid0(VALU_DEP_3) | instskip(NEXT) | instid1(VALU_DEP_3)
	v_fma_f32 v6, -v6, v12, v9
	v_div_fixup_f32 v2, v5, v3, v2
	s_delay_alu instid0(VALU_DEP_2) | instskip(NEXT) | instid1(VALU_DEP_1)
	v_div_fmas_f32 v6, v6, v8, v12
	v_div_fixup_f32 v3, v6, v3, v4
	v_add_co_u32 v4, vcc_lo, s49, v0
	v_mov_b32_e32 v0, 0
	v_add_co_ci_u32_e32 v5, vcc_lo, s67, v1, vcc_lo
	global_store_b64 v[4:5], v[2:3], off offset:256
.LBB14_453:                             ;   in Loop: Header=BB14_13 Depth=1
	s_or_b32 exec_lo, exec_lo, s5
	s_mov_b32 s6, -1
	s_mov_b32 s1, exec_lo
	v_cmpx_gt_i32_e32 50, v0
; %bb.454:                              ;   in Loop: Header=BB14_13 Depth=1
	v_cmp_eq_u32_e32 vcc_lo, 0, v0
	s_or_not1_b32 s6, vcc_lo, exec_lo
; %bb.455:                              ;   in Loop: Header=BB14_13 Depth=1
	s_or_b32 exec_lo, exec_lo, s1
	s_mov_b32 s1, s75
                                        ; implicit-def: $vgpr1
                                        ; implicit-def: $vgpr2
	s_and_saveexec_b32 s5, s6
	s_cbranch_execz .LBB14_471
; %bb.456:                              ;   in Loop: Header=BB14_13 Depth=1
	v_mov_b32_e32 v0, 50
	s_and_saveexec_b32 s6, s78
	s_cbranch_execz .LBB14_458
; %bb.457:                              ;   in Loop: Header=BB14_13 Depth=1
	scratch_load_b32 v1, off, off offset:372 ; 4-byte Folded Reload
	ds_load_b32 v0, v191 offset:8448
	s_waitcnt vmcnt(0)
	ds_load_b32 v3, v1 offset:8516
	s_waitcnt lgkmcnt(1)
	v_lshrrev_b32_e32 v1, 16, v0
	v_cvt_f32_f16_e32 v0, v0
	s_delay_alu instid0(VALU_DEP_2) | instskip(NEXT) | instid1(VALU_DEP_2)
	v_cvt_f32_f16_e32 v1, v1
	v_add_f32_e32 v2, 0, v0
	s_waitcnt lgkmcnt(0)
	s_delay_alu instid0(VALU_DEP_1) | instskip(NEXT) | instid1(VALU_DEP_1)
	v_div_scale_f32 v5, null, v3, v3, v2
	v_rcp_f32_e32 v7, v5
	s_waitcnt_depctr 0xfff
	v_fma_f32 v9, -v5, v7, 1.0
	s_delay_alu instid0(VALU_DEP_1) | instskip(SKIP_3) | instid1(VALU_DEP_3)
	v_fmac_f32_e32 v7, v9, v7
	v_div_scale_f32 v10, vcc_lo, v2, v3, v2
	v_add_f32_e32 v4, 0, v1
	v_mad_u64_u32 v[0:1], null, v174, s9, v[244:245]
	v_mul_f32_e32 v11, v10, v7
	s_delay_alu instid0(VALU_DEP_3) | instskip(SKIP_1) | instid1(VALU_DEP_4)
	v_div_scale_f32 v6, null, v3, v3, v4
	v_div_scale_f32 v9, s1, v4, v3, v4
	v_mul_lo_u32 v0, v0, 48
	s_delay_alu instid0(VALU_DEP_3) | instskip(SKIP_2) | instid1(VALU_DEP_1)
	v_rcp_f32_e32 v8, v6
	s_waitcnt_depctr 0xfff
	v_fma_f32 v1, -v6, v8, 1.0
	v_fmac_f32_e32 v8, v1, v8
	v_fma_f32 v1, -v5, v11, v10
	s_delay_alu instid0(VALU_DEP_2) | instskip(NEXT) | instid1(VALU_DEP_2)
	v_mul_f32_e32 v12, v9, v8
	v_fmac_f32_e32 v11, v1, v7
	v_ashrrev_i32_e32 v1, 31, v0
	v_or_b32_e32 v0, v0, v148
	s_delay_alu instid0(VALU_DEP_4) | instskip(NEXT) | instid1(VALU_DEP_4)
	v_fma_f32 v13, -v6, v12, v9
	v_fma_f32 v5, -v5, v11, v10
	s_delay_alu instid0(VALU_DEP_4) | instskip(NEXT) | instid1(VALU_DEP_3)
	v_or_b32_e32 v1, 0, v1
	v_fmac_f32_e32 v12, v13, v8
	s_delay_alu instid0(VALU_DEP_3) | instskip(SKIP_1) | instid1(VALU_DEP_3)
	v_div_fmas_f32 v5, v5, v7, v11
	s_mov_b32 vcc_lo, s1
	v_lshlrev_b64 v[0:1], 3, v[0:1]
	s_delay_alu instid0(VALU_DEP_3) | instskip(NEXT) | instid1(VALU_DEP_3)
	v_fma_f32 v6, -v6, v12, v9
	v_div_fixup_f32 v2, v5, v3, v2
	s_delay_alu instid0(VALU_DEP_2) | instskip(NEXT) | instid1(VALU_DEP_1)
	v_div_fmas_f32 v6, v6, v8, v12
	v_div_fixup_f32 v3, v6, v3, v4
	v_add_co_u32 v4, vcc_lo, s49, v0
	v_mov_b32_e32 v0, 0
	v_add_co_ci_u32_e32 v5, vcc_lo, s67, v1, vcc_lo
	global_store_b64 v[4:5], v[2:3], off offset:256
.LBB14_458:                             ;   in Loop: Header=BB14_13 Depth=1
	s_or_b32 exec_lo, exec_lo, s6
	s_mov_b32 s7, -1
	s_mov_b32 s1, exec_lo
	v_cmpx_gt_i32_e32 50, v0
; %bb.459:                              ;   in Loop: Header=BB14_13 Depth=1
	v_cmp_eq_u32_e32 vcc_lo, 0, v0
	s_or_not1_b32 s7, vcc_lo, exec_lo
; %bb.460:                              ;   in Loop: Header=BB14_13 Depth=1
	s_or_b32 exec_lo, exec_lo, s1
	s_mov_b32 s1, s75
                                        ; implicit-def: $vgpr1
                                        ; implicit-def: $vgpr2
	s_and_saveexec_b32 s6, s7
	s_cbranch_execz .LBB14_470
; %bb.461:                              ;   in Loop: Header=BB14_13 Depth=1
	v_mov_b32_e32 v0, 50
	s_and_saveexec_b32 s7, s77
	s_cbranch_execz .LBB14_463
; %bb.462:                              ;   in Loop: Header=BB14_13 Depth=1
	s_clause 0x1
	scratch_load_b32 v0, off, off offset:532
	scratch_load_b32 v1, off, off offset:536
	s_waitcnt vmcnt(1)
	ds_load_b32 v0, v0 offset:128
	s_waitcnt vmcnt(0)
	ds_load_b32 v3, v1 offset:196
	s_waitcnt lgkmcnt(1)
	v_lshrrev_b32_e32 v1, 16, v0
	v_cvt_f32_f16_e32 v0, v0
	s_delay_alu instid0(VALU_DEP_2) | instskip(NEXT) | instid1(VALU_DEP_2)
	v_cvt_f32_f16_e32 v1, v1
	v_add_f32_e32 v2, 0, v0
	s_waitcnt lgkmcnt(0)
	s_delay_alu instid0(VALU_DEP_1) | instskip(NEXT) | instid1(VALU_DEP_1)
	v_div_scale_f32 v5, null, v3, v3, v2
	v_rcp_f32_e32 v7, v5
	s_waitcnt_depctr 0xfff
	v_fma_f32 v9, -v5, v7, 1.0
	s_delay_alu instid0(VALU_DEP_1) | instskip(SKIP_3) | instid1(VALU_DEP_3)
	v_fmac_f32_e32 v7, v9, v7
	v_div_scale_f32 v10, vcc_lo, v2, v3, v2
	v_add_f32_e32 v4, 0, v1
	v_mad_u64_u32 v[0:1], null, v173, s9, v[244:245]
	v_mul_f32_e32 v11, v10, v7
	s_delay_alu instid0(VALU_DEP_3) | instskip(SKIP_1) | instid1(VALU_DEP_4)
	v_div_scale_f32 v6, null, v3, v3, v4
	v_div_scale_f32 v9, s1, v4, v3, v4
	v_mul_lo_u32 v0, v0, 48
	s_delay_alu instid0(VALU_DEP_3) | instskip(SKIP_2) | instid1(VALU_DEP_1)
	v_rcp_f32_e32 v8, v6
	s_waitcnt_depctr 0xfff
	v_fma_f32 v1, -v6, v8, 1.0
	v_fmac_f32_e32 v8, v1, v8
	v_fma_f32 v1, -v5, v11, v10
	s_delay_alu instid0(VALU_DEP_2) | instskip(NEXT) | instid1(VALU_DEP_2)
	v_mul_f32_e32 v12, v9, v8
	v_fmac_f32_e32 v11, v1, v7
	v_ashrrev_i32_e32 v1, 31, v0
	v_or_b32_e32 v0, v0, v148
	s_delay_alu instid0(VALU_DEP_4) | instskip(NEXT) | instid1(VALU_DEP_4)
	v_fma_f32 v13, -v6, v12, v9
	v_fma_f32 v5, -v5, v11, v10
	s_delay_alu instid0(VALU_DEP_4) | instskip(NEXT) | instid1(VALU_DEP_3)
	v_or_b32_e32 v1, 0, v1
	v_fmac_f32_e32 v12, v13, v8
	s_delay_alu instid0(VALU_DEP_3) | instskip(SKIP_1) | instid1(VALU_DEP_3)
	v_div_fmas_f32 v5, v5, v7, v11
	s_mov_b32 vcc_lo, s1
	v_lshlrev_b64 v[0:1], 3, v[0:1]
	s_delay_alu instid0(VALU_DEP_3) | instskip(NEXT) | instid1(VALU_DEP_3)
	v_fma_f32 v6, -v6, v12, v9
	v_div_fixup_f32 v2, v5, v3, v2
	s_delay_alu instid0(VALU_DEP_2) | instskip(NEXT) | instid1(VALU_DEP_1)
	v_div_fmas_f32 v6, v6, v8, v12
	v_div_fixup_f32 v3, v6, v3, v4
	v_add_co_u32 v4, vcc_lo, s49, v0
	v_mov_b32_e32 v0, 0
	v_add_co_ci_u32_e32 v5, vcc_lo, s67, v1, vcc_lo
	global_store_b64 v[4:5], v[2:3], off offset:256
.LBB14_463:                             ;   in Loop: Header=BB14_13 Depth=1
	s_or_b32 exec_lo, exec_lo, s7
	s_mov_b32 s14, -1
	s_mov_b32 s1, exec_lo
	v_cmpx_gt_i32_e32 50, v0
; %bb.464:                              ;   in Loop: Header=BB14_13 Depth=1
	v_cmp_eq_u32_e32 vcc_lo, 0, v0
	s_or_not1_b32 s14, vcc_lo, exec_lo
; %bb.465:                              ;   in Loop: Header=BB14_13 Depth=1
	s_or_b32 exec_lo, exec_lo, s1
	s_mov_b32 s1, s75
                                        ; implicit-def: $vgpr1
                                        ; implicit-def: $vgpr2
	s_and_saveexec_b32 s7, s14
	s_cbranch_execz .LBB14_469
; %bb.466:                              ;   in Loop: Header=BB14_13 Depth=1
	s_mov_b32 s1, s75
                                        ; implicit-def: $vgpr1
                                        ; implicit-def: $vgpr2
	s_and_saveexec_b32 s14, s74
	s_cbranch_execz .LBB14_468
; %bb.467:                              ;   in Loop: Header=BB14_13 Depth=1
	scratch_load_b32 v1, off, off offset:372 ; 4-byte Folded Reload
	ds_load_b32 v0, v191 offset:11776
	s_waitcnt vmcnt(0)
	ds_load_b32 v1, v1 offset:11844
	s_waitcnt lgkmcnt(1)
	v_lshrrev_b32_e32 v2, 16, v0
	v_cvt_f32_f16_e32 v0, v0
	s_delay_alu instid0(VALU_DEP_2) | instskip(NEXT) | instid1(VALU_DEP_2)
	v_cvt_f32_f16_e32 v2, v2
	v_add_f32_e32 v0, 0, v0
	s_delay_alu instid0(VALU_DEP_2) | instskip(SKIP_1) | instid1(VALU_DEP_2)
	v_add_f32_e32 v4, 0, v2
	s_waitcnt lgkmcnt(0)
	v_div_scale_f32 v2, null, v1, v1, v0
	s_delay_alu instid0(VALU_DEP_2) | instskip(NEXT) | instid1(VALU_DEP_2)
	v_div_scale_f32 v3, null, v1, v1, v4
	v_rcp_f32_e32 v5, v2
	s_delay_alu instid0(VALU_DEP_1) | instskip(SKIP_3) | instid1(VALU_DEP_2)
	v_rcp_f32_e32 v6, v3
	s_waitcnt_depctr 0xfff
	v_fma_f32 v7, -v2, v5, 1.0
	v_fma_f32 v8, -v3, v6, 1.0
	v_fmac_f32_e32 v5, v7, v5
	v_div_scale_f32 v9, vcc_lo, v0, v1, v0
	v_div_scale_f32 v7, s1, v4, v1, v4
	s_delay_alu instid0(VALU_DEP_4) | instskip(NEXT) | instid1(VALU_DEP_3)
	v_fmac_f32_e32 v6, v8, v6
	v_mul_f32_e32 v8, v9, v5
	s_delay_alu instid0(VALU_DEP_2) | instskip(NEXT) | instid1(VALU_DEP_2)
	v_mul_f32_e32 v10, v7, v6
	v_fma_f32 v11, -v2, v8, v9
	s_delay_alu instid0(VALU_DEP_2) | instskip(NEXT) | instid1(VALU_DEP_2)
	v_fma_f32 v12, -v3, v10, v7
	v_fmac_f32_e32 v8, v11, v5
	s_delay_alu instid0(VALU_DEP_2) | instskip(NEXT) | instid1(VALU_DEP_2)
	v_fmac_f32_e32 v10, v12, v6
	v_fma_f32 v2, -v2, v8, v9
	s_delay_alu instid0(VALU_DEP_2) | instskip(NEXT) | instid1(VALU_DEP_2)
	v_fma_f32 v3, -v3, v10, v7
	v_div_fmas_f32 v5, v2, v5, v8
	s_mov_b32 vcc_lo, s1
	s_or_b32 s1, s75, exec_lo
	s_delay_alu instid0(VALU_DEP_2) | instskip(SKIP_2) | instid1(VALU_DEP_3)
	v_div_fmas_f32 v6, v3, v6, v10
	v_mad_u64_u32 v[2:3], null, v169, s9, v[244:245]
	v_div_fixup_f32 v0, v5, v1, v0
	v_div_fixup_f32 v1, v6, v1, v4
.LBB14_468:                             ;   in Loop: Header=BB14_13 Depth=1
	s_or_b32 exec_lo, exec_lo, s14
	s_delay_alu instid0(SALU_CYCLE_1) | instskip(SKIP_1) | instid1(SALU_CYCLE_1)
	s_and_not1_b32 s14, s75, exec_lo
	s_and_b32 s1, s1, exec_lo
	s_or_b32 s1, s14, s1
.LBB14_469:                             ;   in Loop: Header=BB14_13 Depth=1
	s_or_b32 exec_lo, exec_lo, s7
	s_delay_alu instid0(SALU_CYCLE_1) | instskip(SKIP_1) | instid1(SALU_CYCLE_1)
	s_and_not1_b32 s7, s75, exec_lo
	s_and_b32 s1, s1, exec_lo
	s_or_b32 s1, s7, s1
.LBB14_470:                             ;   in Loop: Header=BB14_13 Depth=1
	s_or_b32 exec_lo, exec_lo, s6
	s_delay_alu instid0(SALU_CYCLE_1) | instskip(SKIP_1) | instid1(SALU_CYCLE_1)
	s_and_not1_b32 s6, s75, exec_lo
	s_and_b32 s1, s1, exec_lo
	s_or_b32 s1, s6, s1
.LBB14_471:                             ;   in Loop: Header=BB14_13 Depth=1
	s_or_b32 exec_lo, exec_lo, s5
	s_delay_alu instid0(SALU_CYCLE_1) | instskip(SKIP_1) | instid1(SALU_CYCLE_1)
	s_and_not1_b32 s5, s75, exec_lo
	s_and_b32 s1, s1, exec_lo
	s_or_b32 s1, s5, s1
.LBB14_472:                             ;   in Loop: Header=BB14_13 Depth=1
	s_or_b32 exec_lo, exec_lo, s4
	s_delay_alu instid0(SALU_CYCLE_1) | instskip(SKIP_1) | instid1(SALU_CYCLE_1)
	s_and_not1_b32 s4, s75, exec_lo
	s_and_b32 s1, s1, exec_lo
	s_or_b32 s1, s4, s1
.LBB14_473:                             ;   in Loop: Header=BB14_13 Depth=1
	s_or_b32 exec_lo, exec_lo, s3
	s_delay_alu instid0(SALU_CYCLE_1) | instskip(SKIP_1) | instid1(SALU_CYCLE_1)
	s_and_not1_b32 s3, s75, exec_lo
	s_and_b32 s1, s1, exec_lo
	s_or_b32 s1, s3, s1
.LBB14_474:                             ;   in Loop: Header=BB14_13 Depth=1
	s_or_b32 exec_lo, exec_lo, s2
	s_delay_alu instid0(SALU_CYCLE_1) | instskip(SKIP_1) | instid1(SALU_CYCLE_1)
	s_and_not1_b32 s2, s75, exec_lo
	s_and_b32 s1, s1, exec_lo
	s_or_b32 s75, s2, s1
.LBB14_475:                             ;   in Loop: Header=BB14_13 Depth=1
	s_or_b32 exec_lo, exec_lo, s0
	s_and_saveexec_b32 s0, s75
	s_cbranch_execz .LBB14_12
.LBB14_476:                             ;   in Loop: Header=BB14_13 Depth=1
	v_mul_lo_u32 v2, v2, 48
	s_delay_alu instid0(VALU_DEP_1) | instskip(SKIP_1) | instid1(VALU_DEP_2)
	v_ashrrev_i32_e32 v3, 31, v2
	v_or_b32_e32 v2, v2, v148
	v_or_b32_e32 v3, 0, v3
	s_delay_alu instid0(VALU_DEP_1) | instskip(NEXT) | instid1(VALU_DEP_1)
	v_lshlrev_b64 v[2:3], 3, v[2:3]
	v_add_co_u32 v2, vcc_lo, s49, v2
	s_delay_alu instid0(VALU_DEP_2)
	v_add_co_ci_u32_e32 v3, vcc_lo, s67, v3, vcc_lo
	global_store_b64 v[2:3], v[0:1], off offset:256
	s_branch .LBB14_12
.LBB14_477:
	s_and_not1_b32 vcc_lo, exec_lo, s0
	s_cbranch_vccnz .LBB14_586
; %bb.478:
	v_readlane_b32 s6, v255, 3
	s_abs_i32 s3, s58
	v_readlane_b32 s9, v255, 2
	v_readlane_b32 s11, v255, 1
	s_delay_alu instid0(VALU_DEP_3) | instskip(NEXT) | instid1(SALU_CYCLE_1)
	s_abs_i32 s0, s6
	v_cvt_f32_u32_e32 v0, s0
	s_sub_i32 s2, 0, s0
	s_delay_alu instid0(VALU_DEP_1) | instskip(SKIP_2) | instid1(VALU_DEP_1)
	v_rcp_iflag_f32_e32 v0, v0
	s_waitcnt_depctr 0xfff
	v_mul_f32_e32 v0, 0x4f7ffffe, v0
	v_cvt_u32_f32_e32 v0, v0
	s_delay_alu instid0(VALU_DEP_1) | instskip(NEXT) | instid1(VALU_DEP_1)
	v_readfirstlane_b32 s1, v0
	s_mul_i32 s2, s2, s1
	s_delay_alu instid0(SALU_CYCLE_1) | instskip(NEXT) | instid1(SALU_CYCLE_1)
	s_mul_hi_u32 s2, s1, s2
	s_add_i32 s1, s1, s2
	s_xor_b32 s2, s58, s6
	s_mul_hi_u32 s1, s3, s1
	s_ashr_i32 s2, s2, 31
	s_mul_i32 s4, s1, s0
	s_delay_alu instid0(SALU_CYCLE_1)
	s_sub_i32 s3, s3, s4
	s_add_i32 s4, s1, 1
	s_sub_i32 s5, s3, s0
	s_cmp_ge_u32 s3, s0
	s_cselect_b32 s1, s4, s1
	s_cselect_b32 s3, s5, s3
	s_add_i32 s4, s1, 1
	s_cmp_ge_u32 s3, s0
	s_cselect_b32 s0, s4, s1
	s_abs_i32 s1, s9
	s_xor_b32 s0, s0, s2
	v_cvt_f32_u32_e32 v0, s1
	s_sub_i32 s2, s0, s2
	s_sub_i32 s0, 0, s1
	s_mul_i32 s4, s2, s6
	s_delay_alu instid0(VALU_DEP_1) | instskip(SKIP_1) | instid1(SALU_CYCLE_1)
	v_rcp_iflag_f32_e32 v0, v0
	s_sub_i32 s4, s58, s4
	s_abs_i32 s5, s4
	s_waitcnt_depctr 0xfff
	v_mul_f32_e32 v0, 0x4f7ffffe, v0
	s_delay_alu instid0(VALU_DEP_1) | instskip(NEXT) | instid1(VALU_DEP_1)
	v_cvt_u32_f32_e32 v0, v0
	v_readfirstlane_b32 s3, v0
	s_delay_alu instid0(VALU_DEP_1) | instskip(NEXT) | instid1(SALU_CYCLE_1)
	s_mul_i32 s0, s0, s3
	s_mul_hi_u32 s0, s3, s0
	s_delay_alu instid0(SALU_CYCLE_1) | instskip(NEXT) | instid1(SALU_CYCLE_1)
	s_add_i32 s3, s3, s0
	s_mul_hi_u32 s0, s5, s3
	s_xor_b32 s3, s4, s9
	s_mul_i32 s6, s0, s1
	s_ashr_i32 s3, s3, 31
	s_sub_i32 s5, s5, s6
	s_add_i32 s6, s0, 1
	s_sub_i32 s7, s5, s1
	s_cmp_ge_u32 s5, s1
	s_cselect_b32 s0, s6, s0
	s_cselect_b32 s5, s7, s5
	s_add_i32 s6, s0, 1
	s_cmp_ge_u32 s5, s1
	s_cselect_b32 s0, s6, s0
	s_abs_i32 s1, s11
	s_xor_b32 s0, s0, s3
	v_cvt_f32_u32_e32 v0, s1
	s_sub_i32 s3, s0, s3
	s_sub_i32 s0, 0, s1
	s_mul_i32 s6, s3, s9
	s_delay_alu instid0(VALU_DEP_1) | instskip(SKIP_1) | instid1(SALU_CYCLE_1)
	v_rcp_iflag_f32_e32 v0, v0
	s_sub_i32 s4, s4, s6
	s_abs_i32 s6, s4
	s_waitcnt_depctr 0xfff
	v_mul_f32_e32 v0, 0x4f7ffffe, v0
	s_delay_alu instid0(VALU_DEP_1) | instskip(NEXT) | instid1(VALU_DEP_1)
	v_cvt_u32_f32_e32 v0, v0
	v_readfirstlane_b32 s5, v0
	s_delay_alu instid0(VALU_DEP_1) | instskip(NEXT) | instid1(SALU_CYCLE_1)
	s_mul_i32 s0, s0, s5
	s_mul_hi_u32 s0, s5, s0
	s_delay_alu instid0(SALU_CYCLE_1) | instskip(NEXT) | instid1(SALU_CYCLE_1)
	s_add_i32 s5, s5, s0
	s_mul_hi_u32 s0, s6, s5
	s_xor_b32 s5, s4, s11
	s_mul_i32 s7, s0, s1
	s_ashr_i32 s5, s5, 31
	s_sub_i32 s6, s6, s7
	s_add_i32 s7, s0, 1
	s_sub_i32 s9, s6, s1
	s_cmp_ge_u32 s6, s1
	s_cselect_b32 s0, s7, s0
	s_cselect_b32 s6, s9, s6
	s_add_i32 s7, s0, 1
	s_cmp_ge_u32 s6, s1
	s_cselect_b32 s0, s7, s0
	v_readlane_b32 s7, v255, 14
	s_xor_b32 s0, s0, s5
	s_delay_alu instid0(SALU_CYCLE_1) | instskip(NEXT) | instid1(SALU_CYCLE_1)
	s_sub_i32 s0, s0, s5
	s_mul_i32 s1, s0, s11
	s_delay_alu instid0(SALU_CYCLE_1) | instskip(NEXT) | instid1(SALU_CYCLE_1)
	s_sub_i32 s1, s4, s1
	s_abs_i32 s4, s1
	s_ashr_i32 s1, s1, 31
	s_mul_hi_u32 s5, s4, s83
	s_xor_b32 s1, s1, s7
	s_mul_i32 s6, s5, s81
	s_delay_alu instid0(SALU_CYCLE_1)
	s_sub_i32 s4, s4, s6
	s_add_i32 s6, s5, 1
	s_sub_i32 s7, s4, s81
	s_cmp_ge_u32 s4, s81
	s_cselect_b32 s5, s6, s5
	s_cselect_b32 s4, s7, s4
	s_add_i32 s6, s5, 1
	s_cmp_ge_u32 s4, s81
	s_cselect_b32 s5, s6, s5
	s_abs_i32 s4, s50
	s_xor_b32 s5, s5, s1
	v_cvt_f32_u32_e32 v0, s4
	s_sub_i32 s1, s5, s1
	s_cmp_eq_u64 s[26:27], 0
	s_delay_alu instid0(VALU_DEP_1) | instskip(SKIP_2) | instid1(VALU_DEP_1)
	v_rcp_iflag_f32_e32 v0, v0
	s_waitcnt_depctr 0xfff
	v_mul_f32_e32 v0, 0x4f7ffffe, v0
	v_cvt_u32_f32_e32 v0, v0
	s_delay_alu instid0(VALU_DEP_1)
	v_readfirstlane_b32 s7, v0
	v_mov_b32_e32 v0, s101
	s_cbranch_scc1 .LBB14_480
; %bb.479:
	v_readlane_b32 s5, v255, 0
	v_mov_b32_e32 v0, 0
	s_delay_alu instid0(VALU_DEP_2) | instskip(NEXT) | instid1(SALU_CYCLE_1)
	s_mul_i32 s5, s2, s5
	s_add_i32 s14, s1, s5
	s_delay_alu instid0(SALU_CYCLE_1) | instskip(NEXT) | instid1(SALU_CYCLE_1)
	s_ashr_i32 s15, s14, 31
	s_lshl_b64 s[14:15], s[14:15], 2
	s_delay_alu instid0(SALU_CYCLE_1) | instskip(SKIP_4) | instid1(VALU_DEP_1)
	s_add_u32 s14, s26, s14
	s_addc_u32 s15, s27, s15
	global_load_b32 v0, v0, s[14:15]
	s_waitcnt vmcnt(0)
	v_ashrrev_i32_e32 v1, 31, v0
	v_lshrrev_b32_e32 v1, 26, v1
	s_delay_alu instid0(VALU_DEP_1) | instskip(NEXT) | instid1(VALU_DEP_1)
	v_add_nc_u32_e32 v0, v0, v1
	v_ashrrev_i32_e32 v0, 6, v0
	s_delay_alu instid0(VALU_DEP_1)
	v_min_i32_e32 v0, s101, v0
.LBB14_480:
	v_readlane_b32 s14, v255, 6
	v_readlane_b32 s15, v255, 7
	s_mul_i32 s5, s3, s33
	s_lshl_b32 s9, s0, 2
	v_mad_u32_u24 v171, v177, 52, v161
	s_add_i32 s5, s9, s5
	s_mul_i32 s0, s2, s15
	s_mul_i32 s5, s5, s14
	s_ashr_i32 s6, s0, 31
	s_add_u32 s0, s16, s0
	s_addc_u32 s6, s17, s6
	s_ashr_i32 s11, s5, 31
	s_add_u32 s5, s0, s5
	s_addc_u32 s6, s6, s11
	s_lshl_b32 s1, s1, 4
	v_or_b32_e32 v2, s9, v146
	v_add_nc_u32_e32 v1, s1, v147
	s_delay_alu instid0(VALU_DEP_2) | instskip(NEXT) | instid1(VALU_DEP_2)
	v_cmp_gt_i32_e32 vcc_lo, s33, v2
	v_cmp_le_i32_e64 s0, s8, v1
	s_xor_b32 s11, vcc_lo, -1
	s_delay_alu instid0(VALU_DEP_1) | instid1(SALU_CYCLE_1)
	s_or_b32 s0, s0, s11
	s_delay_alu instid0(SALU_CYCLE_1) | instskip(NEXT) | instid1(SALU_CYCLE_1)
	s_and_saveexec_b32 s13, s0
	s_xor_b32 s0, exec_lo, s13
	s_cbranch_execz .LBB14_482
; %bb.481:
	v_lshl_add_u32 v1, v171, 2, 0
	v_mov_b32_e32 v2, 0
	ds_store_b32 v1, v2
                                        ; implicit-def: $vgpr1
.LBB14_482:
	s_or_saveexec_b32 s0, s0
	v_readlane_b32 s15, v255, 17
	s_xor_b32 exec_lo, exec_lo, s0
	s_cbranch_execz .LBB14_484
; %bb.483:
	v_mul_lo_u32 v1, v1, s59
	s_delay_alu instid0(VALU_DEP_2) | instskip(NEXT) | instid1(VALU_DEP_1)
	v_mul_lo_u32 v2, v146, s15
	v_add3_u32 v1, v2, v161, v1
	s_delay_alu instid0(VALU_DEP_1) | instskip(NEXT) | instid1(VALU_DEP_1)
	v_ashrrev_i32_e32 v2, 31, v1
	v_lshlrev_b64 v[1:2], 3, v[1:2]
	s_delay_alu instid0(VALU_DEP_1) | instskip(NEXT) | instid1(VALU_DEP_2)
	v_add_co_u32 v1, vcc_lo, s5, v1
	v_add_co_ci_u32_e32 v2, vcc_lo, s6, v2, vcc_lo
	global_load_b64 v[1:2], v[1:2], off
	s_waitcnt vmcnt(0)
	v_cvt_f16_f32_e32 v1, v1
	v_cvt_f16_f32_e32 v2, v2
	s_delay_alu instid0(VALU_DEP_1) | instskip(SKIP_1) | instid1(VALU_DEP_2)
	v_pack_b32_f16 v1, v1, v2
	v_lshl_add_u32 v2, v171, 2, 0
	v_pk_mul_f16 v1, v195, v1
	ds_store_b32 v2, v1
.LBB14_484:
	s_or_b32 exec_lo, exec_lo, s0
	v_lshrrev_b32_e32 v1, 2, v185
	s_delay_alu instid0(VALU_DEP_1) | instskip(NEXT) | instid1(VALU_DEP_1)
	v_add_nc_u32_e32 v1, s1, v1
	v_cmp_le_i32_e32 vcc_lo, s8, v1
	s_or_b32 s0, vcc_lo, s11
	s_delay_alu instid0(SALU_CYCLE_1) | instskip(NEXT) | instid1(SALU_CYCLE_1)
	s_and_saveexec_b32 s13, s0
	s_xor_b32 s0, exec_lo, s13
	s_cbranch_execz .LBB14_486
; %bb.485:
	v_mad_u32_u24 v1, v185, 52, v161
	v_mov_b32_e32 v2, 0
	s_delay_alu instid0(VALU_DEP_2)
	v_lshl_add_u32 v1, v1, 2, 0
	ds_store_b32 v1, v2
                                        ; implicit-def: $vgpr1
.LBB14_486:
	s_and_not1_saveexec_b32 s0, s0
	s_cbranch_execz .LBB14_488
; %bb.487:
	v_mul_lo_u32 v1, v1, s59
	v_mul_lo_u32 v2, v146, s15
	s_delay_alu instid0(VALU_DEP_1) | instskip(NEXT) | instid1(VALU_DEP_1)
	v_add3_u32 v1, v2, v161, v1
	v_ashrrev_i32_e32 v2, 31, v1
	s_delay_alu instid0(VALU_DEP_1) | instskip(NEXT) | instid1(VALU_DEP_1)
	v_lshlrev_b64 v[1:2], 3, v[1:2]
	v_add_co_u32 v1, vcc_lo, s5, v1
	s_delay_alu instid0(VALU_DEP_2) | instskip(SKIP_4) | instid1(VALU_DEP_1)
	v_add_co_ci_u32_e32 v2, vcc_lo, s6, v2, vcc_lo
	global_load_b64 v[1:2], v[1:2], off
	s_waitcnt vmcnt(0)
	v_cvt_f16_f32_e32 v1, v1
	v_cvt_f16_f32_e32 v2, v2
	v_pack_b32_f16 v1, v1, v2
	v_mad_u32_u24 v2, v185, 52, v161
	s_delay_alu instid0(VALU_DEP_2) | instskip(NEXT) | instid1(VALU_DEP_2)
	v_pk_mul_f16 v1, v195, v1
	v_lshl_add_u32 v2, v2, 2, 0
	ds_store_b32 v2, v1
.LBB14_488:
	s_or_b32 exec_lo, exec_lo, s0
	v_lshrrev_b32_e32 v1, 2, v179
	s_delay_alu instid0(VALU_DEP_1) | instskip(NEXT) | instid1(VALU_DEP_1)
	v_add_nc_u32_e32 v1, s1, v1
	v_cmp_le_i32_e32 vcc_lo, s8, v1
	s_or_b32 s0, vcc_lo, s11
	s_delay_alu instid0(SALU_CYCLE_1) | instskip(NEXT) | instid1(SALU_CYCLE_1)
	s_and_saveexec_b32 s13, s0
	s_xor_b32 s0, exec_lo, s13
	s_cbranch_execz .LBB14_490
; %bb.489:
	v_mad_u32_u24 v1, v179, 52, v161
	v_mov_b32_e32 v2, 0
	s_delay_alu instid0(VALU_DEP_2)
	v_lshl_add_u32 v1, v1, 2, 0
	ds_store_b32 v1, v2
                                        ; implicit-def: $vgpr1
.LBB14_490:
	s_and_not1_saveexec_b32 s0, s0
	s_cbranch_execz .LBB14_492
; %bb.491:
	v_mul_lo_u32 v1, v1, s59
	v_mul_lo_u32 v2, v146, s15
	s_delay_alu instid0(VALU_DEP_1) | instskip(NEXT) | instid1(VALU_DEP_1)
	v_add3_u32 v1, v2, v161, v1
	v_ashrrev_i32_e32 v2, 31, v1
	s_delay_alu instid0(VALU_DEP_1) | instskip(NEXT) | instid1(VALU_DEP_1)
	v_lshlrev_b64 v[1:2], 3, v[1:2]
	v_add_co_u32 v1, vcc_lo, s5, v1
	s_delay_alu instid0(VALU_DEP_2) | instskip(SKIP_4) | instid1(VALU_DEP_1)
	v_add_co_ci_u32_e32 v2, vcc_lo, s6, v2, vcc_lo
	global_load_b64 v[1:2], v[1:2], off
	s_waitcnt vmcnt(0)
	v_cvt_f16_f32_e32 v1, v1
	v_cvt_f16_f32_e32 v2, v2
	v_pack_b32_f16 v1, v1, v2
	v_mad_u32_u24 v2, v179, 52, v161
	s_delay_alu instid0(VALU_DEP_2) | instskip(NEXT) | instid1(VALU_DEP_2)
	v_pk_mul_f16 v1, v195, v1
	v_lshl_add_u32 v2, v2, 2, 0
	ds_store_b32 v2, v1
.LBB14_492:
	;; [unrolled: 42-line block ×14, first 2 shown]
	s_or_b32 exec_lo, exec_lo, s0
	v_lshrrev_b32_e32 v1, 2, v154
	s_delay_alu instid0(VALU_DEP_1) | instskip(NEXT) | instid1(VALU_DEP_1)
	v_add_nc_u32_e32 v1, s1, v1
	v_cmp_le_i32_e32 vcc_lo, s8, v1
	s_or_b32 s0, vcc_lo, s11
	s_delay_alu instid0(SALU_CYCLE_1) | instskip(NEXT) | instid1(SALU_CYCLE_1)
	s_and_saveexec_b32 s11, s0
	s_xor_b32 s0, exec_lo, s11
	s_cbranch_execz .LBB14_542
; %bb.541:
	v_mad_u32_u24 v1, v154, 52, v161
	v_mov_b32_e32 v2, 0
                                        ; implicit-def: $vgpr146
	s_delay_alu instid0(VALU_DEP_2)
	v_lshl_add_u32 v1, v1, 2, 0
	ds_store_b32 v1, v2
                                        ; implicit-def: $vgpr1
.LBB14_542:
	s_and_not1_saveexec_b32 s0, s0
	s_cbranch_execz .LBB14_544
; %bb.543:
	v_mul_lo_u32 v1, v1, s59
	v_mul_lo_u32 v2, v146, s15
	s_delay_alu instid0(VALU_DEP_1) | instskip(NEXT) | instid1(VALU_DEP_1)
	v_add3_u32 v1, v2, v161, v1
	v_ashrrev_i32_e32 v2, 31, v1
	s_delay_alu instid0(VALU_DEP_1) | instskip(NEXT) | instid1(VALU_DEP_1)
	v_lshlrev_b64 v[1:2], 3, v[1:2]
	v_add_co_u32 v1, vcc_lo, s5, v1
	s_delay_alu instid0(VALU_DEP_2) | instskip(SKIP_4) | instid1(VALU_DEP_1)
	v_add_co_ci_u32_e32 v2, vcc_lo, s6, v2, vcc_lo
	global_load_b64 v[1:2], v[1:2], off
	s_waitcnt vmcnt(0)
	v_cvt_f16_f32_e32 v1, v1
	v_cvt_f16_f32_e32 v2, v2
	v_pack_b32_f16 v1, v1, v2
	v_mad_u32_u24 v2, v154, 52, v161
	s_delay_alu instid0(VALU_DEP_2) | instskip(NEXT) | instid1(VALU_DEP_2)
	v_pk_mul_f16 v1, v195, v1
	v_lshl_add_u32 v2, v2, 2, 0
	ds_store_b32 v2, v1
.LBB14_544:
	s_or_b32 exec_lo, exec_lo, s0
	v_lshrrev_b32_e32 v174, 4, v161
	v_and_b32_e32 v170, 15, v161
	s_delay_alu instid0(VALU_DEP_2) | instskip(NEXT) | instid1(VALU_DEP_1)
	v_lshl_add_u32 v169, v177, 1, v174
	v_and_b32_e32 v1, 3, v169
	v_lshrrev_b32_e32 v2, 2, v169
	s_delay_alu instid0(VALU_DEP_2) | instskip(NEXT) | instid1(VALU_DEP_2)
	v_or_b32_e32 v4, s9, v1
	v_add_nc_u32_e32 v3, s1, v2
	s_delay_alu instid0(VALU_DEP_2) | instskip(NEXT) | instid1(VALU_DEP_2)
	v_cmp_gt_i32_e32 vcc_lo, s33, v4
	v_cmp_le_i32_e64 s0, s8, v3
	s_xor_b32 s9, vcc_lo, -1
	s_delay_alu instid0(VALU_DEP_1) | instid1(SALU_CYCLE_1)
	s_or_b32 s0, s0, s9
	s_delay_alu instid0(SALU_CYCLE_1) | instskip(NEXT) | instid1(SALU_CYCLE_1)
	s_and_saveexec_b32 s11, s0
	s_xor_b32 s0, exec_lo, s11
	s_cbranch_execz .LBB14_546
; %bb.545:
	v_mad_u32_u24 v2, v169, 52, v170
	v_mov_b32_e32 v3, 0
	s_delay_alu instid0(VALU_DEP_2)
	v_lshl_add_u32 v2, v2, 2, 0
	ds_store_b32 v2, v3 offset:128
                                        ; implicit-def: $vgpr3
.LBB14_546:
	s_or_saveexec_b32 s0, s0
	v_or_b32_e32 v2, 32, v170
	s_xor_b32 exec_lo, exec_lo, s0
	s_cbranch_execz .LBB14_548
; %bb.547:
	v_mul_lo_u32 v3, v3, s59
	v_mul_lo_u32 v4, v1, s15
	s_delay_alu instid0(VALU_DEP_1) | instskip(NEXT) | instid1(VALU_DEP_1)
	v_add3_u32 v3, v4, v2, v3
	v_ashrrev_i32_e32 v4, 31, v3
	s_delay_alu instid0(VALU_DEP_1) | instskip(NEXT) | instid1(VALU_DEP_1)
	v_lshlrev_b64 v[3:4], 3, v[3:4]
	v_add_co_u32 v3, vcc_lo, s5, v3
	s_delay_alu instid0(VALU_DEP_2) | instskip(SKIP_4) | instid1(VALU_DEP_1)
	v_add_co_ci_u32_e32 v4, vcc_lo, s6, v4, vcc_lo
	global_load_b64 v[3:4], v[3:4], off
	s_waitcnt vmcnt(0)
	v_cvt_f16_f32_e32 v3, v3
	v_cvt_f16_f32_e32 v4, v4
	v_pack_b32_f16 v3, v3, v4
	v_mad_u32_u24 v4, v169, 52, v170
	s_delay_alu instid0(VALU_DEP_2) | instskip(NEXT) | instid1(VALU_DEP_2)
	v_pk_mul_f16 v3, v195, v3
	v_lshl_add_u32 v4, v4, 2, 0
	ds_store_b32 v4, v3 offset:128
.LBB14_548:
	s_or_b32 exec_lo, exec_lo, s0
	v_add_nc_u32_e32 v3, 8, v169
	s_delay_alu instid0(VALU_DEP_1) | instskip(NEXT) | instid1(VALU_DEP_1)
	v_lshrrev_b32_e32 v4, 2, v3
	v_add_nc_u32_e32 v4, s1, v4
	s_delay_alu instid0(VALU_DEP_1) | instskip(SKIP_1) | instid1(SALU_CYCLE_1)
	v_cmp_le_i32_e32 vcc_lo, s8, v4
	s_or_b32 s0, vcc_lo, s9
	s_and_saveexec_b32 s11, s0
	s_delay_alu instid0(SALU_CYCLE_1)
	s_xor_b32 s0, exec_lo, s11
	s_cbranch_execz .LBB14_550
; %bb.549:
	v_mad_u32_u24 v3, v3, 52, v170
	v_mov_b32_e32 v4, 0
	s_delay_alu instid0(VALU_DEP_2)
	v_lshl_add_u32 v3, v3, 2, 0
	ds_store_b32 v3, v4 offset:128
                                        ; implicit-def: $vgpr4
                                        ; implicit-def: $vgpr3
.LBB14_550:
	s_and_not1_saveexec_b32 s0, s0
	s_cbranch_execz .LBB14_552
; %bb.551:
	v_mul_lo_u32 v4, v4, s59
	v_mul_lo_u32 v5, v1, s15
	v_mad_u32_u24 v3, v3, 52, v170
	s_delay_alu instid0(VALU_DEP_1) | instskip(NEXT) | instid1(VALU_DEP_3)
	v_lshl_add_u32 v3, v3, 2, 0
	v_add3_u32 v4, v5, v2, v4
	s_delay_alu instid0(VALU_DEP_1) | instskip(NEXT) | instid1(VALU_DEP_1)
	v_ashrrev_i32_e32 v5, 31, v4
	v_lshlrev_b64 v[4:5], 3, v[4:5]
	s_delay_alu instid0(VALU_DEP_1) | instskip(NEXT) | instid1(VALU_DEP_2)
	v_add_co_u32 v4, vcc_lo, s5, v4
	v_add_co_ci_u32_e32 v5, vcc_lo, s6, v5, vcc_lo
	global_load_b64 v[4:5], v[4:5], off
	s_waitcnt vmcnt(0)
	v_cvt_f16_f32_e32 v4, v4
	v_cvt_f16_f32_e32 v5, v5
	s_delay_alu instid0(VALU_DEP_1) | instskip(NEXT) | instid1(VALU_DEP_1)
	v_pack_b32_f16 v4, v4, v5
	v_pk_mul_f16 v4, v195, v4
	ds_store_b32 v3, v4 offset:128
.LBB14_552:
	s_or_b32 exec_lo, exec_lo, s0
	v_add_nc_u32_e32 v172, 16, v169
	s_delay_alu instid0(VALU_DEP_1) | instskip(NEXT) | instid1(VALU_DEP_1)
	v_lshrrev_b32_e32 v3, 2, v172
	v_add_nc_u32_e32 v3, s1, v3
	s_delay_alu instid0(VALU_DEP_1) | instskip(SKIP_1) | instid1(SALU_CYCLE_1)
	v_cmp_le_i32_e32 vcc_lo, s8, v3
	s_or_b32 s0, vcc_lo, s9
	s_and_saveexec_b32 s11, s0
	s_delay_alu instid0(SALU_CYCLE_1)
	s_xor_b32 s0, exec_lo, s11
	s_cbranch_execz .LBB14_554
; %bb.553:
	v_mad_u32_u24 v3, v172, 52, v170
	v_mov_b32_e32 v4, 0
	s_delay_alu instid0(VALU_DEP_2)
	v_lshl_add_u32 v3, v3, 2, 0
	ds_store_b32 v3, v4 offset:128
                                        ; implicit-def: $vgpr3
.LBB14_554:
	s_and_not1_saveexec_b32 s0, s0
	s_cbranch_execz .LBB14_556
; %bb.555:
	v_mul_lo_u32 v3, v3, s59
	v_mul_lo_u32 v4, v1, s15
	s_delay_alu instid0(VALU_DEP_1) | instskip(NEXT) | instid1(VALU_DEP_1)
	v_add3_u32 v3, v4, v2, v3
	v_ashrrev_i32_e32 v4, 31, v3
	s_delay_alu instid0(VALU_DEP_1) | instskip(NEXT) | instid1(VALU_DEP_1)
	v_lshlrev_b64 v[3:4], 3, v[3:4]
	v_add_co_u32 v3, vcc_lo, s5, v3
	s_delay_alu instid0(VALU_DEP_2) | instskip(SKIP_4) | instid1(VALU_DEP_1)
	v_add_co_ci_u32_e32 v4, vcc_lo, s6, v4, vcc_lo
	global_load_b64 v[3:4], v[3:4], off
	s_waitcnt vmcnt(0)
	v_cvt_f16_f32_e32 v3, v3
	v_cvt_f16_f32_e32 v4, v4
	v_pack_b32_f16 v3, v3, v4
	v_mad_u32_u24 v4, v172, 52, v170
	s_delay_alu instid0(VALU_DEP_2) | instskip(NEXT) | instid1(VALU_DEP_2)
	v_pk_mul_f16 v3, v195, v3
	v_lshl_add_u32 v4, v4, 2, 0
	ds_store_b32 v4, v3 offset:128
.LBB14_556:
	s_or_b32 exec_lo, exec_lo, s0
	v_add_nc_u32_e32 v3, 24, v169
	s_delay_alu instid0(VALU_DEP_1) | instskip(NEXT) | instid1(VALU_DEP_1)
	v_lshrrev_b32_e32 v4, 2, v3
	v_add_nc_u32_e32 v4, s1, v4
	s_delay_alu instid0(VALU_DEP_1) | instskip(SKIP_1) | instid1(SALU_CYCLE_1)
	v_cmp_le_i32_e32 vcc_lo, s8, v4
	s_or_b32 s0, vcc_lo, s9
	s_and_saveexec_b32 s11, s0
	s_delay_alu instid0(SALU_CYCLE_1)
	s_xor_b32 s0, exec_lo, s11
	s_cbranch_execz .LBB14_558
; %bb.557:
	v_mad_u32_u24 v3, v3, 52, v170
	v_mov_b32_e32 v4, 0
	s_delay_alu instid0(VALU_DEP_2)
	v_lshl_add_u32 v3, v3, 2, 0
	ds_store_b32 v3, v4 offset:128
                                        ; implicit-def: $vgpr4
                                        ; implicit-def: $vgpr3
.LBB14_558:
	s_and_not1_saveexec_b32 s0, s0
	s_cbranch_execz .LBB14_560
; %bb.559:
	v_mul_lo_u32 v4, v4, s59
	v_mul_lo_u32 v5, v1, s15
	v_mad_u32_u24 v3, v3, 52, v170
	s_delay_alu instid0(VALU_DEP_1) | instskip(NEXT) | instid1(VALU_DEP_3)
	v_lshl_add_u32 v3, v3, 2, 0
	v_add3_u32 v4, v5, v2, v4
	s_delay_alu instid0(VALU_DEP_1) | instskip(NEXT) | instid1(VALU_DEP_1)
	v_ashrrev_i32_e32 v5, 31, v4
	v_lshlrev_b64 v[4:5], 3, v[4:5]
	s_delay_alu instid0(VALU_DEP_1) | instskip(NEXT) | instid1(VALU_DEP_2)
	v_add_co_u32 v4, vcc_lo, s5, v4
	v_add_co_ci_u32_e32 v5, vcc_lo, s6, v5, vcc_lo
	global_load_b64 v[4:5], v[4:5], off
	s_waitcnt vmcnt(0)
	v_cvt_f16_f32_e32 v4, v4
	v_cvt_f16_f32_e32 v5, v5
	s_delay_alu instid0(VALU_DEP_1) | instskip(NEXT) | instid1(VALU_DEP_1)
	v_pack_b32_f16 v4, v4, v5
	v_pk_mul_f16 v4, v195, v4
	ds_store_b32 v3, v4 offset:128
.LBB14_560:
	s_or_b32 exec_lo, exec_lo, s0
	v_add_nc_u32_e32 v173, 32, v169
	s_delay_alu instid0(VALU_DEP_1) | instskip(NEXT) | instid1(VALU_DEP_1)
	v_lshrrev_b32_e32 v3, 2, v173
	v_add_nc_u32_e32 v3, s1, v3
	s_delay_alu instid0(VALU_DEP_1) | instskip(SKIP_1) | instid1(SALU_CYCLE_1)
	v_cmp_le_i32_e32 vcc_lo, s8, v3
	s_or_b32 s0, vcc_lo, s9
	s_and_saveexec_b32 s11, s0
	s_delay_alu instid0(SALU_CYCLE_1)
	s_xor_b32 s0, exec_lo, s11
	s_cbranch_execz .LBB14_562
; %bb.561:
	v_mad_u32_u24 v3, v173, 52, v170
	v_mov_b32_e32 v4, 0
	s_delay_alu instid0(VALU_DEP_2)
	v_lshl_add_u32 v3, v3, 2, 0
	ds_store_b32 v3, v4 offset:128
                                        ; implicit-def: $vgpr3
.LBB14_562:
	s_and_not1_saveexec_b32 s0, s0
	s_cbranch_execz .LBB14_564
; %bb.563:
	v_mul_lo_u32 v3, v3, s59
	v_mul_lo_u32 v4, v1, s15
	s_delay_alu instid0(VALU_DEP_1) | instskip(NEXT) | instid1(VALU_DEP_1)
	v_add3_u32 v3, v4, v2, v3
	v_ashrrev_i32_e32 v4, 31, v3
	s_delay_alu instid0(VALU_DEP_1) | instskip(NEXT) | instid1(VALU_DEP_1)
	v_lshlrev_b64 v[3:4], 3, v[3:4]
	v_add_co_u32 v3, vcc_lo, s5, v3
	s_delay_alu instid0(VALU_DEP_2) | instskip(SKIP_4) | instid1(VALU_DEP_1)
	v_add_co_ci_u32_e32 v4, vcc_lo, s6, v4, vcc_lo
	global_load_b64 v[3:4], v[3:4], off
	s_waitcnt vmcnt(0)
	v_cvt_f16_f32_e32 v3, v3
	v_cvt_f16_f32_e32 v4, v4
	v_pack_b32_f16 v3, v3, v4
	v_mad_u32_u24 v4, v173, 52, v170
	s_delay_alu instid0(VALU_DEP_2) | instskip(NEXT) | instid1(VALU_DEP_2)
	v_pk_mul_f16 v3, v195, v3
	v_lshl_add_u32 v4, v4, 2, 0
	ds_store_b32 v4, v3 offset:128
.LBB14_564:
	s_or_b32 exec_lo, exec_lo, s0
	v_add_nc_u32_e32 v3, 40, v169
	s_sub_i32 s0, 0, s4
	s_delay_alu instid0(VALU_DEP_1) | instskip(NEXT) | instid1(VALU_DEP_1)
	v_lshrrev_b32_e32 v4, 2, v3
	v_add_nc_u32_e32 v4, s1, v4
	s_delay_alu instid0(VALU_DEP_1) | instskip(SKIP_1) | instid1(SALU_CYCLE_1)
	v_cmp_le_i32_e32 vcc_lo, s8, v4
	s_or_b32 s11, vcc_lo, s9
	s_and_saveexec_b32 s13, s11
	s_delay_alu instid0(SALU_CYCLE_1)
	s_xor_b32 s11, exec_lo, s13
	s_cbranch_execz .LBB14_566
; %bb.565:
	v_mad_u32_u24 v3, v3, 52, v170
	v_mov_b32_e32 v4, 0
	s_delay_alu instid0(VALU_DEP_2)
	v_lshl_add_u32 v3, v3, 2, 0
	ds_store_b32 v3, v4 offset:128
                                        ; implicit-def: $vgpr4
                                        ; implicit-def: $vgpr3
.LBB14_566:
	s_or_saveexec_b32 s11, s11
	s_mul_i32 s0, s0, s7
	s_xor_b32 exec_lo, exec_lo, s11
	s_cbranch_execz .LBB14_568
; %bb.567:
	v_mul_lo_u32 v4, v4, s59
	v_mul_lo_u32 v5, v1, s15
	v_mad_u32_u24 v3, v3, 52, v170
	s_delay_alu instid0(VALU_DEP_1) | instskip(NEXT) | instid1(VALU_DEP_3)
	v_lshl_add_u32 v3, v3, 2, 0
	v_add3_u32 v4, v5, v2, v4
	s_delay_alu instid0(VALU_DEP_1) | instskip(NEXT) | instid1(VALU_DEP_1)
	v_ashrrev_i32_e32 v5, 31, v4
	v_lshlrev_b64 v[4:5], 3, v[4:5]
	s_delay_alu instid0(VALU_DEP_1) | instskip(NEXT) | instid1(VALU_DEP_2)
	v_add_co_u32 v4, vcc_lo, s5, v4
	v_add_co_ci_u32_e32 v5, vcc_lo, s6, v5, vcc_lo
	global_load_b64 v[4:5], v[4:5], off
	s_waitcnt vmcnt(0)
	v_cvt_f16_f32_e32 v4, v4
	v_cvt_f16_f32_e32 v5, v5
	s_delay_alu instid0(VALU_DEP_1) | instskip(NEXT) | instid1(VALU_DEP_1)
	v_pack_b32_f16 v4, v4, v5
	v_pk_mul_f16 v4, v195, v4
	ds_store_b32 v3, v4 offset:128
.LBB14_568:
	s_or_b32 exec_lo, exec_lo, s11
	v_add_nc_u32_e32 v178, 48, v169
	s_mul_hi_u32 s11, s7, s0
	s_delay_alu instid0(VALU_DEP_1) | instskip(NEXT) | instid1(VALU_DEP_1)
	v_lshrrev_b32_e32 v3, 2, v178
	v_add_nc_u32_e32 v3, s1, v3
	s_delay_alu instid0(VALU_DEP_1) | instskip(SKIP_1) | instid1(SALU_CYCLE_1)
	v_cmp_le_i32_e32 vcc_lo, s8, v3
	s_or_b32 s0, vcc_lo, s9
	s_and_saveexec_b32 s13, s0
	s_delay_alu instid0(SALU_CYCLE_1)
	s_xor_b32 s0, exec_lo, s13
	s_cbranch_execz .LBB14_570
; %bb.569:
	v_mad_u32_u24 v3, v178, 52, v170
	v_mov_b32_e32 v4, 0
	s_delay_alu instid0(VALU_DEP_2)
	v_lshl_add_u32 v3, v3, 2, 0
	ds_store_b32 v3, v4 offset:128
                                        ; implicit-def: $vgpr3
.LBB14_570:
	s_or_saveexec_b32 s0, s0
	s_abs_i32 s14, s2
	s_add_i32 s7, s7, s11
	s_xor_b32 exec_lo, exec_lo, s0
	s_cbranch_execz .LBB14_572
; %bb.571:
	v_mul_lo_u32 v3, v3, s59
	v_mul_lo_u32 v4, v1, s15
	s_delay_alu instid0(VALU_DEP_1) | instskip(NEXT) | instid1(VALU_DEP_1)
	v_add3_u32 v3, v4, v2, v3
	v_ashrrev_i32_e32 v4, 31, v3
	s_delay_alu instid0(VALU_DEP_1) | instskip(NEXT) | instid1(VALU_DEP_1)
	v_lshlrev_b64 v[3:4], 3, v[3:4]
	v_add_co_u32 v3, vcc_lo, s5, v3
	s_delay_alu instid0(VALU_DEP_2) | instskip(SKIP_4) | instid1(VALU_DEP_1)
	v_add_co_ci_u32_e32 v4, vcc_lo, s6, v4, vcc_lo
	global_load_b64 v[3:4], v[3:4], off
	s_waitcnt vmcnt(0)
	v_cvt_f16_f32_e32 v3, v3
	v_cvt_f16_f32_e32 v4, v4
	v_pack_b32_f16 v3, v3, v4
	v_mad_u32_u24 v4, v178, 52, v170
	s_delay_alu instid0(VALU_DEP_2) | instskip(NEXT) | instid1(VALU_DEP_2)
	v_pk_mul_f16 v3, v195, v3
	v_lshl_add_u32 v4, v4, 2, 0
	ds_store_b32 v4, v3 offset:128
.LBB14_572:
	s_or_b32 exec_lo, exec_lo, s0
	v_add_nc_u32_e32 v3, 56, v169
	s_mul_hi_u32 s7, s14, s7
	s_delay_alu instid0(VALU_DEP_1) | instskip(NEXT) | instid1(VALU_DEP_1)
	v_lshrrev_b32_e32 v4, 2, v3
	v_add_nc_u32_e32 v4, s1, v4
	s_delay_alu instid0(VALU_DEP_1) | instskip(SKIP_1) | instid1(SALU_CYCLE_1)
	v_cmp_le_i32_e32 vcc_lo, s8, v4
	s_or_b32 s0, vcc_lo, s9
	s_and_saveexec_b32 s9, s0
	s_delay_alu instid0(SALU_CYCLE_1)
	s_xor_b32 s0, exec_lo, s9
	s_cbranch_execz .LBB14_574
; %bb.573:
	v_mad_u32_u24 v1, v3, 52, v170
	v_mov_b32_e32 v2, 0
                                        ; implicit-def: $vgpr4
                                        ; implicit-def: $vgpr195
                                        ; implicit-def: $vgpr3
	s_delay_alu instid0(VALU_DEP_2)
	v_lshl_add_u32 v1, v1, 2, 0
	ds_store_b32 v1, v2 offset:128
                                        ; implicit-def: $vgpr1
                                        ; implicit-def: $vgpr2
.LBB14_574:
	s_or_saveexec_b32 s9, s0
	s_ashr_i32 s0, s2, 31
	s_xor_b32 exec_lo, exec_lo, s9
	s_cbranch_execz .LBB14_576
; %bb.575:
	v_mul_lo_u32 v4, v4, s59
	v_mul_lo_u32 v1, v1, s15
	s_delay_alu instid0(VALU_DEP_1) | instskip(NEXT) | instid1(VALU_DEP_1)
	v_add3_u32 v1, v1, v2, v4
	v_ashrrev_i32_e32 v2, 31, v1
	s_delay_alu instid0(VALU_DEP_1) | instskip(NEXT) | instid1(VALU_DEP_1)
	v_lshlrev_b64 v[1:2], 3, v[1:2]
	v_add_co_u32 v1, vcc_lo, s5, v1
	s_delay_alu instid0(VALU_DEP_2) | instskip(SKIP_4) | instid1(VALU_DEP_1)
	v_add_co_ci_u32_e32 v2, vcc_lo, s6, v2, vcc_lo
	global_load_b64 v[1:2], v[1:2], off
	s_waitcnt vmcnt(0)
	v_cvt_f16_f32_e32 v1, v1
	v_cvt_f16_f32_e32 v2, v2
	v_pack_b32_f16 v1, v1, v2
	v_mad_u32_u24 v2, v3, 52, v170
	s_delay_alu instid0(VALU_DEP_2) | instskip(NEXT) | instid1(VALU_DEP_2)
	v_pk_mul_f16 v1, v195, v1
	v_lshl_add_u32 v2, v2, 2, 0
	ds_store_b32 v2, v1 offset:128
.LBB14_576:
	s_or_b32 exec_lo, exec_lo, s9
	v_readlane_b32 s16, v255, 15
	s_mul_i32 s5, s2, s45
	s_mul_hi_u32 s6, s2, s44
	v_readlane_b32 s17, v255, 16
	s_add_i32 s5, s6, s5
	s_mul_i32 s6, s0, s44
	s_mul_i32 s9, s2, s44
	s_add_i32 s5, s5, s6
	s_add_u32 s6, s18, s9
	s_mul_i32 s9, s3, s17
	v_mul_u32_u24_e32 v1, 0xd00, v177
	v_mul_u32_u24_e32 v182, 0xd0, v170
	s_addc_u32 s5, s19, s5
	s_ashr_i32 s13, s9, 31
	s_mul_i32 s7, s7, s4
	s_add_u32 s11, s6, s9
	s_addc_u32 s13, s5, s13
	s_sub_i32 s5, s14, s7
	v_add3_u32 v1, 0, v1, v182
	s_sub_i32 s6, s5, s4
	s_cmp_ge_u32 s5, s4
	s_waitcnt lgkmcnt(0)
	s_waitcnt_vscnt null, 0x0
	s_cselect_b32 s5, s6, s5
	s_barrier
	buffer_gl0_inv
	ds_load_b128 v[64:67], v1
	ds_load_b128 v[68:71], v1 offset:16
	ds_load_b128 v[56:59], v1 offset:32
	;; [unrolled: 1-line block ×11, first 2 shown]
	s_sub_i32 s6, s5, s4
	s_cmp_ge_u32 s5, s4
	v_readlane_b32 s14, v255, 12
	s_cselect_b32 s4, s6, s5
	v_readlane_b32 s15, v255, 13
	s_xor_b32 s4, s4, s0
	v_add_nc_u32_e32 v175, -1, v0
	s_sub_i32 s4, s4, s0
	s_mul_i32 s3, s3, s47
	s_mul_i32 s5, s4, s15
	s_mul_hi_u32 s6, s4, s14
	s_ashr_i32 s7, s4, 31
	s_add_i32 s5, s6, s5
	s_mul_i32 s7, s7, s14
	s_mul_i32 s4, s4, s14
	s_add_i32 s5, s5, s7
	v_readlane_b32 s6, v255, 10
	v_readlane_b32 s7, v255, 11
	s_add_u32 s14, s22, s4
	s_addc_u32 s15, s23, s5
	v_cmp_lt_i32_e32 vcc_lo, s102, v175
	s_mul_hi_u32 s5, s2, s6
	s_mul_i32 s4, s2, s7
	s_mul_i32 s0, s0, s6
	s_add_i32 s4, s5, s4
	s_mul_i32 s2, s2, s6
	s_add_i32 s4, s4, s0
	s_add_u32 s0, s20, s2
	v_lshlrev_b32_e32 v0, 1, v161
	s_addc_u32 s2, s21, s4
	s_ashr_i32 s4, s3, 31
	s_add_u32 s6, s0, s3
	s_addc_u32 s7, s2, s4
	s_mov_b32 s0, 0
	s_movk_i32 s2, 0xd0
	s_and_b32 vcc_lo, exec_lo, vcc_lo
	s_mov_b32 s3, -1
	s_waitcnt lgkmcnt(0)
	s_barrier
	buffer_gl0_inv
	s_cbranch_vccnz .LBB14_578
; %bb.577:
	v_dual_mov_b32 v194, 32 :: v_dual_add_nc_u32 v1, s1, v177
	v_dual_mov_b32 v103, 0 :: v_dual_add_nc_u32 v2, s1, v185
	v_add_nc_u32_e32 v7, s1, v166
	s_delay_alu instid0(VALU_DEP_3) | instskip(SKIP_1) | instid1(VALU_DEP_4)
	v_mul_hi_u32 v4, s34, v1
	v_add_nc_u32_e32 v3, s1, v179
	v_mul_hi_u32 v5, s34, v2
	v_lshrrev_b32_e32 v9, 2, v161
	v_mul_hi_u32 v8, s34, v7
	s_movk_i32 s3, 0x240
	v_mul_hi_u32 v6, s34, v3
	s_movk_i32 s4, 0x480
	v_dual_mov_b32 v107, v103 :: v_dual_add_nc_u32 v4, v1, v4
	v_add_nc_u32_e32 v5, v2, v5
	v_lshl_add_u32 v9, v177, 3, v9
	v_add_nc_u32_e32 v8, v7, v8
	s_delay_alu instid0(VALU_DEP_4)
	v_lshrrev_b32_e32 v4, s35, v4
	v_add_nc_u32_e32 v6, v3, v6
	v_lshrrev_b32_e32 v5, s35, v5
	v_mad_u32_u24 v82, 0x90, v177, s3
	v_lshrrev_b32_e32 v8, s35, v8
	v_mul_lo_u32 v4, v4, s8
	v_lshrrev_b32_e32 v6, s35, v6
	v_mul_lo_u32 v5, v5, s8
	s_movk_i32 s3, 0x1a00
	v_mad_u32_u24 v83, 0x90, v177, s4
	v_mad_u32_u24 v87, 0xd0, v9, s3
	s_lshl_b32 s4, s12, 4
	v_mul_lo_u32 v6, v6, s8
	v_sub_nc_u32_e32 v1, v1, v4
	v_mul_lo_u32 v4, v8, s8
	v_sub_nc_u32_e32 v2, v2, v5
	v_lshlrev_b32_e32 v187, 4, v177
	v_mul_lo_u32 v104, s12, v9
	v_mad_i64_i32 v[122:123], null, v1, s48, 0
	s_delay_alu instid0(VALU_DEP_4)
	v_mad_i64_i32 v[118:119], null, v2, s48, 0
	v_sub_nc_u32_e32 v1, v7, v4
	v_lshrrev_b32_e32 v2, 3, v161
	v_mul_lo_u32 v100, s10, v9
	v_sub_nc_u32_e32 v3, v3, v6
	v_lshl_add_u32 v108, s12, 5, v104
	v_mad_i64_i32 v[124:125], null, v1, s48, 0
	v_lshl_add_u32 v1, v177, 2, v2
	v_lshlrev_b32_e32 v2, 2, v161
	v_mbcnt_lo_u32_b32 v183, -1, 0
	v_lshl_add_u32 v98, s10, 5, v100
	v_mad_i64_i32 v[120:121], null, v3, s48, 0
	v_mul_lo_u32 v110, s12, v1
	v_mul_lo_u32 v90, s10, v1
	v_mad_u32_u24 v126, 0xd0, v1, s3
	s_lshl_b32 s3, s10, 4
	v_and_or_b32 v102, v2, 12, 32
	v_and_b32_e32 v106, 28, v2
	v_and_or_b32 v2, v161, 12, v187
	s_movk_i32 s5, 0x6c0
	v_add_nc_u32_e32 v112, s4, v110
	v_add_nc_u32_e32 v92, s3, v90
	v_mad_u32_u24 v88, v1, s2, 0xd00
	v_lshrrev_b32_e32 v2, 2, v2
	s_movk_i32 s2, 0x2700
	v_add_nc_u32_e32 v114, s4, v112
	v_add_nc_u32_e32 v94, s3, v92
	v_mul_u32_u24_e32 v181, 0x90, v177
	v_mad_u32_u24 v84, 0x90, v177, s5
	v_mul_u32_u24_e32 v190, 0xd0, v9
	v_add_nc_u32_e32 v116, s4, v114
	v_add_nc_u32_e32 v96, s3, v94
	v_ashrrev_i32_e32 v105, 31, v104
	v_ashrrev_i32_e32 v109, 31, v108
	v_mul_u32_u24_e32 v188, 0xd0, v1
	v_ashrrev_i32_e32 v111, 31, v110
	v_ashrrev_i32_e32 v113, 31, v112
	;; [unrolled: 1-line block ×3, first 2 shown]
	v_mad_u32_u24 v127, 0xd0, v1, s2
	v_ashrrev_i32_e32 v117, 31, v116
	v_mul_u32_u24_e32 v189, 0x90, v2
	v_xor_b32_e32 v184, 16, v183
	v_xor_b32_e32 v89, 1, v174
	v_ashrrev_i32_e32 v101, 31, v100
	v_ashrrev_i32_e32 v99, 31, v98
	;; [unrolled: 1-line block ×6, first 2 shown]
	v_or_b32_e32 v193, 0xd0, v170
	v_or_b32_e32 v192, 0x1a0, v170
	v_or_b32_e32 v191, 0x270, v170
	s_ashr_i32 s25, s12, 31
	s_ashr_i32 s5, s10, 31
	s_mov_b32 s2, 0xfeffffff
	s_mov_b32 s3, 0
	s_branch .LBB14_579
.LBB14_578:
                                        ; implicit-def: $vgpr89_vgpr90
                                        ; implicit-def: $sgpr0
                                        ; implicit-def: $sgpr2
                                        ; implicit-def: $vgpr181
                                        ; implicit-def: $vgpr122_vgpr123
                                        ; implicit-def: $vgpr82
                                        ; implicit-def: $vgpr118_vgpr119
                                        ; implicit-def: $vgpr83
                                        ; implicit-def: $vgpr120_vgpr121
                                        ; implicit-def: $vgpr84
                                        ; implicit-def: $vgpr124_vgpr125
                                        ; implicit-def: $vgpr190
                                        ; implicit-def: $vgpr104_vgpr105
                                        ; implicit-def: $vgpr102
                                        ; implicit-def: $vgpr87
                                        ; implicit-def: $vgpr108_vgpr109
                                        ; implicit-def: $vgpr188
                                        ; implicit-def: $vgpr106
                                        ; implicit-def: $vgpr110_vgpr111
                                        ; implicit-def: $vgpr88
                                        ; implicit-def: $vgpr112_vgpr113
                                        ; implicit-def: $vgpr126
                                        ; implicit-def: $vgpr114_vgpr115
                                        ; implicit-def: $vgpr127
                                        ; implicit-def: $vgpr116_vgpr117
                                        ; implicit-def: $vgpr187
                                        ; implicit-def: $vgpr189
                                        ; implicit-def: $vgpr183
                                        ; implicit-def: $vgpr184
                                        ; implicit-def: $vgpr194
                                        ; implicit-def: $vgpr100_vgpr101
                                        ; implicit-def: $vgpr98_vgpr99
                                        ; implicit-def: $vgpr92_vgpr93
                                        ; implicit-def: $vgpr94_vgpr95
                                        ; implicit-def: $vgpr96_vgpr97
                                        ; implicit-def: $vgpr193
                                        ; implicit-def: $vgpr192
                                        ; implicit-def: $vgpr191
                                        ; implicit-def: $sgpr24_sgpr25
                                        ; implicit-def: $sgpr4_sgpr5
                                        ; implicit-def: $vgpr90_vgpr91
.LBB14_579:
	v_readlane_b32 s24, v255, 8
	v_dual_mov_b32 v7, s0 :: v_dual_mov_b32 v176, s0
	v_dual_mov_b32 v180, s2 :: v_dual_lshlrev_b32 v85, 1, v0
	v_dual_mov_b32 v5, s0 :: v_dual_lshlrev_b32 v86, 1, v174
	v_dual_mov_b32 v6, s0 :: v_dual_mov_b32 v3, s0
	v_dual_mov_b32 v4, s0 :: v_dual_mov_b32 v1, s0
	;; [unrolled: 1-line block ×10, first 2 shown]
	v_mov_b32_e32 v18, s0
	v_mov_b32_e32 v16, s0
	s_and_not1_b32 vcc_lo, exec_lo, s3
	s_cbranch_vccnz .LBB14_583
; %bb.580:
	v_mbcnt_lo_u32_b32 v183, -1, 0
	v_dual_mov_b32 v103, 0 :: v_dual_add_nc_u32 v0, s1, v177
	v_add_nc_u32_e32 v4, s1, v179
	v_dual_mov_b32 v180, 0xfeffffff :: v_dual_add_nc_u32 v5, s1, v166
	s_delay_alu instid0(VALU_DEP_4) | instskip(NEXT) | instid1(VALU_DEP_4)
	v_xor_b32_e32 v184, 16, v183
	v_mul_hi_u32 v2, s34, v0
	v_mov_b32_e32 v107, v103
	v_mul_hi_u32 v7, s34, v4
	v_mul_hi_u32 v8, s34, v5
	v_cmp_gt_i32_e32 vcc_lo, 32, v184
	v_add_nc_u32_e32 v1, s1, v185
	v_mov_b32_e32 v19, v103
	v_mov_b32_e32 v16, v103
	v_dual_mov_b32 v21, v103 :: v_dual_add_nc_u32 v2, v0, v2
	s_delay_alu instid0(VALU_DEP_4) | instskip(SKIP_2) | instid1(VALU_DEP_4)
	v_mul_hi_u32 v3, s34, v1
	v_add_nc_u32_e32 v7, v4, v7
	v_add_nc_u32_e32 v8, v5, v8
	v_lshrrev_b32_e32 v2, s35, v2
	v_add_co_u32 v200, s0, s14, v85
	v_mov_b32_e32 v176, v103
	v_lshrrev_b32_e32 v7, s35, v7
	v_add_nc_u32_e32 v3, v1, v3
	v_mul_lo_u32 v2, v2, s8
	v_lshrrev_b32_e32 v8, s35, v8
	v_add_co_ci_u32_e64 v201, null, s15, 0, s0
	s_delay_alu instid0(VALU_DEP_4)
	v_lshrrev_b32_e32 v3, s35, v3
	s_movk_i32 s0, 0x240
	v_lshrrev_b32_e32 v9, 2, v161
	v_mad_u32_u24 v10, 0x90, v177, s0
	v_sub_nc_u32_e32 v0, v0, v2
	v_mul_lo_u32 v3, v3, s8
	v_mul_lo_u32 v2, v7, s8
	s_movk_i32 s0, 0x480
	scratch_store_b32 off, v171, off        ; 4-byte Folded Spill
	v_mad_i64_i32 v[122:123], null, v0, s48, 0
	s_movk_i32 s2, 0xd00
	s_lshl_b32 s1, s12, 4
	v_sub_nc_u32_e32 v1, v1, v3
	v_mul_lo_u32 v3, v8, s8
	v_sub_nc_u32_e32 v0, v4, v2
	v_lshl_add_u32 v2, v177, 3, v9
	v_dual_mov_b32 v17, v103 :: v_dual_add_nc_u32 v6, 0, v85
	v_mad_i64_i32 v[118:119], null, v1, s48, 0
	v_mad_u32_u24 v1, 0x90, v177, s0
	v_mad_i64_i32 v[120:121], null, v0, s48, 0
	v_sub_nc_u32_e32 v0, v5, v3
	s_movk_i32 s0, 0x6c0
	scratch_store_b32 off, v10, off offset:12 ; 4-byte Folded Spill
	v_mad_u32_u24 v4, 0x90, v177, s0
	scratch_store_b32 off, v1, off offset:20 ; 4-byte Folded Spill
	v_dual_mov_b32 v18, v103 :: v_dual_lshlrev_b32 v1, 2, v161
	v_mad_i64_i32 v[124:125], null, v0, s48, 0
	v_lshrrev_b32_e32 v0, 3, v161
	s_delay_alu instid0(VALU_DEP_3) | instskip(SKIP_1) | instid1(VALU_DEP_3)
	v_dual_mov_b32 v20, v103 :: v_dual_and_b32 v3, 12, v1
	v_dual_mov_b32 v9, v103 :: v_dual_and_b32 v106, 28, v1
	v_lshl_add_u32 v0, v177, 2, v0
	s_movk_i32 s0, 0x1a00
	v_mul_u32_u24_e32 v190, 0xd0, v2
	v_mad_u32_u24 v5, 0xd0, v2, s0
	scratch_store_b32 off, v4, off offset:28 ; 4-byte Folded Spill
	v_dual_mov_b32 v23, v103 :: v_dual_lshlrev_b32 v4, 2, v3
	v_mul_u32_u24_e32 v188, 0xd0, v0
	v_dual_mov_b32 v22, v103 :: v_dual_lshlrev_b32 v1, 2, v106
	s_delay_alu instid0(VALU_DEP_3) | instskip(SKIP_2) | instid1(VALU_DEP_4)
	v_add3_u32 v4, 0, v190, v4
	v_mul_lo_u32 v110, s12, v0
	v_mul_lo_u32 v90, s10, v0
	v_add3_u32 v204, 0, v188, v1
	v_mad_u32_u24 v1, 0xd0, v0, s2
	v_dual_mov_b32 v11, v103 :: v_dual_add_nc_u32 v202, 0x80, v4
	v_dual_mov_b32 v8, v103 :: v_dual_add_nc_u32 v203, 0x1a80, v4
	v_mad_u32_u24 v4, 0xd0, v0, s0
	s_clause 0x2
	scratch_store_b32 off, v5, off offset:36
	scratch_store_b32 off, v1, off offset:40
	;; [unrolled: 1-line block ×3, first 2 shown]
	v_dual_mov_b32 v10, v103 :: v_dual_lshlrev_b32 v1, 4, v177
	s_movk_i32 s0, 0x2700
	s_clause 0x1
	scratch_store_b32 off, v4, off offset:44
	scratch_store_b32 off, v1, off offset:4
	v_mad_u32_u24 v4, 0xd0, v0, s0
	s_lshl_b32 s0, s10, 4
	v_dual_mov_b32 v13, v103 :: v_dual_add_nc_u32 v112, s1, v110
	v_and_or_b32 v1, v161, 12, v1
	v_dual_mov_b32 v5, v103 :: v_dual_add_nc_u32 v92, s0, v90
	v_mul_lo_u32 v104, s12, v2
	v_mul_lo_u32 v100, s10, v2
	v_dual_mov_b32 v15, v103 :: v_dual_add_nc_u32 v114, s1, v112
	v_lshrrev_b32_e32 v1, 2, v1
	v_cndmask_b32_e32 v0, v183, v184, vcc_lo
	v_dual_mov_b32 v7, v103 :: v_dual_add_nc_u32 v94, s0, v92
	v_mul_u32_u24_e32 v181, 0x90, v177
	v_lshl_add_u32 v108, s12, 5, v104
	v_add_nc_u32_e32 v116, s1, v114
	v_mul_u32_u24_e32 v189, 0x90, v1
	v_lshlrev_b32_e32 v209, 2, v0
	v_lshl_add_u32 v98, s10, 5, v100
	v_add_nc_u32_e32 v96, s0, v94
	v_lshlrev_b32_e32 v0, 2, v170
	v_ashrrev_i32_e32 v105, 31, v104
	v_or_b32_e32 v102, 32, v3
	v_ashrrev_i32_e32 v109, 31, v108
	v_ashrrev_i32_e32 v111, 31, v110
	v_dual_mov_b32 v12, v103 :: v_dual_add_nc_u32 v205, 0xd00, v204
	v_ashrrev_i32_e32 v113, 31, v112
	v_dual_mov_b32 v1, v103 :: v_dual_add_nc_u32 v206, 0x1a00, v204
	v_ashrrev_i32_e32 v115, 31, v114
	scratch_store_b32 off, v4, off offset:48 ; 4-byte Folded Spill
	v_dual_mov_b32 v14, v103 :: v_dual_add_nc_u32 v207, 0x2700, v204
	v_add3_u32 v208, 0, v189, v86
	v_xor_b32_e32 v89, 1, v174
	v_ashrrev_i32_e32 v101, 31, v100
	v_ashrrev_i32_e32 v99, 31, v98
	;; [unrolled: 1-line block ×6, first 2 shown]
	v_add_nc_u32_e32 v210, 0, v0
	v_add3_u32 v211, 0, 0xd00, v0
	v_add3_u32 v212, 0, 0x1a00, v0
	v_add3_u32 v213, 0, 0x2700, v0
	v_add3_u32 v214, 0, 64, v0
	v_add3_u32 v215, 0, 0xd40, v0
	v_add3_u32 v216, 0, 0x1a40, v0
	v_add3_u32 v217, 0, 0x2740, v0
	v_add3_u32 v218, 0, 0x80, v0
	v_add3_u32 v219, 0, 0xd80, v0
	v_add3_u32 v220, 0, 0x1a80, v0
	v_add3_u32 v221, 0, 0x2780, v0
	v_add_nc_u32_e32 v222, v6, v181
	v_dual_mov_b32 v2, v103 :: v_dual_lshlrev_b32 v223, 2, v3
	v_lshlrev_b32_e32 v224, 2, v106
	v_mov_b32_e32 v0, v103
	v_mov_b32_e32 v3, v103
	v_ashrrev_i32_e32 v117, 31, v116
	v_mov_b32_e32 v4, v103
	v_mov_b32_e32 v6, v103
	s_mov_b32 s16, 0
	s_ashr_i32 s25, s12, 31
	s_ashr_i32 s5, s10, 31
	s_lshl_b32 s8, s102, 6
	s_mov_b32 s17, s16
	s_mov_b32 s18, s16
	;; [unrolled: 1-line block ×7, first 2 shown]
.LBB14_581:                             ; =>This Inner Loop Header: Depth=1
	s_ashr_i32 s9, s8, 31
	v_lshlrev_b64 v[72:73], 1, v[122:123]
	s_lshl_b64 s[0:1], s[8:9], 1
	v_lshlrev_b64 v[74:75], 1, v[118:119]
	v_add_co_u32 v80, vcc_lo, v200, s0
	v_add_co_ci_u32_e32 v81, vcc_lo, s1, v201, vcc_lo
	v_lshlrev_b64 v[76:77], 1, v[120:121]
	s_delay_alu instid0(VALU_DEP_3) | instskip(NEXT) | instid1(VALU_DEP_3)
	v_add_co_u32 v72, vcc_lo, v80, v72
	v_add_co_ci_u32_e32 v73, vcc_lo, v81, v73, vcc_lo
	v_add_co_u32 v74, vcc_lo, v80, v74
	v_lshlrev_b64 v[78:79], 1, v[124:125]
	v_add_co_ci_u32_e32 v75, vcc_lo, v81, v75, vcc_lo
	v_add_co_u32 v76, vcc_lo, v80, v76
	v_add_co_ci_u32_e32 v77, vcc_lo, v81, v77, vcc_lo
	s_delay_alu instid0(VALU_DEP_4)
	v_add_co_u32 v78, vcc_lo, v80, v78
	v_add_co_ci_u32_e32 v79, vcc_lo, v81, v79, vcc_lo
	s_clause 0x3
	global_load_b32 v72, v[72:73], off
	global_load_b32 v73, v[74:75], off
	;; [unrolled: 1-line block ×4, first 2 shown]
	v_dual_mov_b32 v149, s23 :: v_dual_add_nc_u32 v76, 0x3400, v222
	s_mul_hi_i32 s1, s8, s12
	s_mul_i32 s0, s8, s12
	v_dual_mov_b32 v145, s19 :: v_dual_add_nc_u32 v88, 0, v182
	s_lshl_b64 s[0:1], s[0:1], 2
	v_dual_mov_b32 v148, s22 :: v_dual_mov_b32 v143, s17
	s_add_u32 s0, s11, s0
	s_addc_u32 s1, s13, s1
	v_mov_b32_e32 v146, s20
	v_mov_b32_e32 v144, s18
	;; [unrolled: 1-line block ×3, first 2 shown]
	v_cmp_eq_u32_e64 s2, 0, v174
	v_dual_mov_b32 v147, s21 :: v_dual_add_nc_u32 v168, 0xc00, v210
	s_waitcnt vmcnt(2)
	ds_store_2addr_b32 v76, v72, v73 offset1:144
	v_add_nc_u32_e32 v72, 0x3800, v222
	s_waitcnt vmcnt(0)
	ds_store_2addr_b32 v72, v74, v75 offset0:32 offset1:176
	v_lshlrev_b64 v[72:73], 2, v[104:105]
	s_delay_alu instid0(VALU_DEP_1) | instskip(NEXT) | instid1(VALU_DEP_2)
	v_add_co_u32 v74, vcc_lo, s0, v72
	v_add_co_ci_u32_e32 v75, vcc_lo, s1, v73, vcc_lo
	v_lshlrev_b64 v[72:73], 2, v[108:109]
	s_delay_alu instid0(VALU_DEP_1) | instskip(NEXT) | instid1(VALU_DEP_2)
	v_add_co_u32 v76, vcc_lo, s0, v72
	v_add_co_ci_u32_e32 v77, vcc_lo, s1, v73, vcc_lo
	v_add_co_u32 v72, vcc_lo, v74, v223
	v_add_co_ci_u32_e32 v73, vcc_lo, 0, v75, vcc_lo
	s_delay_alu instid0(VALU_DEP_4) | instskip(NEXT) | instid1(VALU_DEP_4)
	v_add_co_u32 v76, vcc_lo, v76, v223
	v_add_co_ci_u32_e32 v77, vcc_lo, 0, v77, vcc_lo
	s_clause 0x1
	global_load_b128 v[72:75], v[72:73], off offset:128
	global_load_b128 v[76:79], v[76:77], off offset:128
	s_waitcnt vmcnt(1)
	ds_store_b128 v202, v[72:75]
	s_waitcnt vmcnt(0)
	ds_store_b128 v203, v[76:79]
	v_lshlrev_b64 v[72:73], 2, v[110:111]
	s_delay_alu instid0(VALU_DEP_1) | instskip(NEXT) | instid1(VALU_DEP_2)
	v_add_co_u32 v74, vcc_lo, s0, v72
	v_add_co_ci_u32_e32 v75, vcc_lo, s1, v73, vcc_lo
	v_lshlrev_b64 v[72:73], 2, v[112:113]
	s_delay_alu instid0(VALU_DEP_1) | instskip(NEXT) | instid1(VALU_DEP_2)
	v_add_co_u32 v76, vcc_lo, s0, v72
	v_add_co_ci_u32_e32 v77, vcc_lo, s1, v73, vcc_lo
	v_add_co_u32 v72, vcc_lo, v74, v224
	v_add_co_ci_u32_e32 v73, vcc_lo, 0, v75, vcc_lo
	s_delay_alu instid0(VALU_DEP_4) | instskip(NEXT) | instid1(VALU_DEP_4)
	v_add_co_u32 v76, vcc_lo, v76, v224
	v_add_co_ci_u32_e32 v77, vcc_lo, 0, v77, vcc_lo
	s_clause 0x1
	global_load_b128 v[72:75], v[72:73], off
	global_load_b128 v[76:79], v[76:77], off
	s_waitcnt vmcnt(1)
	ds_store_b128 v204, v[72:75]
	s_waitcnt vmcnt(0)
	ds_store_b128 v205, v[76:79]
	v_lshlrev_b64 v[72:73], 2, v[114:115]
	s_delay_alu instid0(VALU_DEP_1) | instskip(NEXT) | instid1(VALU_DEP_2)
	v_add_co_u32 v74, vcc_lo, s0, v72
	v_add_co_ci_u32_e32 v75, vcc_lo, s1, v73, vcc_lo
	v_lshlrev_b64 v[72:73], 2, v[116:117]
	s_delay_alu instid0(VALU_DEP_1) | instskip(NEXT) | instid1(VALU_DEP_2)
	v_add_co_u32 v76, vcc_lo, s0, v72
	v_add_co_ci_u32_e32 v77, vcc_lo, s1, v73, vcc_lo
	v_add_co_u32 v72, vcc_lo, v74, v224
	v_add_co_ci_u32_e32 v73, vcc_lo, 0, v75, vcc_lo
	s_delay_alu instid0(VALU_DEP_4) | instskip(NEXT) | instid1(VALU_DEP_4)
	v_add_co_u32 v76, vcc_lo, v76, v224
	v_add_co_ci_u32_e32 v77, vcc_lo, 0, v77, vcc_lo
	s_clause 0x1
	global_load_b128 v[72:75], v[72:73], off
	global_load_b128 v[76:79], v[76:77], off
	s_mul_hi_i32 s1, s8, s10
	s_mul_i32 s0, s8, s10
	s_waitcnt vmcnt(1)
	ds_store_b128 v206, v[72:75]
	s_waitcnt vmcnt(0)
	ds_store_b128 v207, v[76:79]
	s_waitcnt lgkmcnt(0)
	s_waitcnt_vscnt null, 0x0
	s_barrier
	buffer_gl0_inv
	ds_load_b128 v[72:75], v88
	ds_load_b128 v[76:79], v88 offset:16
	ds_load_b128 v[80:83], v88 offset:3328
	;; [unrolled: 1-line block ×7, first 2 shown]
	s_lshl_b64 s[0:1], s[0:1], 2
	s_delay_alu instid0(SALU_CYCLE_1)
	s_add_u32 s0, s6, s0
	s_addc_u32 s1, s7, s1
	s_add_i32 s102, s102, 1
	s_add_i32 s8, s8, 64
	s_waitcnt lgkmcnt(6)
	v_wmma_f32_16x16x16_f16 v[150:157], v[72:79], v[64:71], v[142:149]
	ds_load_b128 v[72:75], v88 offset:32
	ds_load_b128 v[76:79], v88 offset:48
	s_waitcnt lgkmcnt(6)
	v_wmma_f32_16x16x16_f16 v[158:165], v[80:87], v[64:71], v[142:149]
	s_waitcnt lgkmcnt(4)
	v_wmma_f32_16x16x16_f16 v[80:87], v[126:133], v[64:71], v[142:149]
	;; [unrolled: 2-line block ×4, first 2 shown]
	ds_load_b128 v[72:75], v88 offset:3360
	ds_load_b128 v[76:79], v88 offset:3376
	s_waitcnt lgkmcnt(0)
	v_wmma_f32_16x16x16_f16 v[158:165], v[72:79], v[56:63], v[158:165]
	ds_load_b128 v[72:75], v88 offset:6688
	ds_load_b128 v[76:79], v88 offset:6704
	s_waitcnt lgkmcnt(0)
	v_wmma_f32_16x16x16_f16 v[80:87], v[72:79], v[56:63], v[80:87]
	;; [unrolled: 4-line block ×18, first 2 shown]
	ds_load_b128 v[72:75], v88 offset:10144
	ds_load_b128 v[76:79], v88 offset:10160
	s_waitcnt lgkmcnt(0)
	s_barrier
	buffer_gl0_inv
	v_wmma_f32_16x16x16_f16 v[126:133], v[72:79], v[40:47], v[126:133]
	ds_load_u16 v72, v208 offset:13312
	ds_load_u16 v73, v208 offset:13316
	;; [unrolled: 1-line block ×16, first 2 shown]
	s_waitcnt lgkmcnt(15)
	v_cvt_f32_f16_e32 v72, v72
	s_waitcnt lgkmcnt(7)
	v_cvt_f32_f16_e32 v88, v88
	v_cvt_f32_f16_e32 v74, v74
	s_waitcnt lgkmcnt(6)
	v_cvt_f32_f16_e64 v134, v134
	v_cvt_f32_f16_e32 v76, v76
	s_waitcnt lgkmcnt(5)
	v_cvt_f32_f16_e64 v135, v135
	;; [unrolled: 3-line block ×3, first 2 shown]
	s_waitcnt lgkmcnt(3)
	v_cvt_f32_f16_e64 v137, v137
	s_waitcnt lgkmcnt(2)
	v_cvt_f32_f16_e64 v138, v138
	;; [unrolled: 2-line block ×4, first 2 shown]
	v_dual_add_f32 v74, v152, v74 :: v_dual_add_f32 v247, v161, v136
	v_dual_add_f32 v76, v154, v76 :: v_dual_add_f32 v253, v159, v134
	;; [unrolled: 1-line block ×5, first 2 shown]
	v_add_f32_e32 v239, v165, v140
	ds_load_u16 v88, v208 offset:13376
	ds_load_u16 v134, v208 offset:13380
	;; [unrolled: 1-line block ×8, first 2 shown]
	v_cvt_f32_f16_e32 v73, v73
	v_cvt_f32_f16_e32 v75, v75
	;; [unrolled: 1-line block ×3, first 2 shown]
	v_add_f32_e32 v72, v150, v72
	v_cvt_f32_f16_e32 v77, v77
	v_add_f32_e32 v73, v151, v73
	v_add_f32_e32 v75, v153, v75
	;; [unrolled: 1-line block ×3, first 2 shown]
	s_delay_alu instid0(VALU_DEP_4)
	v_add_f32_e32 v77, v155, v77
	s_waitcnt lgkmcnt(7)
	v_cvt_f32_f16_e32 v88, v88
	s_waitcnt lgkmcnt(6)
	v_cvt_f32_f16_e64 v134, v134
	s_waitcnt lgkmcnt(5)
	v_cvt_f32_f16_e64 v135, v135
	;; [unrolled: 2-line block ×7, first 2 shown]
	v_dual_add_f32 v237, v80, v88 :: v_dual_add_f32 v238, v81, v134
	v_dual_add_f32 v236, v82, v135 :: v_dual_add_f32 v235, v83, v136
	;; [unrolled: 1-line block ×3, first 2 shown]
	s_delay_alu instid0(VALU_DEP_4)
	v_dual_add_f32 v232, v86, v139 :: v_dual_add_f32 v231, v87, v140
	ds_load_u16 v80, v208 offset:13408
	ds_load_u16 v81, v208 offset:13412
	;; [unrolled: 1-line block ×8, first 2 shown]
	s_waitcnt lgkmcnt(7)
	v_cvt_f32_f16_e32 v80, v80
	s_waitcnt lgkmcnt(6)
	v_cvt_f32_f16_e32 v81, v81
	s_waitcnt lgkmcnt(5)
	v_cvt_f32_f16_e32 v82, v82
	s_waitcnt lgkmcnt(4)
	v_cvt_f32_f16_e32 v83, v83
	s_waitcnt lgkmcnt(3)
	v_cvt_f32_f16_e32 v84, v84
	v_dual_add_f32 v229, v126, v80 :: v_dual_add_f32 v230, v127, v81
	v_lshlrev_b64 v[80:81], 2, v[100:101]
	v_dual_add_f32 v228, v128, v82 :: v_dual_add_f32 v227, v129, v83
	s_delay_alu instid0(VALU_DEP_4)
	v_add_f32_e32 v226, v130, v84
	s_waitcnt lgkmcnt(2)
	v_cvt_f32_f16_e32 v85, v85
	s_waitcnt lgkmcnt(0)
	v_cvt_f32_f16_e32 v87, v87
	v_add_co_u32 v82, vcc_lo, s0, v80
	v_add_co_ci_u32_e32 v83, vcc_lo, s1, v81, vcc_lo
	v_lshlrev_b64 v[80:81], 2, v[98:99]
	s_delay_alu instid0(VALU_DEP_4) | instskip(SKIP_1) | instid1(VALU_DEP_3)
	v_dual_add_f32 v225, v131, v85 :: v_dual_add_f32 v88, v133, v87
	v_cvt_f32_f16_e32 v86, v86
	v_add_co_u32 v84, vcc_lo, s0, v80
	s_delay_alu instid0(VALU_DEP_4) | instskip(SKIP_2) | instid1(VALU_DEP_4)
	v_add_co_ci_u32_e32 v85, vcc_lo, s1, v81, vcc_lo
	v_add_co_u32 v80, vcc_lo, v82, v223
	v_add_co_ci_u32_e32 v81, vcc_lo, 0, v83, vcc_lo
	v_add_co_u32 v84, vcc_lo, v84, v223
	s_delay_alu instid0(VALU_DEP_4)
	v_add_co_ci_u32_e32 v85, vcc_lo, 0, v85, vcc_lo
	v_add_f32_e32 v191, v132, v86
	s_clause 0x1
	global_load_b128 v[80:83], v[80:81], off offset:128
	global_load_b128 v[84:87], v[84:85], off offset:128
	s_waitcnt vmcnt(1)
	ds_store_b128 v202, v[80:83]
	s_waitcnt vmcnt(0)
	ds_store_b128 v203, v[84:87]
	v_lshlrev_b64 v[80:81], 2, v[90:91]
	s_delay_alu instid0(VALU_DEP_1) | instskip(NEXT) | instid1(VALU_DEP_2)
	v_add_co_u32 v82, vcc_lo, s0, v80
	v_add_co_ci_u32_e32 v83, vcc_lo, s1, v81, vcc_lo
	v_lshlrev_b64 v[80:81], 2, v[92:93]
	s_delay_alu instid0(VALU_DEP_1) | instskip(NEXT) | instid1(VALU_DEP_2)
	v_add_co_u32 v84, vcc_lo, s0, v80
	v_add_co_ci_u32_e32 v85, vcc_lo, s1, v81, vcc_lo
	v_add_co_u32 v80, vcc_lo, v82, v224
	v_add_co_ci_u32_e32 v81, vcc_lo, 0, v83, vcc_lo
	s_delay_alu instid0(VALU_DEP_4) | instskip(NEXT) | instid1(VALU_DEP_4)
	v_add_co_u32 v84, vcc_lo, v84, v224
	v_add_co_ci_u32_e32 v85, vcc_lo, 0, v85, vcc_lo
	s_clause 0x1
	global_load_b128 v[80:83], v[80:81], off
	global_load_b128 v[84:87], v[84:85], off
	s_waitcnt vmcnt(1)
	ds_store_b128 v204, v[80:83]
	s_waitcnt vmcnt(0)
	ds_store_b128 v205, v[84:87]
	v_lshlrev_b64 v[80:81], 2, v[94:95]
	s_delay_alu instid0(VALU_DEP_1) | instskip(NEXT) | instid1(VALU_DEP_2)
	v_add_co_u32 v82, vcc_lo, s0, v80
	v_add_co_ci_u32_e32 v83, vcc_lo, s1, v81, vcc_lo
	v_lshlrev_b64 v[80:81], 2, v[96:97]
	s_delay_alu instid0(VALU_DEP_1) | instskip(NEXT) | instid1(VALU_DEP_2)
	v_add_co_u32 v84, vcc_lo, s0, v80
	v_add_co_ci_u32_e32 v85, vcc_lo, s1, v81, vcc_lo
	v_add_co_u32 v80, vcc_lo, v82, v224
	v_add_co_ci_u32_e32 v81, vcc_lo, 0, v83, vcc_lo
	s_delay_alu instid0(VALU_DEP_4) | instskip(NEXT) | instid1(VALU_DEP_4)
	v_add_co_u32 v84, vcc_lo, v84, v224
	v_add_co_ci_u32_e32 v85, vcc_lo, 0, v85, vcc_lo
	s_clause 0x1
	global_load_b128 v[80:83], v[80:81], off
	global_load_b128 v[84:87], v[84:85], off
	v_cmp_eq_u32_e64 s1, 1, v174
	s_waitcnt vmcnt(1)
	ds_store_b128 v206, v[80:83]
	s_waitcnt vmcnt(0)
	ds_store_b128 v207, v[84:87]
	v_add_f32_e32 v82, 0x40051340, v73
	v_dual_mov_b32 v80, v180 :: v_dual_add_f32 v81, 0x40051340, v72
	v_add_f32_e32 v83, 0x40051340, v75
	s_waitcnt lgkmcnt(0)
	s_barrier
	buffer_gl0_inv
	v_max3_f32 v81, v80, v81, v82
	v_add_f32_e32 v82, 0x40051340, v74
	ds_load_2addr_b32 v[130:131], v210 offset1:16
	ds_load_2addr_b32 v[126:127], v210 offset0:32 offset1:52
	ds_load_2addr_b32 v[132:133], v210 offset0:104 offset1:120
	ds_load_2addr_b32 v[128:129], v210 offset0:136 offset1:156
	v_add_nc_u32_e32 v87, 0xa00, v210
	v_max3_f32 v81, v81, v82, v83
	v_dual_add_f32 v82, 0x40051340, v76 :: v_dual_add_f32 v83, 0x40051340, v77
	s_delay_alu instid0(VALU_DEP_1) | instskip(SKIP_1) | instid1(VALU_DEP_1)
	v_max3_f32 v81, v81, v82, v83
	v_dual_add_f32 v82, 0x40051340, v78 :: v_dual_add_f32 v83, 0x40051340, v79
	v_max3_f32 v81, v81, v82, v83
	v_dual_add_f32 v82, 0x40051340, v252 :: v_dual_add_f32 v83, 0x40051340, v253
	s_delay_alu instid0(VALU_DEP_1) | instskip(SKIP_1) | instid1(VALU_DEP_1)
	v_max3_f32 v81, v81, v82, v83
	v_dual_add_f32 v82, 0x40051340, v249 :: v_dual_add_f32 v83, 0x40051340, v247
	;; [unrolled: 5-line block ×7, first 2 shown]
	v_max3_f32 v81, v81, v82, v83
	ds_bpermute_b32 v82, v209, v81
	s_waitcnt lgkmcnt(0)
	v_max_f32_e32 v82, v82, v82
	s_delay_alu instid0(VALU_DEP_1) | instskip(NEXT) | instid1(VALU_DEP_1)
	v_max_f32_e32 v180, v81, v82
	v_sub_f32_e32 v73, v73, v180
	s_delay_alu instid0(VALU_DEP_1) | instskip(SKIP_3) | instid1(VALU_DEP_4)
	v_dual_mul_f32 v81, 0x3fb8aa3b, v73 :: v_dual_sub_f32 v72, v72, v180
	v_cmp_ngt_f32_e32 vcc_lo, 0xc2ce8ed0, v73
	v_sub_f32_e32 v74, v74, v180
	v_sub_f32_e32 v75, v75, v180
	v_fma_f32 v82, 0x3fb8aa3b, v73, -v81
	v_rndne_f32_e32 v83, v81
	v_cmp_ngt_f32_e64 s0, 0xc2ce8ed0, v72
	v_cmp_ngt_f32_e64 s3, 0xc2ce8ed0, v74
	v_sub_f32_e32 v76, v76, v180
	s_delay_alu instid0(VALU_DEP_4)
	v_dual_fmac_f32 v82, 0x32a5705f, v73 :: v_dual_sub_f32 v81, v81, v83
	v_cvt_i32_f32_e32 v83, v83
	v_sub_f32_e32 v77, v77, v180
	v_sub_f32_e32 v80, v80, v180
	v_add_nc_u32_e32 v164, 0x800, v210
	v_add_f32_e32 v81, v81, v82
	v_sub_f32_e32 v79, v79, v180
	s_delay_alu instid0(VALU_DEP_2) | instskip(SKIP_2) | instid1(VALU_DEP_1)
	v_exp_f32_e32 v81, v81
	s_waitcnt_depctr 0xfff
	v_ldexp_f32 v81, v81, v83
	v_dual_mul_f32 v82, 0x3fb8aa3b, v72 :: v_dual_cndmask_b32 v81, 0, v81
	v_cmp_nlt_f32_e32 vcc_lo, 0x42b17218, v73
	s_delay_alu instid0(VALU_DEP_2) | instskip(SKIP_1) | instid1(VALU_DEP_4)
	v_fma_f32 v84, 0x3fb8aa3b, v72, -v82
	v_rndne_f32_e32 v85, v82
	v_cndmask_b32_e32 v241, 0x7f800000, v81, vcc_lo
	v_cmp_eq_u32_e32 vcc_lo, 1, v89
	s_delay_alu instid0(VALU_DEP_3)
	v_sub_f32_e32 v82, v82, v85
	v_cvt_i32_f32_e32 v83, v85
	v_sub_f32_e32 v78, v78, v180
	ds_bpermute_b32 v81, v209, v241
	v_fmac_f32_e32 v84, 0x32a5705f, v72
	v_add_nc_u32_e32 v160, 0x400, v210
	s_delay_alu instid0(VALU_DEP_2) | instskip(NEXT) | instid1(VALU_DEP_1)
	v_add_f32_e32 v82, v82, v84
	v_exp_f32_e32 v82, v82
	s_waitcnt_depctr 0xfff
	v_ldexp_f32 v82, v82, v83
	s_delay_alu instid0(VALU_DEP_1) | instskip(SKIP_1) | instid1(VALU_DEP_1)
	v_cndmask_b32_e64 v73, 0, v82, s0
	v_cmp_nlt_f32_e64 s0, 0x42b17218, v72
	v_cndmask_b32_e64 v240, 0x7f800000, v73, s0
	v_cmp_eq_u32_e64 s0, 0, v89
	ds_bpermute_b32 v72, v209, v240
	s_waitcnt lgkmcnt(0)
	v_cndmask_b32_e32 v73, v240, v72, vcc_lo
	v_cndmask_b32_e64 v72, v240, v72, s0
	s_delay_alu instid0(VALU_DEP_2) | instskip(NEXT) | instid1(VALU_DEP_2)
	v_cndmask_b32_e64 v83, v73, v241, s1
	v_cndmask_b32_e64 v82, v72, v241, s2
	v_cvt_f16_f32_e32 v72, v72
	v_cvt_f16_f32_e32 v73, v73
	s_delay_alu instid0(VALU_DEP_3) | instskip(SKIP_1) | instid1(VALU_DEP_3)
	v_cndmask_b32_e64 v82, v82, v81, s0
	v_cndmask_b32_e32 v81, v83, v81, vcc_lo
	v_pack_b32_f16 v72, v72, v73
	s_delay_alu instid0(VALU_DEP_3) | instskip(NEXT) | instid1(VALU_DEP_3)
	v_cvt_f16_f32_e32 v83, v82
	v_cvt_f16_f32_e32 v84, v81
	s_delay_alu instid0(VALU_DEP_1) | instskip(SKIP_1) | instid1(VALU_DEP_1)
	v_pack_b32_f16 v73, v83, v84
	v_mul_f32_e32 v83, 0x3fb8aa3b, v74
	v_fma_f32 v84, 0x3fb8aa3b, v74, -v83
	v_rndne_f32_e32 v85, v83
	s_delay_alu instid0(VALU_DEP_1) | instskip(NEXT) | instid1(VALU_DEP_1)
	v_dual_fmac_f32 v84, 0x32a5705f, v74 :: v_dual_sub_f32 v83, v83, v85
	v_add_f32_e32 v83, v83, v84
	v_cvt_i32_f32_e32 v84, v85
	s_delay_alu instid0(VALU_DEP_2) | instskip(SKIP_2) | instid1(VALU_DEP_1)
	v_exp_f32_e32 v83, v83
	s_waitcnt_depctr 0xfff
	v_ldexp_f32 v83, v83, v84
	v_cndmask_b32_e64 v83, 0, v83, s3
	v_cmp_nlt_f32_e64 s3, 0x42b17218, v74
	s_delay_alu instid0(VALU_DEP_1) | instskip(NEXT) | instid1(VALU_DEP_1)
	v_cndmask_b32_e64 v244, 0x7f800000, v83, s3
	v_cndmask_b32_e64 v74, v82, v244, s2
	ds_bpermute_b32 v82, v209, v244
	v_cndmask_b32_e64 v81, v81, v244, s1
	s_waitcnt lgkmcnt(0)
	v_cndmask_b32_e64 v83, v74, v82, s0
	s_delay_alu instid0(VALU_DEP_2) | instskip(NEXT) | instid1(VALU_DEP_2)
	v_cndmask_b32_e32 v81, v81, v82, vcc_lo
	v_cvt_f16_f32_e32 v74, v83
	s_delay_alu instid0(VALU_DEP_2) | instskip(NEXT) | instid1(VALU_DEP_1)
	v_cvt_f16_f32_e32 v82, v81
	v_pack_b32_f16 v74, v74, v82
	v_mul_f32_e32 v82, 0x3fb8aa3b, v75
	s_delay_alu instid0(VALU_DEP_1) | instskip(SKIP_1) | instid1(VALU_DEP_1)
	v_fma_f32 v84, 0x3fb8aa3b, v75, -v82
	v_rndne_f32_e32 v85, v82
	v_sub_f32_e32 v82, v82, v85
	s_delay_alu instid0(VALU_DEP_3) | instskip(SKIP_1) | instid1(VALU_DEP_2)
	v_fmac_f32_e32 v84, 0x32a5705f, v75
	v_cmp_ngt_f32_e64 s3, 0xc2ce8ed0, v75
	v_add_f32_e32 v82, v82, v84
	v_cvt_i32_f32_e32 v84, v85
	s_delay_alu instid0(VALU_DEP_2) | instskip(SKIP_2) | instid1(VALU_DEP_1)
	v_exp_f32_e32 v82, v82
	s_waitcnt_depctr 0xfff
	v_ldexp_f32 v82, v82, v84
	v_cndmask_b32_e64 v82, 0, v82, s3
	v_cmp_nlt_f32_e64 s3, 0x42b17218, v75
	s_delay_alu instid0(VALU_DEP_1)
	v_cndmask_b32_e64 v246, 0x7f800000, v82, s3
	v_cmp_ngt_f32_e64 s3, 0xc2ce8ed0, v76
	ds_bpermute_b32 v82, v209, v246
	v_cndmask_b32_e64 v75, v83, v246, s2
	v_cndmask_b32_e64 v81, v81, v246, s1
	s_waitcnt lgkmcnt(0)
	s_delay_alu instid0(VALU_DEP_2) | instskip(NEXT) | instid1(VALU_DEP_2)
	v_cndmask_b32_e64 v83, v75, v82, s0
	v_cndmask_b32_e32 v81, v81, v82, vcc_lo
	s_delay_alu instid0(VALU_DEP_2) | instskip(NEXT) | instid1(VALU_DEP_2)
	v_cvt_f16_f32_e32 v75, v83
	v_cvt_f16_f32_e32 v82, v81
	s_delay_alu instid0(VALU_DEP_1) | instskip(SKIP_1) | instid1(VALU_DEP_1)
	v_pack_b32_f16 v75, v75, v82
	v_mul_f32_e32 v82, 0x3fb8aa3b, v76
	v_fma_f32 v84, 0x3fb8aa3b, v76, -v82
	v_rndne_f32_e32 v85, v82
	s_delay_alu instid0(VALU_DEP_2) | instskip(NEXT) | instid1(VALU_DEP_2)
	v_fmac_f32_e32 v84, 0x32a5705f, v76
	v_sub_f32_e32 v82, v82, v85
	s_delay_alu instid0(VALU_DEP_1) | instskip(SKIP_1) | instid1(VALU_DEP_2)
	v_add_f32_e32 v82, v82, v84
	v_cvt_i32_f32_e32 v84, v85
	v_exp_f32_e32 v82, v82
	s_waitcnt_depctr 0xfff
	v_ldexp_f32 v82, v82, v84
	s_delay_alu instid0(VALU_DEP_1) | instskip(SKIP_1) | instid1(VALU_DEP_1)
	v_cndmask_b32_e64 v82, 0, v82, s3
	v_cmp_nlt_f32_e64 s3, 0x42b17218, v76
	v_cndmask_b32_e64 v248, 0x7f800000, v82, s3
	v_cmp_ngt_f32_e64 s3, 0xc2ce8ed0, v77
	ds_bpermute_b32 v82, v209, v248
	v_cndmask_b32_e64 v76, v83, v248, s2
	v_cndmask_b32_e64 v81, v81, v248, s1
	s_waitcnt lgkmcnt(0)
	s_delay_alu instid0(VALU_DEP_2) | instskip(NEXT) | instid1(VALU_DEP_2)
	v_cndmask_b32_e64 v83, v76, v82, s0
	v_cndmask_b32_e32 v81, v81, v82, vcc_lo
	s_delay_alu instid0(VALU_DEP_2) | instskip(NEXT) | instid1(VALU_DEP_2)
	v_cvt_f16_f32_e32 v76, v83
	v_cvt_f16_f32_e32 v82, v81
	s_delay_alu instid0(VALU_DEP_1) | instskip(SKIP_1) | instid1(VALU_DEP_1)
	v_pack_b32_f16 v76, v76, v82
	v_mul_f32_e32 v82, 0x3fb8aa3b, v77
	v_fma_f32 v84, 0x3fb8aa3b, v77, -v82
	v_rndne_f32_e32 v85, v82
	s_delay_alu instid0(VALU_DEP_2) | instskip(NEXT) | instid1(VALU_DEP_2)
	v_fmac_f32_e32 v84, 0x32a5705f, v77
	v_sub_f32_e32 v82, v82, v85
	s_delay_alu instid0(VALU_DEP_1) | instskip(SKIP_1) | instid1(VALU_DEP_2)
	v_add_f32_e32 v82, v82, v84
	v_cvt_i32_f32_e32 v84, v85
	v_exp_f32_e32 v82, v82
	s_waitcnt_depctr 0xfff
	v_ldexp_f32 v82, v82, v84
	s_delay_alu instid0(VALU_DEP_1) | instskip(SKIP_1) | instid1(VALU_DEP_1)
	v_cndmask_b32_e64 v82, 0, v82, s3
	v_cmp_nlt_f32_e64 s3, 0x42b17218, v77
	;; [unrolled: 29-line block ×4, first 2 shown]
	v_cndmask_b32_e64 v254, 0x7f800000, v82, s3
	ds_bpermute_b32 v82, v209, v254
	v_cndmask_b32_e64 v79, v83, v254, s2
	v_cndmask_b32_e64 v81, v81, v254, s1
	s_waitcnt lgkmcnt(0)
	s_delay_alu instid0(VALU_DEP_2) | instskip(NEXT) | instid1(VALU_DEP_2)
	v_cndmask_b32_e64 v79, v79, v82, s0
	v_cndmask_b32_e32 v81, v81, v82, vcc_lo
	s_delay_alu instid0(VALU_DEP_2) | instskip(NEXT) | instid1(VALU_DEP_2)
	v_cvt_f16_f32_e32 v79, v79
	v_cvt_f16_f32_e32 v81, v81
	s_delay_alu instid0(VALU_DEP_1) | instskip(SKIP_1) | instid1(VALU_DEP_1)
	v_pack_b32_f16 v79, v79, v81
	v_mul_f32_e32 v81, 0x3fb8aa3b, v80
	v_fma_f32 v82, 0x3fb8aa3b, v80, -v81
	v_rndne_f32_e32 v83, v81
	s_delay_alu instid0(VALU_DEP_1) | instskip(NEXT) | instid1(VALU_DEP_1)
	v_dual_fmac_f32 v82, 0x32a5705f, v80 :: v_dual_sub_f32 v81, v81, v83
	v_add_f32_e32 v81, v81, v82
	v_cvt_i32_f32_e32 v82, v83
	v_cmp_ngt_f32_e64 s3, 0xc2ce8ed0, v80
	s_delay_alu instid0(VALU_DEP_3) | instskip(SKIP_3) | instid1(VALU_DEP_2)
	v_exp_f32_e32 v81, v81
	s_waitcnt_depctr 0xfff
	v_ldexp_f32 v81, v81, v82
	v_add_nc_u32_e32 v82, 0x200, v210
	v_cndmask_b32_e64 v81, 0, v81, s3
	v_cmp_nlt_f32_e64 s3, 0x42b17218, v80
	ds_load_2addr_b32 v[144:145], v82 offset0:80 offset1:132
	ds_load_2addr_b32 v[140:141], v160 offset0:56 offset1:72
	;; [unrolled: 1-line block ×9, first 2 shown]
	v_cndmask_b32_e64 v81, 0x7f800000, v81, s3
	v_cmp_le_f32_e64 s3, 0xc1a00000, v80
	v_perm_b32 v80, v127, v130, 0x5040100
	ds_load_2addr_b32 v[150:151], v210 offset0:68 offset1:84
	ds_load_2addr_b32 v[152:153], v210 offset0:172 offset1:188
	v_cndmask_b32_e64 v171, 0, v81, s3
	v_perm_b32 v81, v129, v132, 0x5040100
	s_delay_alu instid0(VALU_DEP_2)
	v_cvt_f16_f32_e64 v172, v171
	s_waitcnt lgkmcnt(10)
	v_perm_b32 v82, v145, v144, 0x5040100
	s_waitcnt lgkmcnt(8)
	v_perm_b32 v83, v135, v140, 0x5040100
	v_pk_mul_f16 v16, v172, v16 op_sel_hi:[0,1]
	v_pk_mul_f16 v17, v172, v17 op_sel_hi:[0,1]
	;; [unrolled: 1-line block ×8, first 2 shown]
	s_waitcnt lgkmcnt(7)
	v_perm_b32 v84, v149, v148, 0x5040100
	s_waitcnt lgkmcnt(5)
	v_perm_b32 v85, v137, v142, 0x5040100
	;; [unrolled: 2-line block ×4, first 2 shown]
	v_pk_mul_f16 v8, v172, v8 op_sel_hi:[0,1]
	v_pk_mul_f16 v9, v172, v9 op_sel_hi:[0,1]
	;; [unrolled: 1-line block ×4, first 2 shown]
	v_wmma_f16_16x16x16_f16 v[16:23], v[80:87], v[72:79], v[16:23]
	v_add_nc_u32_e32 v82, 0x300, v214
	ds_load_2addr_b32 v[166:167], v82 offset0:16 offset1:224
	ds_load_2addr_b32 v[156:157], v160 offset0:20 offset1:36
	;; [unrolled: 1-line block ×6, first 2 shown]
	ds_load_b32 v173, v214 offset:2496
	ds_load_b32 v185, v215 offset:2496
	;; [unrolled: 1-line block ×5, first 2 shown]
	ds_load_2addr_b32 v[186:187], v168 offset0:28 offset1:44
	v_pk_mul_f16 v12, v172, v12 op_sel_hi:[0,1]
	v_pk_mul_f16 v13, v172, v13 op_sel_hi:[0,1]
	;; [unrolled: 1-line block ×4, first 2 shown]
	s_waitcnt lgkmcnt(13)
	v_perm_b32 v80, v150, v131, 0x5040100
	s_waitcnt lgkmcnt(12)
	v_perm_b32 v81, v152, v133, 0x5040100
	v_pk_mul_f16 v0, v172, v0 op_sel_hi:[0,1]
	v_pk_mul_f16 v1, v172, v1 op_sel_hi:[0,1]
	;; [unrolled: 1-line block ×8, first 2 shown]
	s_waitcnt lgkmcnt(10)
	v_perm_b32 v82, v156, v166, 0x5040100
	s_waitcnt lgkmcnt(9)
	v_perm_b32 v83, v158, v141, 0x5040100
	;; [unrolled: 2-line block ×6, first 2 shown]
	v_perm_b32 v192, v151, v126, 0x5040100
	v_perm_b32 v193, v153, v128, 0x5040100
	v_perm_b32 v195, v159, v134, 0x5040100
	v_perm_b32 v197, v163, v136, 0x5040100
	v_wmma_f16_16x16x16_f16 v[8:15], v[80:87], v[72:79], v[8:15]
	v_add_nc_u32_e32 v80, 0x300, v218
	v_perm_b32 v199, v187, v138, 0x5040100
	v_perm_b32 v126, v151, v126, 0x7060302
	ds_load_2addr_b32 v[83:84], v80 offset0:16 offset1:224
	ds_load_b32 v81, v218 offset:2496
	ds_load_b32 v87, v219 offset:2496
	;; [unrolled: 1-line block ×4, first 2 shown]
	s_waitcnt lgkmcnt(3)
	v_perm_b32 v198, v165, v81, 0x5040100
	v_perm_b32 v194, v157, v83, 0x5040100
	;; [unrolled: 1-line block ×3, first 2 shown]
	s_delay_alu instid0(VALU_DEP_1)
	v_wmma_f16_16x16x16_f16 v[0:7], v[192:199], v[72:79], v[0:7]
	v_perm_b32 v194, v145, v144, 0x7060302
	v_perm_b32 v196, v149, v148, 0x7060302
	;; [unrolled: 1-line block ×12, first 2 shown]
	v_wmma_f16_16x16x16_f16 v[16:23], v[192:199], v[72:79], v[16:23] op_sel:[0,0,1]
	v_perm_b32 v192, v150, v131, 0x7060302
	v_perm_b32 v193, v152, v133, 0x7060302
	;; [unrolled: 1-line block ×11, first 2 shown]
	s_delay_alu instid0(VALU_DEP_4) | instskip(SKIP_2) | instid1(VALU_DEP_4)
	v_wmma_f16_16x16x16_f16 v[8:15], v[192:199], v[72:79], v[8:15] op_sel:[0,0,1]
	v_add_nc_u32_e32 v192, 0x1000, v210
	v_add_nc_u32_e32 v196, 0x1400, v210
	v_wmma_f16_16x16x16_f16 v[0:7], v[126:133], v[72:79], v[0:7] op_sel:[0,0,1]
	v_sub_f32_e32 v72, v253, v180
	s_delay_alu instid0(VALU_DEP_1) | instskip(SKIP_1) | instid1(VALU_DEP_2)
	v_mul_f32_e32 v73, 0x3fb8aa3b, v72
	v_cmp_ngt_f32_e64 s3, 0xc2ce8ed0, v72
	v_fma_f32 v74, 0x3fb8aa3b, v72, -v73
	v_rndne_f32_e32 v75, v73
	s_delay_alu instid0(VALU_DEP_1) | instskip(SKIP_1) | instid1(VALU_DEP_2)
	v_dual_fmac_f32 v74, 0x32a5705f, v72 :: v_dual_sub_f32 v73, v73, v75
	v_cvt_i32_f32_e32 v75, v75
	v_dual_add_f32 v73, v73, v74 :: v_dual_sub_f32 v74, v252, v180
	s_delay_alu instid0(VALU_DEP_1) | instskip(NEXT) | instid1(VALU_DEP_1)
	v_exp_f32_e32 v73, v73
	v_mul_f32_e32 v76, 0x3fb8aa3b, v74
	v_cmp_ngt_f32_e64 s4, 0xc2ce8ed0, v74
	s_delay_alu instid0(VALU_DEP_2)
	v_fma_f32 v77, 0x3fb8aa3b, v74, -v76
	v_rndne_f32_e32 v78, v76
	s_waitcnt_depctr 0xfff
	v_ldexp_f32 v73, v73, v75
	v_fmac_f32_e32 v77, 0x32a5705f, v74
	v_sub_f32_e32 v76, v76, v78
	v_cvt_i32_f32_e32 v75, v78
	s_delay_alu instid0(VALU_DEP_4) | instskip(SKIP_1) | instid1(VALU_DEP_4)
	v_cndmask_b32_e64 v73, 0, v73, s3
	v_cmp_nlt_f32_e64 s3, 0x42b17218, v72
	v_add_f32_e32 v76, v76, v77
	s_delay_alu instid0(VALU_DEP_2) | instskip(NEXT) | instid1(VALU_DEP_2)
	v_cndmask_b32_e64 v73, 0x7f800000, v73, s3
	v_exp_f32_e32 v76, v76
	s_waitcnt_depctr 0xfff
	v_ldexp_f32 v75, v76, v75
	ds_bpermute_b32 v76, v209, v73
	v_cndmask_b32_e64 v72, 0, v75, s4
	v_cmp_nlt_f32_e64 s4, 0x42b17218, v74
	s_delay_alu instid0(VALU_DEP_1) | instskip(SKIP_4) | instid1(VALU_DEP_2)
	v_cndmask_b32_e64 v72, 0x7f800000, v72, s4
	ds_bpermute_b32 v74, v209, v72
	s_waitcnt lgkmcnt(0)
	v_cndmask_b32_e32 v75, v72, v74, vcc_lo
	v_cndmask_b32_e64 v74, v72, v74, s0
	v_cndmask_b32_e64 v78, v75, v73, s1
	s_delay_alu instid0(VALU_DEP_2) | instskip(SKIP_2) | instid1(VALU_DEP_3)
	v_cndmask_b32_e64 v77, v74, v73, s2
	v_cvt_f16_f32_e32 v74, v74
	v_cvt_f16_f32_e32 v75, v75
	v_cndmask_b32_e64 v77, v77, v76, s0
	v_cndmask_b32_e32 v76, v78, v76, vcc_lo
	s_delay_alu instid0(VALU_DEP_3) | instskip(SKIP_1) | instid1(VALU_DEP_4)
	v_pack_b32_f16 v126, v74, v75
	v_sub_f32_e32 v74, v249, v180
	v_cvt_f16_f32_e32 v78, v77
	s_delay_alu instid0(VALU_DEP_4) | instskip(NEXT) | instid1(VALU_DEP_3)
	v_cvt_f16_f32_e32 v79, v76
	v_mul_f32_e32 v75, 0x3fb8aa3b, v74
	v_cmp_ngt_f32_e64 s3, 0xc2ce8ed0, v74
	s_delay_alu instid0(VALU_DEP_3) | instskip(NEXT) | instid1(VALU_DEP_3)
	v_pack_b32_f16 v127, v78, v79
	v_fma_f32 v78, 0x3fb8aa3b, v74, -v75
	v_rndne_f32_e32 v79, v75
	s_delay_alu instid0(VALU_DEP_1) | instskip(NEXT) | instid1(VALU_DEP_1)
	v_dual_fmac_f32 v78, 0x32a5705f, v74 :: v_dual_sub_f32 v75, v75, v79
	v_add_f32_e32 v75, v75, v78
	v_cvt_i32_f32_e32 v78, v79
	s_delay_alu instid0(VALU_DEP_2) | instskip(SKIP_2) | instid1(VALU_DEP_1)
	v_exp_f32_e32 v75, v75
	s_waitcnt_depctr 0xfff
	v_ldexp_f32 v75, v75, v78
	v_cndmask_b32_e64 v75, 0, v75, s3
	v_cmp_nlt_f32_e64 s3, 0x42b17218, v74
	s_delay_alu instid0(VALU_DEP_1) | instskip(NEXT) | instid1(VALU_DEP_1)
	v_cndmask_b32_e64 v74, 0x7f800000, v75, s3
	v_cndmask_b32_e64 v75, v76, v74, s1
	;; [unrolled: 1-line block ×3, first 2 shown]
	ds_bpermute_b32 v77, v209, v74
	s_waitcnt lgkmcnt(0)
	v_cndmask_b32_e64 v76, v76, v77, s0
	v_cndmask_b32_e32 v77, v75, v77, vcc_lo
	s_delay_alu instid0(VALU_DEP_2) | instskip(NEXT) | instid1(VALU_DEP_2)
	v_cvt_f16_f32_e32 v75, v76
	v_cvt_f16_f32_e32 v78, v77
	s_delay_alu instid0(VALU_DEP_1) | instskip(SKIP_2) | instid1(VALU_DEP_2)
	v_pack_b32_f16 v128, v75, v78
	v_sub_f32_e32 v75, v247, v180
	v_add_nc_u32_e32 v247, 0x1800, v210
	v_mul_f32_e32 v78, 0x3fb8aa3b, v75
	v_cmp_ngt_f32_e64 s3, 0xc2ce8ed0, v75
	s_delay_alu instid0(VALU_DEP_2) | instskip(SKIP_1) | instid1(VALU_DEP_1)
	v_fma_f32 v79, 0x3fb8aa3b, v75, -v78
	v_rndne_f32_e32 v81, v78
	v_dual_fmac_f32 v79, 0x32a5705f, v75 :: v_dual_sub_f32 v78, v78, v81
	s_delay_alu instid0(VALU_DEP_1) | instskip(SKIP_1) | instid1(VALU_DEP_2)
	v_add_f32_e32 v78, v78, v79
	v_cvt_i32_f32_e32 v79, v81
	v_exp_f32_e32 v78, v78
	s_waitcnt_depctr 0xfff
	v_ldexp_f32 v78, v78, v79
	s_delay_alu instid0(VALU_DEP_1) | instskip(SKIP_1) | instid1(VALU_DEP_1)
	v_cndmask_b32_e64 v78, 0, v78, s3
	v_cmp_nlt_f32_e64 s3, 0x42b17218, v75
	v_cndmask_b32_e64 v75, 0x7f800000, v78, s3
	ds_bpermute_b32 v78, v209, v75
	v_cndmask_b32_e64 v76, v76, v75, s2
	v_cndmask_b32_e64 v77, v77, v75, s1
	s_waitcnt lgkmcnt(0)
	s_delay_alu instid0(VALU_DEP_2) | instskip(NEXT) | instid1(VALU_DEP_2)
	v_cndmask_b32_e64 v79, v76, v78, s0
	v_cndmask_b32_e32 v77, v77, v78, vcc_lo
	s_delay_alu instid0(VALU_DEP_2) | instskip(NEXT) | instid1(VALU_DEP_2)
	v_cvt_f16_f32_e32 v76, v79
	v_cvt_f16_f32_e32 v78, v77
	s_delay_alu instid0(VALU_DEP_1) | instskip(SKIP_1) | instid1(VALU_DEP_1)
	v_pack_b32_f16 v129, v76, v78
	v_sub_f32_e32 v76, v245, v180
	v_mul_f32_e32 v78, 0x3fb8aa3b, v76
	v_cmp_ngt_f32_e64 s3, 0xc2ce8ed0, v76
	s_delay_alu instid0(VALU_DEP_2) | instskip(SKIP_1) | instid1(VALU_DEP_1)
	v_fma_f32 v81, 0x3fb8aa3b, v76, -v78
	v_rndne_f32_e32 v83, v78
	v_dual_fmac_f32 v81, 0x32a5705f, v76 :: v_dual_sub_f32 v78, v78, v83
	s_delay_alu instid0(VALU_DEP_1) | instskip(SKIP_1) | instid1(VALU_DEP_2)
	v_add_f32_e32 v78, v78, v81
	v_cvt_i32_f32_e32 v81, v83
	v_exp_f32_e32 v78, v78
	s_waitcnt_depctr 0xfff
	v_ldexp_f32 v78, v78, v81
	s_delay_alu instid0(VALU_DEP_1) | instskip(SKIP_1) | instid1(VALU_DEP_1)
	v_cndmask_b32_e64 v78, 0, v78, s3
	v_cmp_nlt_f32_e64 s3, 0x42b17218, v76
	v_cndmask_b32_e64 v76, 0x7f800000, v78, s3
	s_delay_alu instid0(VALU_DEP_1) | instskip(SKIP_4) | instid1(VALU_DEP_2)
	v_cndmask_b32_e64 v78, v79, v76, s2
	ds_bpermute_b32 v79, v209, v76
	v_cndmask_b32_e64 v77, v77, v76, s1
	s_waitcnt lgkmcnt(0)
	v_cndmask_b32_e64 v78, v78, v79, s0
	v_cndmask_b32_e32 v79, v77, v79, vcc_lo
	s_delay_alu instid0(VALU_DEP_2) | instskip(NEXT) | instid1(VALU_DEP_2)
	v_cvt_f16_f32_e32 v77, v78
	v_cvt_f16_f32_e32 v81, v79
	s_delay_alu instid0(VALU_DEP_1) | instskip(SKIP_1) | instid1(VALU_DEP_1)
	v_pack_b32_f16 v130, v77, v81
	v_sub_f32_e32 v77, v243, v180
	v_mul_f32_e32 v81, 0x3fb8aa3b, v77
	v_cmp_ngt_f32_e64 s3, 0xc2ce8ed0, v77
	s_delay_alu instid0(VALU_DEP_2) | instskip(SKIP_1) | instid1(VALU_DEP_2)
	v_fma_f32 v83, 0x3fb8aa3b, v77, -v81
	v_rndne_f32_e32 v84, v81
	v_fmac_f32_e32 v83, 0x32a5705f, v77
	s_delay_alu instid0(VALU_DEP_2) | instskip(NEXT) | instid1(VALU_DEP_1)
	v_sub_f32_e32 v81, v81, v84
	v_add_f32_e32 v81, v81, v83
	v_cvt_i32_f32_e32 v83, v84
	s_delay_alu instid0(VALU_DEP_2) | instskip(SKIP_2) | instid1(VALU_DEP_1)
	v_exp_f32_e32 v81, v81
	s_waitcnt_depctr 0xfff
	v_ldexp_f32 v81, v81, v83
	v_cndmask_b32_e64 v81, 0, v81, s3
	v_cmp_nlt_f32_e64 s3, 0x42b17218, v77
	s_delay_alu instid0(VALU_DEP_1) | instskip(SKIP_4) | instid1(VALU_DEP_2)
	v_cndmask_b32_e64 v77, 0x7f800000, v81, s3
	ds_bpermute_b32 v81, v209, v77
	v_cndmask_b32_e64 v78, v78, v77, s2
	v_cndmask_b32_e64 v79, v79, v77, s1
	s_waitcnt lgkmcnt(0)
	v_cndmask_b32_e64 v83, v78, v81, s0
	s_delay_alu instid0(VALU_DEP_2) | instskip(NEXT) | instid1(VALU_DEP_2)
	v_cndmask_b32_e32 v79, v79, v81, vcc_lo
	v_cvt_f16_f32_e32 v78, v83
	s_delay_alu instid0(VALU_DEP_2) | instskip(NEXT) | instid1(VALU_DEP_1)
	v_cvt_f16_f32_e32 v81, v79
	v_pack_b32_f16 v131, v78, v81
	v_sub_f32_e32 v78, v242, v180
	s_delay_alu instid0(VALU_DEP_1) | instskip(SKIP_1) | instid1(VALU_DEP_2)
	v_mul_f32_e32 v81, 0x3fb8aa3b, v78
	v_cmp_ngt_f32_e64 s3, 0xc2ce8ed0, v78
	v_fma_f32 v84, 0x3fb8aa3b, v78, -v81
	v_rndne_f32_e32 v85, v81
	s_delay_alu instid0(VALU_DEP_1) | instskip(NEXT) | instid1(VALU_DEP_1)
	v_dual_fmac_f32 v84, 0x32a5705f, v78 :: v_dual_sub_f32 v81, v81, v85
	v_add_f32_e32 v81, v81, v84
	v_cvt_i32_f32_e32 v84, v85
	s_delay_alu instid0(VALU_DEP_2) | instskip(SKIP_2) | instid1(VALU_DEP_1)
	v_exp_f32_e32 v81, v81
	s_waitcnt_depctr 0xfff
	v_ldexp_f32 v81, v81, v84
	v_cndmask_b32_e64 v81, 0, v81, s3
	v_cmp_nlt_f32_e64 s3, 0x42b17218, v78
	s_delay_alu instid0(VALU_DEP_1) | instskip(NEXT) | instid1(VALU_DEP_1)
	v_cndmask_b32_e64 v78, 0x7f800000, v81, s3
	v_cndmask_b32_e64 v81, v83, v78, s2
	ds_bpermute_b32 v83, v209, v78
	v_cndmask_b32_e64 v79, v79, v78, s1
	s_waitcnt lgkmcnt(0)
	v_cndmask_b32_e64 v81, v81, v83, s0
	s_delay_alu instid0(VALU_DEP_2) | instskip(NEXT) | instid1(VALU_DEP_2)
	v_cndmask_b32_e32 v83, v79, v83, vcc_lo
	v_cvt_f16_f32_e32 v79, v81
	s_delay_alu instid0(VALU_DEP_2) | instskip(NEXT) | instid1(VALU_DEP_1)
	v_cvt_f16_f32_e32 v84, v83
	v_pack_b32_f16 v132, v79, v84
	v_sub_f32_e32 v79, v239, v180
	s_delay_alu instid0(VALU_DEP_1) | instskip(SKIP_1) | instid1(VALU_DEP_2)
	v_mul_f32_e32 v84, 0x3fb8aa3b, v79
	v_cmp_ngt_f32_e64 s3, 0xc2ce8ed0, v79
	v_fma_f32 v85, 0x3fb8aa3b, v79, -v84
	v_rndne_f32_e32 v86, v84
	s_delay_alu instid0(VALU_DEP_1) | instskip(NEXT) | instid1(VALU_DEP_1)
	v_dual_fmac_f32 v85, 0x32a5705f, v79 :: v_dual_sub_f32 v84, v84, v86
	v_add_f32_e32 v84, v84, v85
	v_cvt_i32_f32_e32 v85, v86
	s_delay_alu instid0(VALU_DEP_2) | instskip(SKIP_2) | instid1(VALU_DEP_1)
	v_exp_f32_e32 v84, v84
	s_waitcnt_depctr 0xfff
	v_ldexp_f32 v84, v84, v85
	v_cndmask_b32_e64 v84, 0, v84, s3
	v_cmp_nlt_f32_e64 s3, 0x42b17218, v79
	s_delay_alu instid0(VALU_DEP_1) | instskip(SKIP_4) | instid1(VALU_DEP_2)
	v_cndmask_b32_e64 v79, 0x7f800000, v84, s3
	ds_bpermute_b32 v84, v209, v79
	v_cndmask_b32_e64 v81, v81, v79, s2
	v_cndmask_b32_e64 v83, v83, v79, s1
	s_waitcnt lgkmcnt(0)
	v_cndmask_b32_e64 v81, v81, v84, s0
	s_delay_alu instid0(VALU_DEP_2) | instskip(NEXT) | instid1(VALU_DEP_2)
	v_cndmask_b32_e32 v83, v83, v84, vcc_lo
	v_cvt_f16_f32_e32 v81, v81
	s_delay_alu instid0(VALU_DEP_2) | instskip(NEXT) | instid1(VALU_DEP_1)
	v_cvt_f16_f32_e32 v83, v83
	v_pack_b32_f16 v133, v81, v83
	v_add_nc_u32_e32 v81, 0x300, v211
	ds_load_2addr_b32 v[83:84], v168 offset0:64 offset1:80
	ds_load_2addr_b32 v[85:86], v168 offset0:96 offset1:116
	;; [unrolled: 1-line block ×6, first 2 shown]
	v_add_nc_u32_e32 v81, 0x1200, v210
	ds_load_2addr_b32 v[150:151], v192 offset0:100 offset1:120
	ds_load_2addr_b32 v[152:153], v192 offset0:172 offset1:188
	;; [unrolled: 1-line block ×5, first 2 shown]
	ds_load_b32 v239, v212 offset:2496
	ds_load_b32 v245, v211 offset:2496
	;; [unrolled: 1-line block ×3, first 2 shown]
	ds_load_2addr_b32 v[160:161], v196 offset0:228 offset1:244
	ds_load_2addr_b32 v[162:163], v247 offset0:4 offset1:24
	ds_load_2addr_b32 v[164:165], v247 offset0:76 offset1:92
	ds_load_2addr_b32 v[166:167], v168 offset0:132 offset1:148
	ds_load_2addr_b32 v[172:173], v168 offset0:236 offset1:252
	ds_load_2addr_b32 v[192:193], v192 offset0:136 offset1:152
	ds_load_2addr_b32 v[194:195], v196 offset0:36 offset1:52
	ds_load_2addr_b32 v[196:197], v196 offset0:140 offset1:156
	s_waitcnt lgkmcnt(20)
	v_perm_b32 v134, v86, v83, 0x5040100
	ds_load_2addr_b32 v[198:199], v247 offset0:40 offset1:56
	s_waitcnt lgkmcnt(19)
	v_perm_b32 v135, v145, v142, 0x5040100
	ds_load_2addr_b32 v[252:253], v247 offset0:108 offset1:128
	s_waitcnt lgkmcnt(18)
	v_perm_b32 v136, v148, v146, 0x5040100
	s_waitcnt lgkmcnt(16)
	v_perm_b32 v137, v152, v151, 0x5040100
	;; [unrolled: 2-line block ×6, first 2 shown]
	s_delay_alu instid0(VALU_DEP_1)
	v_wmma_f16_16x16x16_f16 v[16:23], v[134:141], v[126:133], v[16:23]
	v_add_nc_u32_e32 v136, 0x300, v215
	s_waitcnt lgkmcnt(6)
	v_perm_b32 v134, v166, v84, 0x5040100
	s_waitcnt lgkmcnt(5)
	v_perm_b32 v135, v172, v143, 0x5040100
	;; [unrolled: 2-line block ×4, first 2 shown]
	ds_load_2addr_b32 v[186:187], v136 offset0:16 offset1:224
	v_perm_b32 v140, v161, v185, 0x5040100
	s_waitcnt lgkmcnt(2)
	v_perm_b32 v141, v165, v198, 0x5040100
	s_waitcnt lgkmcnt(0)
	v_perm_b32 v136, v149, v186, 0x5040100
	v_perm_b32 v138, v194, v187, 0x5040100
	s_delay_alu instid0(VALU_DEP_1)
	v_wmma_f16_16x16x16_f16 v[8:15], v[134:141], v[126:133], v[8:15]
	v_add_nc_u32_e32 v136, 0x300, v219
	v_perm_b32 v134, v167, v85, 0x5040100
	v_perm_b32 v135, v173, v144, 0x5040100
	;; [unrolled: 1-line block ×4, first 2 shown]
	ds_load_2addr_b32 v[242:243], v136 offset0:16 offset1:224
	v_perm_b32 v140, v162, v87, 0x5040100
	v_perm_b32 v141, v252, v199, 0x5040100
	s_waitcnt lgkmcnt(0)
	v_perm_b32 v136, v150, v242, 0x5040100
	v_perm_b32 v138, v195, v243, 0x5040100
	s_delay_alu instid0(VALU_DEP_1)
	v_wmma_f16_16x16x16_f16 v[0:7], v[134:141], v[126:133], v[0:7]
	v_perm_b32 v136, v148, v146, 0x7060302
	v_perm_b32 v138, v155, v147, 0x7060302
	;; [unrolled: 1-line block ×8, first 2 shown]
	v_sub_f32_e32 v83, v238, v180
	s_delay_alu instid0(VALU_DEP_2)
	v_wmma_f16_16x16x16_f16 v[16:23], v[134:141], v[126:133], v[16:23] op_sel:[0,0,1]
	v_perm_b32 v140, v161, v185, 0x7060302
	v_perm_b32 v134, v166, v84, 0x7060302
	v_perm_b32 v135, v172, v143, 0x7060302
	v_perm_b32 v137, v153, v192, 0x7060302
	v_perm_b32 v136, v149, v186, 0x7060302
	v_perm_b32 v138, v194, v187, 0x7060302
	v_perm_b32 v139, v196, v157, 0x7060302
	v_perm_b32 v141, v165, v198, 0x7060302
	v_mul_f32_e32 v84, 0x3fb8aa3b, v83
	v_cmp_ngt_f32_e64 s3, 0xc2ce8ed0, v83
	v_add_nc_u32_e32 v196, 0x2000, v210
	s_delay_alu instid0(VALU_DEP_4)
	v_wmma_f16_16x16x16_f16 v[8:15], v[134:141], v[126:133], v[8:15] op_sel:[0,0,1]
	v_perm_b32 v134, v167, v85, 0x7060302
	v_fma_f32 v85, 0x3fb8aa3b, v83, -v84
	v_rndne_f32_e32 v86, v84
	v_perm_b32 v135, v173, v144, 0x7060302
	v_perm_b32 v137, v154, v193, 0x7060302
	;; [unrolled: 1-line block ×3, first 2 shown]
	s_delay_alu instid0(VALU_DEP_4)
	v_dual_fmac_f32 v85, 0x32a5705f, v83 :: v_dual_sub_f32 v84, v84, v86
	v_perm_b32 v138, v195, v243, 0x7060302
	v_perm_b32 v139, v197, v158, 0x7060302
	v_perm_b32 v140, v162, v87, 0x7060302
	v_perm_b32 v141, v252, v199, 0x7060302
	v_dual_add_f32 v84, v84, v85 :: v_dual_sub_f32 v85, v237, v180
	v_cvt_i32_f32_e32 v86, v86
	v_add_nc_u32_e32 v242, 0x2400, v210
	s_delay_alu instid0(VALU_DEP_4) | instskip(NEXT) | instid1(VALU_DEP_4)
	v_wmma_f16_16x16x16_f16 v[0:7], v[134:141], v[126:133], v[0:7] op_sel:[0,0,1]
	v_exp_f32_e32 v84, v84
	v_mul_f32_e32 v87, 0x3fb8aa3b, v85
	v_cmp_ngt_f32_e64 s4, 0xc2ce8ed0, v85
	v_add_nc_u32_e32 v136, 0x300, v212
	v_add_nc_u32_e32 v140, 0x2200, v210
	s_delay_alu instid0(VALU_DEP_4) | instskip(SKIP_1) | instid1(TRANS32_DEP_1)
	v_fma_f32 v126, 0x3fb8aa3b, v85, -v87
	v_rndne_f32_e32 v127, v87
	v_ldexp_f32 v84, v84, v86
	s_delay_alu instid0(VALU_DEP_2) | instskip(SKIP_1) | instid1(VALU_DEP_3)
	v_dual_fmac_f32 v126, 0x32a5705f, v85 :: v_dual_sub_f32 v87, v87, v127
	v_cvt_i32_f32_e32 v86, v127
	v_cndmask_b32_e64 v84, 0, v84, s3
	v_cmp_nlt_f32_e64 s3, 0x42b17218, v83
	s_delay_alu instid0(VALU_DEP_4) | instskip(NEXT) | instid1(VALU_DEP_2)
	v_add_f32_e32 v87, v87, v126
	v_cndmask_b32_e64 v187, 0x7f800000, v84, s3
	s_delay_alu instid0(VALU_DEP_2) | instskip(SKIP_2) | instid1(VALU_DEP_1)
	v_exp_f32_e32 v87, v87
	s_waitcnt_depctr 0xfff
	v_ldexp_f32 v86, v87, v86
	v_cndmask_b32_e64 v83, 0, v86, s4
	v_cmp_nlt_f32_e64 s4, 0x42b17218, v85
	ds_bpermute_b32 v85, v209, v187
	v_cndmask_b32_e64 v168, 0x7f800000, v83, s4
	ds_bpermute_b32 v83, v209, v168
	s_waitcnt lgkmcnt(0)
	v_cndmask_b32_e64 v84, v168, v83, s0
	v_cndmask_b32_e32 v83, v168, v83, vcc_lo
	s_delay_alu instid0(VALU_DEP_2) | instskip(NEXT) | instid1(VALU_DEP_2)
	v_cndmask_b32_e64 v86, v84, v187, s2
	v_cndmask_b32_e64 v87, v83, v187, s1
	v_cvt_f16_f32_e32 v84, v84
	v_cvt_f16_f32_e32 v83, v83
	s_delay_alu instid0(VALU_DEP_4) | instskip(NEXT) | instid1(VALU_DEP_4)
	v_cndmask_b32_e64 v86, v86, v85, s0
	v_cndmask_b32_e32 v85, v87, v85, vcc_lo
	s_delay_alu instid0(VALU_DEP_3) | instskip(SKIP_1) | instid1(VALU_DEP_4)
	v_pack_b32_f16 v126, v84, v83
	v_sub_f32_e32 v83, v236, v180
	v_cvt_f16_f32_e32 v87, v86
	s_delay_alu instid0(VALU_DEP_4) | instskip(NEXT) | instid1(VALU_DEP_3)
	v_cvt_f16_f32_e32 v127, v85
	v_mul_f32_e32 v84, 0x3fb8aa3b, v83
	v_cmp_ngt_f32_e64 s3, 0xc2ce8ed0, v83
	s_delay_alu instid0(VALU_DEP_3) | instskip(NEXT) | instid1(VALU_DEP_3)
	v_pack_b32_f16 v127, v87, v127
	v_fma_f32 v87, 0x3fb8aa3b, v83, -v84
	v_rndne_f32_e32 v128, v84
	s_delay_alu instid0(VALU_DEP_1) | instskip(NEXT) | instid1(VALU_DEP_1)
	v_dual_fmac_f32 v87, 0x32a5705f, v83 :: v_dual_sub_f32 v84, v84, v128
	v_add_f32_e32 v84, v84, v87
	v_cvt_i32_f32_e32 v87, v128
	s_delay_alu instid0(VALU_DEP_2) | instskip(SKIP_2) | instid1(VALU_DEP_1)
	v_exp_f32_e32 v84, v84
	s_waitcnt_depctr 0xfff
	v_ldexp_f32 v84, v84, v87
	v_cndmask_b32_e64 v84, 0, v84, s3
	v_cmp_nlt_f32_e64 s3, 0x42b17218, v83
	s_delay_alu instid0(VALU_DEP_1) | instskip(NEXT) | instid1(VALU_DEP_1)
	v_cndmask_b32_e64 v236, 0x7f800000, v84, s3
	v_cndmask_b32_e64 v84, v85, v236, s1
	ds_bpermute_b32 v85, v209, v236
	v_cndmask_b32_e64 v83, v86, v236, s2
	s_waitcnt lgkmcnt(0)
	s_delay_alu instid0(VALU_DEP_1) | instskip(SKIP_1) | instid1(VALU_DEP_2)
	v_cndmask_b32_e64 v83, v83, v85, s0
	v_cndmask_b32_e32 v84, v84, v85, vcc_lo
	v_cvt_f16_f32_e32 v85, v83
	s_delay_alu instid0(VALU_DEP_2) | instskip(NEXT) | instid1(VALU_DEP_1)
	v_cvt_f16_f32_e32 v86, v84
	v_pack_b32_f16 v128, v85, v86
	v_sub_f32_e32 v85, v235, v180
	s_delay_alu instid0(VALU_DEP_1) | instskip(SKIP_1) | instid1(VALU_DEP_2)
	v_mul_f32_e32 v86, 0x3fb8aa3b, v85
	v_cmp_ngt_f32_e64 s3, 0xc2ce8ed0, v85
	v_fma_f32 v87, 0x3fb8aa3b, v85, -v86
	v_rndne_f32_e32 v129, v86
	s_delay_alu instid0(VALU_DEP_2) | instskip(NEXT) | instid1(VALU_DEP_2)
	v_fmac_f32_e32 v87, 0x32a5705f, v85
	v_sub_f32_e32 v86, v86, v129
	s_delay_alu instid0(VALU_DEP_1) | instskip(SKIP_1) | instid1(VALU_DEP_2)
	v_add_f32_e32 v86, v86, v87
	v_cvt_i32_f32_e32 v87, v129
	v_exp_f32_e32 v86, v86
	s_waitcnt_depctr 0xfff
	v_ldexp_f32 v86, v86, v87
	s_delay_alu instid0(VALU_DEP_1) | instskip(SKIP_1) | instid1(VALU_DEP_1)
	v_cndmask_b32_e64 v86, 0, v86, s3
	v_cmp_nlt_f32_e64 s3, 0x42b17218, v85
	v_cndmask_b32_e64 v235, 0x7f800000, v86, s3
	ds_bpermute_b32 v85, v209, v235
	v_cndmask_b32_e64 v83, v83, v235, s2
	v_cndmask_b32_e64 v84, v84, v235, s1
	s_waitcnt lgkmcnt(0)
	s_delay_alu instid0(VALU_DEP_2) | instskip(NEXT) | instid1(VALU_DEP_2)
	v_cndmask_b32_e64 v83, v83, v85, s0
	v_cndmask_b32_e32 v84, v84, v85, vcc_lo
	s_delay_alu instid0(VALU_DEP_2) | instskip(NEXT) | instid1(VALU_DEP_2)
	v_cvt_f16_f32_e32 v85, v83
	v_cvt_f16_f32_e32 v86, v84
	s_delay_alu instid0(VALU_DEP_1) | instskip(SKIP_1) | instid1(VALU_DEP_1)
	v_pack_b32_f16 v129, v85, v86
	v_sub_f32_e32 v85, v234, v180
	v_mul_f32_e32 v86, 0x3fb8aa3b, v85
	v_cmp_ngt_f32_e64 s3, 0xc2ce8ed0, v85
	s_delay_alu instid0(VALU_DEP_2) | instskip(SKIP_1) | instid1(VALU_DEP_1)
	v_fma_f32 v87, 0x3fb8aa3b, v85, -v86
	v_rndne_f32_e32 v130, v86
	v_dual_fmac_f32 v87, 0x32a5705f, v85 :: v_dual_sub_f32 v86, v86, v130
	s_delay_alu instid0(VALU_DEP_1) | instskip(SKIP_1) | instid1(VALU_DEP_2)
	v_add_f32_e32 v86, v86, v87
	v_cvt_i32_f32_e32 v87, v130
	v_exp_f32_e32 v86, v86
	s_waitcnt_depctr 0xfff
	v_ldexp_f32 v86, v86, v87
	s_delay_alu instid0(VALU_DEP_1) | instskip(SKIP_1) | instid1(VALU_DEP_1)
	v_cndmask_b32_e64 v86, 0, v86, s3
	v_cmp_nlt_f32_e64 s3, 0x42b17218, v85
	v_cndmask_b32_e64 v234, 0x7f800000, v86, s3
	ds_bpermute_b32 v85, v209, v234
	v_cndmask_b32_e64 v83, v83, v234, s2
	v_cndmask_b32_e64 v84, v84, v234, s1
	s_waitcnt lgkmcnt(0)
	s_delay_alu instid0(VALU_DEP_2) | instskip(NEXT) | instid1(VALU_DEP_2)
	v_cndmask_b32_e64 v83, v83, v85, s0
	v_cndmask_b32_e32 v84, v84, v85, vcc_lo
	s_delay_alu instid0(VALU_DEP_2) | instskip(NEXT) | instid1(VALU_DEP_2)
	v_cvt_f16_f32_e32 v85, v83
	v_cvt_f16_f32_e32 v86, v84
	s_delay_alu instid0(VALU_DEP_1) | instskip(SKIP_1) | instid1(VALU_DEP_1)
	v_pack_b32_f16 v130, v85, v86
	v_sub_f32_e32 v85, v233, v180
	v_mul_f32_e32 v86, 0x3fb8aa3b, v85
	v_cmp_ngt_f32_e64 s3, 0xc2ce8ed0, v85
	s_delay_alu instid0(VALU_DEP_2) | instskip(SKIP_1) | instid1(VALU_DEP_1)
	v_fma_f32 v87, 0x3fb8aa3b, v85, -v86
	v_rndne_f32_e32 v131, v86
	v_dual_fmac_f32 v87, 0x32a5705f, v85 :: v_dual_sub_f32 v86, v86, v131
	;; [unrolled: 29-line block ×3, first 2 shown]
	s_delay_alu instid0(VALU_DEP_1) | instskip(SKIP_1) | instid1(VALU_DEP_2)
	v_add_f32_e32 v86, v86, v87
	v_cvt_i32_f32_e32 v87, v132
	v_exp_f32_e32 v86, v86
	s_waitcnt_depctr 0xfff
	v_ldexp_f32 v86, v86, v87
	s_delay_alu instid0(VALU_DEP_1) | instskip(SKIP_1) | instid1(VALU_DEP_1)
	v_cndmask_b32_e64 v86, 0, v86, s3
	v_cmp_nlt_f32_e64 s3, 0x42b17218, v85
	v_cndmask_b32_e64 v237, 0x7f800000, v86, s3
	ds_bpermute_b32 v85, v209, v237
	v_cndmask_b32_e64 v83, v83, v237, s2
	v_cndmask_b32_e64 v84, v84, v237, s1
	s_waitcnt lgkmcnt(0)
	s_delay_alu instid0(VALU_DEP_2) | instskip(NEXT) | instid1(VALU_DEP_2)
	v_cndmask_b32_e64 v83, v83, v85, s0
	v_cndmask_b32_e32 v84, v84, v85, vcc_lo
	s_delay_alu instid0(VALU_DEP_2) | instskip(NEXT) | instid1(VALU_DEP_2)
	v_cvt_f16_f32_e32 v85, v83
	v_cvt_f16_f32_e32 v86, v84
	s_delay_alu instid0(VALU_DEP_1) | instskip(SKIP_1) | instid1(VALU_DEP_1)
	v_pack_b32_f16 v132, v85, v86
	v_sub_f32_e32 v85, v231, v180
	v_mul_f32_e32 v86, 0x3fb8aa3b, v85
	v_cmp_ngt_f32_e64 s3, 0xc2ce8ed0, v85
	s_delay_alu instid0(VALU_DEP_2) | instskip(SKIP_1) | instid1(VALU_DEP_2)
	v_fma_f32 v87, 0x3fb8aa3b, v85, -v86
	v_rndne_f32_e32 v133, v86
	v_fmac_f32_e32 v87, 0x32a5705f, v85
	s_delay_alu instid0(VALU_DEP_2) | instskip(NEXT) | instid1(VALU_DEP_1)
	v_sub_f32_e32 v86, v86, v133
	v_add_f32_e32 v86, v86, v87
	v_cvt_i32_f32_e32 v87, v133
	s_delay_alu instid0(VALU_DEP_2) | instskip(SKIP_3) | instid1(VALU_DEP_2)
	v_exp_f32_e32 v86, v86
	s_waitcnt_depctr 0xfff
	v_ldexp_f32 v86, v86, v87
	v_add_nc_u32_e32 v87, 0x1c00, v210
	v_cndmask_b32_e64 v86, 0, v86, s3
	v_cmp_nlt_f32_e64 s3, 0x42b17218, v85
	s_delay_alu instid0(VALU_DEP_1) | instskip(SKIP_4) | instid1(VALU_DEP_2)
	v_cndmask_b32_e64 v238, 0x7f800000, v86, s3
	ds_bpermute_b32 v85, v209, v238
	v_cndmask_b32_e64 v83, v83, v238, s2
	v_cndmask_b32_e64 v84, v84, v238, s1
	s_waitcnt lgkmcnt(0)
	v_cndmask_b32_e64 v83, v83, v85, s0
	s_delay_alu instid0(VALU_DEP_2) | instskip(NEXT) | instid1(VALU_DEP_2)
	v_cndmask_b32_e32 v84, v84, v85, vcc_lo
	v_cvt_f16_f32_e32 v83, v83
	s_delay_alu instid0(VALU_DEP_2) | instskip(NEXT) | instid1(VALU_DEP_1)
	v_cvt_f16_f32_e32 v84, v84
	v_pack_b32_f16 v133, v83, v84
	ds_load_2addr_b32 v[83:84], v247 offset0:180 offset1:196
	ds_load_2addr_b32 v[85:86], v247 offset0:212 offset1:232
	;; [unrolled: 1-line block ×13, first 2 shown]
	s_waitcnt lgkmcnt(12)
	v_perm_b32 v134, v83, v253, 0x5040100
	s_waitcnt lgkmcnt(10)
	v_perm_b32 v135, v142, v86, 0x5040100
	;; [unrolled: 2-line block ×8, first 2 shown]
	s_delay_alu instid0(VALU_DEP_1)
	v_wmma_f16_16x16x16_f16 v[16:23], v[134:141], v[126:133], v[16:23]
	v_add_nc_u32_e32 v134, 0x1e00, v210
	v_add_nc_u32_e32 v135, 0x1a00, v210
	;; [unrolled: 1-line block ×3, first 2 shown]
	ds_load_2addr_b32 v[164:165], v134 offset0:124 offset1:140
	ds_load_2addr_b32 v[166:167], v242 offset0:156 offset1:172
	;; [unrolled: 1-line block ×8, first 2 shown]
	v_add_nc_u32_e32 v87, 0x300, v220
	ds_load_2addr_b32 v[231:232], v87 offset0:16 offset1:224
	s_waitcnt lgkmcnt(8)
	v_perm_b32 v137, v164, v149, 0x5040100
	s_waitcnt lgkmcnt(7)
	v_perm_b32 v141, v166, v161, 0x5040100
	;; [unrolled: 2-line block ×8, first 2 shown]
	s_delay_alu instid0(VALU_DEP_1)
	v_wmma_f16_16x16x16_f16 v[8:15], v[134:141], v[126:133], v[8:15]
	v_perm_b32 v137, v165, v150, 0x5040100
	v_perm_b32 v141, v167, v162, 0x5040100
	;; [unrolled: 1-line block ×4, first 2 shown]
	s_waitcnt lgkmcnt(0)
	v_perm_b32 v136, v195, v231, 0x5040100
	v_perm_b32 v138, v154, v232, 0x5040100
	;; [unrolled: 1-line block ×4, first 2 shown]
	s_delay_alu instid0(VALU_DEP_1)
	v_wmma_f16_16x16x16_f16 v[0:7], v[134:141], v[126:133], v[0:7]
	v_perm_b32 v134, v83, v253, 0x7060302
	v_perm_b32 v136, v147, v144, 0x7060302
	;; [unrolled: 1-line block ×8, first 2 shown]
	s_delay_alu instid0(VALU_DEP_1)
	v_wmma_f16_16x16x16_f16 v[16:23], v[134:141], v[126:133], v[16:23] op_sel:[0,0,1]
	v_perm_b32 v137, v164, v149, 0x7060302
	v_perm_b32 v141, v166, v161, 0x7060302
	;; [unrolled: 1-line block ×8, first 2 shown]
	v_add_nc_u32_e32 v166, 0x2800, v210
	s_delay_alu instid0(VALU_DEP_2)
	v_wmma_f16_16x16x16_f16 v[8:15], v[134:141], v[126:133], v[8:15] op_sel:[0,0,1]
	v_perm_b32 v140, v199, v82, 0x7060302
	v_sub_f32_e32 v82, v230, v180
	v_perm_b32 v134, v85, v173, 0x7060302
	v_perm_b32 v137, v165, v150, 0x7060302
	;; [unrolled: 1-line block ×4, first 2 shown]
	v_mul_f32_e32 v83, 0x3fb8aa3b, v82
	v_perm_b32 v136, v195, v231, 0x7060302
	v_perm_b32 v138, v154, v232, 0x7060302
	;; [unrolled: 1-line block ×3, first 2 shown]
	v_cmp_ngt_f32_e64 s3, 0xc2ce8ed0, v82
	v_fma_f32 v84, 0x3fb8aa3b, v82, -v83
	v_rndne_f32_e32 v85, v83
	v_add_nc_u32_e32 v195, 0x3000, v210
	v_wmma_f16_16x16x16_f16 v[0:7], v[134:141], v[126:133], v[0:7] op_sel:[0,0,1]
	v_add_nc_u32_e32 v136, 0x300, v213
	s_delay_alu instid0(VALU_DEP_4) | instskip(SKIP_1) | instid1(VALU_DEP_2)
	v_dual_fmac_f32 v84, 0x32a5705f, v82 :: v_dual_sub_f32 v83, v83, v85
	v_cvt_i32_f32_e32 v85, v85
	v_add_f32_e32 v83, v83, v84
	v_sub_f32_e32 v84, v229, v180
	s_delay_alu instid0(VALU_DEP_2) | instskip(NEXT) | instid1(VALU_DEP_1)
	v_exp_f32_e32 v83, v83
	v_mul_f32_e32 v86, 0x3fb8aa3b, v84
	v_cmp_ngt_f32_e64 s4, 0xc2ce8ed0, v84
	s_delay_alu instid0(VALU_DEP_2)
	v_fma_f32 v87, 0x3fb8aa3b, v84, -v86
	v_rndne_f32_e32 v126, v86
	s_waitcnt_depctr 0xfff
	v_ldexp_f32 v83, v83, v85
	v_dual_fmac_f32 v87, 0x32a5705f, v84 :: v_dual_sub_f32 v86, v86, v126
	v_cvt_i32_f32_e32 v85, v126
	s_delay_alu instid0(VALU_DEP_3) | instskip(SKIP_1) | instid1(VALU_DEP_4)
	v_cndmask_b32_e64 v83, 0, v83, s3
	v_cmp_nlt_f32_e64 s3, 0x42b17218, v82
	v_add_f32_e32 v86, v86, v87
	s_delay_alu instid0(VALU_DEP_2) | instskip(NEXT) | instid1(VALU_DEP_2)
	v_cndmask_b32_e64 v199, 0x7f800000, v83, s3
	v_exp_f32_e32 v86, v86
	s_waitcnt_depctr 0xfff
	v_ldexp_f32 v85, v86, v85
	s_delay_alu instid0(VALU_DEP_1)
	v_cndmask_b32_e64 v82, 0, v85, s4
	v_cmp_nlt_f32_e64 s4, 0x42b17218, v84
	ds_bpermute_b32 v84, v209, v199
	v_cndmask_b32_e64 v177, 0x7f800000, v82, s4
	ds_bpermute_b32 v82, v209, v177
	s_waitcnt lgkmcnt(0)
	v_cndmask_b32_e32 v83, v177, v82, vcc_lo
	v_cndmask_b32_e64 v82, v177, v82, s0
	s_delay_alu instid0(VALU_DEP_2) | instskip(NEXT) | instid1(VALU_DEP_2)
	v_cndmask_b32_e64 v86, v83, v199, s1
	v_cndmask_b32_e64 v85, v82, v199, s2
	v_cvt_f16_f32_e32 v82, v82
	v_cvt_f16_f32_e32 v83, v83
	s_delay_alu instid0(VALU_DEP_3) | instskip(SKIP_1) | instid1(VALU_DEP_3)
	v_cndmask_b32_e64 v85, v85, v84, s0
	v_cndmask_b32_e32 v84, v86, v84, vcc_lo
	v_pack_b32_f16 v126, v82, v83
	v_sub_f32_e32 v82, v228, v180
	s_delay_alu instid0(VALU_DEP_4) | instskip(NEXT) | instid1(VALU_DEP_4)
	v_cvt_f16_f32_e32 v86, v85
	v_cvt_f16_f32_e32 v87, v84
	s_delay_alu instid0(VALU_DEP_3) | instskip(SKIP_1) | instid1(VALU_DEP_3)
	v_mul_f32_e32 v83, 0x3fb8aa3b, v82
	v_cmp_ngt_f32_e64 s3, 0xc2ce8ed0, v82
	v_pack_b32_f16 v127, v86, v87
	s_delay_alu instid0(VALU_DEP_3) | instskip(SKIP_1) | instid1(VALU_DEP_1)
	v_fma_f32 v86, 0x3fb8aa3b, v82, -v83
	v_rndne_f32_e32 v87, v83
	v_dual_fmac_f32 v86, 0x32a5705f, v82 :: v_dual_sub_f32 v83, v83, v87
	s_delay_alu instid0(VALU_DEP_1) | instskip(SKIP_1) | instid1(VALU_DEP_2)
	v_add_f32_e32 v83, v83, v86
	v_cvt_i32_f32_e32 v86, v87
	v_exp_f32_e32 v83, v83
	s_waitcnt_depctr 0xfff
	v_ldexp_f32 v83, v83, v86
	s_delay_alu instid0(VALU_DEP_1) | instskip(SKIP_1) | instid1(VALU_DEP_1)
	v_cndmask_b32_e64 v83, 0, v83, s3
	v_cmp_nlt_f32_e64 s3, 0x42b17218, v82
	v_cndmask_b32_e64 v228, 0x7f800000, v83, s3
	s_delay_alu instid0(VALU_DEP_1) | instskip(SKIP_3) | instid1(VALU_DEP_1)
	v_cndmask_b32_e64 v83, v84, v228, s1
	ds_bpermute_b32 v84, v209, v228
	v_cndmask_b32_e64 v82, v85, v228, s2
	s_waitcnt lgkmcnt(0)
	v_cndmask_b32_e64 v82, v82, v84, s0
	v_cndmask_b32_e32 v83, v83, v84, vcc_lo
	s_delay_alu instid0(VALU_DEP_2) | instskip(NEXT) | instid1(VALU_DEP_2)
	v_cvt_f16_f32_e32 v84, v82
	v_cvt_f16_f32_e32 v85, v83
	s_delay_alu instid0(VALU_DEP_1) | instskip(SKIP_1) | instid1(VALU_DEP_1)
	v_pack_b32_f16 v128, v84, v85
	v_sub_f32_e32 v84, v227, v180
	v_mul_f32_e32 v85, 0x3fb8aa3b, v84
	v_cmp_ngt_f32_e64 s3, 0xc2ce8ed0, v84
	s_delay_alu instid0(VALU_DEP_2) | instskip(SKIP_1) | instid1(VALU_DEP_1)
	v_fma_f32 v86, 0x3fb8aa3b, v84, -v85
	v_rndne_f32_e32 v87, v85
	v_dual_fmac_f32 v86, 0x32a5705f, v84 :: v_dual_sub_f32 v85, v85, v87
	s_delay_alu instid0(VALU_DEP_1) | instskip(SKIP_1) | instid1(VALU_DEP_2)
	v_add_f32_e32 v85, v85, v86
	v_cvt_i32_f32_e32 v86, v87
	v_exp_f32_e32 v85, v85
	s_waitcnt_depctr 0xfff
	v_ldexp_f32 v85, v85, v86
	s_delay_alu instid0(VALU_DEP_1) | instskip(SKIP_1) | instid1(VALU_DEP_1)
	v_cndmask_b32_e64 v85, 0, v85, s3
	v_cmp_nlt_f32_e64 s3, 0x42b17218, v84
	v_cndmask_b32_e64 v227, 0x7f800000, v85, s3
	ds_bpermute_b32 v84, v209, v227
	v_cndmask_b32_e64 v82, v82, v227, s2
	v_cndmask_b32_e64 v83, v83, v227, s1
	s_waitcnt lgkmcnt(0)
	s_delay_alu instid0(VALU_DEP_2) | instskip(NEXT) | instid1(VALU_DEP_2)
	v_cndmask_b32_e64 v82, v82, v84, s0
	v_cndmask_b32_e32 v83, v83, v84, vcc_lo
	s_delay_alu instid0(VALU_DEP_2) | instskip(NEXT) | instid1(VALU_DEP_2)
	v_cvt_f16_f32_e32 v84, v82
	v_cvt_f16_f32_e32 v85, v83
	s_delay_alu instid0(VALU_DEP_1) | instskip(SKIP_1) | instid1(VALU_DEP_1)
	v_pack_b32_f16 v129, v84, v85
	v_sub_f32_e32 v84, v226, v180
	v_mul_f32_e32 v85, 0x3fb8aa3b, v84
	v_cmp_ngt_f32_e64 s3, 0xc2ce8ed0, v84
	s_delay_alu instid0(VALU_DEP_2) | instskip(SKIP_1) | instid1(VALU_DEP_1)
	v_fma_f32 v86, 0x3fb8aa3b, v84, -v85
	v_rndne_f32_e32 v87, v85
	v_dual_fmac_f32 v86, 0x32a5705f, v84 :: v_dual_sub_f32 v85, v85, v87
	s_delay_alu instid0(VALU_DEP_1) | instskip(SKIP_1) | instid1(VALU_DEP_2)
	v_add_f32_e32 v85, v85, v86
	v_cvt_i32_f32_e32 v86, v87
	v_exp_f32_e32 v85, v85
	s_waitcnt_depctr 0xfff
	v_ldexp_f32 v85, v85, v86
	s_delay_alu instid0(VALU_DEP_1) | instskip(SKIP_1) | instid1(VALU_DEP_1)
	v_cndmask_b32_e64 v85, 0, v85, s3
	v_cmp_nlt_f32_e64 s3, 0x42b17218, v84
	v_cndmask_b32_e64 v226, 0x7f800000, v85, s3
	ds_bpermute_b32 v84, v209, v226
	v_cndmask_b32_e64 v82, v82, v226, s2
	v_cndmask_b32_e64 v83, v83, v226, s1
	s_waitcnt lgkmcnt(0)
	s_delay_alu instid0(VALU_DEP_2) | instskip(NEXT) | instid1(VALU_DEP_2)
	;; [unrolled: 29-line block ×3, first 2 shown]
	v_cndmask_b32_e64 v82, v82, v84, s0
	v_cndmask_b32_e32 v83, v83, v84, vcc_lo
	s_delay_alu instid0(VALU_DEP_2) | instskip(NEXT) | instid1(VALU_DEP_2)
	v_cvt_f16_f32_e32 v84, v82
	v_cvt_f16_f32_e32 v85, v83
	s_delay_alu instid0(VALU_DEP_1) | instskip(SKIP_1) | instid1(VALU_DEP_1)
	v_pack_b32_f16 v131, v84, v85
	v_dual_sub_f32 v84, v191, v180 :: v_dual_add_nc_u32 v191, 0x2c00, v210
	v_mul_f32_e32 v85, 0x3fb8aa3b, v84
	v_cmp_ngt_f32_e64 s3, 0xc2ce8ed0, v84
	s_delay_alu instid0(VALU_DEP_2) | instskip(SKIP_1) | instid1(VALU_DEP_1)
	v_fma_f32 v86, 0x3fb8aa3b, v84, -v85
	v_rndne_f32_e32 v87, v85
	v_dual_fmac_f32 v86, 0x32a5705f, v84 :: v_dual_sub_f32 v85, v85, v87
	s_delay_alu instid0(VALU_DEP_1) | instskip(SKIP_1) | instid1(VALU_DEP_2)
	v_add_f32_e32 v85, v85, v86
	v_cvt_i32_f32_e32 v86, v87
	v_exp_f32_e32 v85, v85
	s_waitcnt_depctr 0xfff
	v_ldexp_f32 v85, v85, v86
	s_delay_alu instid0(VALU_DEP_1) | instskip(SKIP_1) | instid1(VALU_DEP_1)
	v_cndmask_b32_e64 v85, 0, v85, s3
	v_cmp_nlt_f32_e64 s3, 0x42b17218, v84
	v_cndmask_b32_e64 v229, 0x7f800000, v85, s3
	ds_bpermute_b32 v84, v209, v229
	v_cndmask_b32_e64 v82, v82, v229, s2
	v_cndmask_b32_e64 v83, v83, v229, s1
	s_waitcnt lgkmcnt(0)
	s_delay_alu instid0(VALU_DEP_2) | instskip(NEXT) | instid1(VALU_DEP_2)
	v_cndmask_b32_e64 v82, v82, v84, s0
	v_cndmask_b32_e32 v83, v83, v84, vcc_lo
	s_delay_alu instid0(VALU_DEP_2) | instskip(NEXT) | instid1(VALU_DEP_2)
	v_cvt_f16_f32_e32 v84, v82
	v_cvt_f16_f32_e32 v85, v83
	s_delay_alu instid0(VALU_DEP_1) | instskip(SKIP_1) | instid1(VALU_DEP_1)
	v_pack_b32_f16 v132, v84, v85
	v_sub_f32_e32 v84, v88, v180
	v_mul_f32_e32 v85, 0x3fb8aa3b, v84
	v_cmp_ngt_f32_e64 s3, 0xc2ce8ed0, v84
	s_delay_alu instid0(VALU_DEP_2) | instskip(SKIP_1) | instid1(VALU_DEP_1)
	v_fma_f32 v86, 0x3fb8aa3b, v84, -v85
	v_rndne_f32_e32 v87, v85
	v_dual_fmac_f32 v86, 0x32a5705f, v84 :: v_dual_sub_f32 v85, v85, v87
	s_delay_alu instid0(VALU_DEP_1) | instskip(SKIP_1) | instid1(VALU_DEP_2)
	v_add_f32_e32 v85, v85, v86
	v_cvt_i32_f32_e32 v86, v87
	v_exp_f32_e32 v85, v85
	s_waitcnt_depctr 0xfff
	v_ldexp_f32 v85, v85, v86
	s_delay_alu instid0(VALU_DEP_1) | instskip(SKIP_1) | instid1(VALU_DEP_1)
	v_cndmask_b32_e64 v85, 0, v85, s3
	v_cmp_nlt_f32_e64 s3, 0x42b17218, v84
	v_cndmask_b32_e64 v88, 0x7f800000, v85, s3
	ds_bpermute_b32 v84, v209, v88
	v_cndmask_b32_e64 v82, v82, v88, s2
	v_cndmask_b32_e64 v83, v83, v88, s1
	s_waitcnt lgkmcnt(0)
	s_delay_alu instid0(VALU_DEP_2) | instskip(NEXT) | instid1(VALU_DEP_2)
	v_cndmask_b32_e64 v82, v82, v84, s0
	v_cndmask_b32_e32 v83, v83, v84, vcc_lo
	v_cmp_lt_i32_e32 vcc_lo, s102, v175
	s_delay_alu instid0(VALU_DEP_3) | instskip(NEXT) | instid1(VALU_DEP_3)
	v_cvt_f16_f32_e32 v82, v82
	v_cvt_f16_f32_e32 v83, v83
	s_and_b32 vcc_lo, exec_lo, vcc_lo
	s_delay_alu instid0(VALU_DEP_1)
	v_pack_b32_f16 v133, v82, v83
	ds_load_2addr_b32 v[82:83], v242 offset0:192 offset1:208
	ds_load_2addr_b32 v[84:85], v242 offset0:224 offset1:244
	ds_load_2addr_b32 v[86:87], v166 offset0:40 offset1:56
	ds_load_2addr_b32 v[142:143], v166 offset0:72 offset1:92
	ds_load_2addr_b32 v[144:145], v136 offset0:16 offset1:224
	ds_load_2addr_b32 v[146:147], v166 offset0:196 offset1:212
	ds_load_2addr_b32 v[148:149], v191 offset0:76 offset1:148
	ds_load_2addr_b32 v[150:151], v191 offset0:44 offset1:60
	ds_load_2addr_b32 v[152:153], v166 offset0:228 offset1:248
	ds_load_2addr_b32 v[154:155], v191 offset0:200 offset1:216
	ds_load_2addr_b32 v[156:157], v191 offset0:232 offset1:252
	ds_load_2addr_b32 v[158:159], v195 offset0:100 offset1:116
	ds_load_2addr_b32 v[160:161], v195 offset0:132 offset1:152
	ds_load_2addr_b32 v[162:163], v195 offset0:204 offset1:220
	ds_load_2addr_b32 v[164:165], v166 offset0:4 offset1:20
	ds_load_2addr_b32 v[166:167], v166 offset0:108 offset1:124
	ds_load_2addr_b32 v[172:173], v191 offset0:8 offset1:24
	ds_load_2addr_b32 v[191:192], v191 offset0:164 offset1:180
	ds_load_2addr_b32 v[193:194], v195 offset0:12 offset1:28
	ds_load_2addr_b32 v[195:196], v195 offset0:168 offset1:184
	s_waitcnt lgkmcnt(18)
	v_perm_b32 v134, v85, v82, 0x5040100
	s_waitcnt lgkmcnt(16)
	v_perm_b32 v135, v143, v86, 0x5040100
	;; [unrolled: 2-line block ×8, first 2 shown]
	s_delay_alu instid0(VALU_DEP_1)
	v_wmma_f16_16x16x16_f16 v[16:23], v[134:141], v[126:133], v[16:23]
	v_add_nc_u32_e32 v136, 0x300, v217
	s_waitcnt lgkmcnt(5)
	v_perm_b32 v134, v164, v83, 0x5040100
	s_waitcnt lgkmcnt(4)
	v_perm_b32 v135, v166, v87, 0x5040100
	;; [unrolled: 2-line block ×4, first 2 shown]
	ds_load_2addr_b32 v[185:186], v136 offset0:16 offset1:224
	v_perm_b32 v140, v159, v178, 0x5040100
	s_waitcnt lgkmcnt(1)
	v_perm_b32 v141, v163, v195, 0x5040100
	s_waitcnt lgkmcnt(0)
	v_perm_b32 v136, v147, v185, 0x5040100
	v_perm_b32 v138, v191, v186, 0x5040100
	s_delay_alu instid0(VALU_DEP_1)
	v_wmma_f16_16x16x16_f16 v[8:15], v[134:141], v[126:133], v[8:15]
	v_add_nc_u32_e32 v136, 0x300, v221
	v_perm_b32 v134, v165, v84, 0x5040100
	v_perm_b32 v135, v167, v142, 0x5040100
	;; [unrolled: 1-line block ×4, first 2 shown]
	ds_load_2addr_b32 v[197:198], v136 offset0:16 offset1:224
	v_perm_b32 v140, v160, v80, 0x5040100
	v_perm_b32 v141, v81, v196, 0x5040100
	s_waitcnt lgkmcnt(0)
	s_barrier
	buffer_gl0_inv
	v_perm_b32 v136, v152, v197, 0x5040100
	v_perm_b32 v138, v192, v198, 0x5040100
	s_delay_alu instid0(VALU_DEP_1)
	v_wmma_f16_16x16x16_f16 v[0:7], v[134:141], v[126:133], v[0:7]
	v_perm_b32 v136, v146, v144, 0x7060302
	v_perm_b32 v138, v149, v145, 0x7060302
	;; [unrolled: 1-line block ×8, first 2 shown]
	s_delay_alu instid0(VALU_DEP_1)
	v_wmma_f16_16x16x16_f16 v[16:23], v[134:141], v[126:133], v[16:23] op_sel:[0,0,1]
	v_perm_b32 v140, v159, v178, 0x7060302
	v_perm_b32 v134, v164, v83, 0x7060302
	;; [unrolled: 1-line block ×8, first 2 shown]
	s_delay_alu instid0(VALU_DEP_1)
	v_wmma_f16_16x16x16_f16 v[8:15], v[134:141], v[126:133], v[8:15] op_sel:[0,0,1]
	v_perm_b32 v140, v160, v80, 0x7060302
	v_add_f32_e32 v80, v240, v241
	v_perm_b32 v134, v165, v84, 0x7060302
	v_perm_b32 v135, v167, v142, 0x7060302
	;; [unrolled: 1-line block ×4, first 2 shown]
	v_add_f32_e32 v80, v244, v80
	v_perm_b32 v138, v192, v198, 0x7060302
	v_perm_b32 v139, v194, v156, 0x7060302
	;; [unrolled: 1-line block ×3, first 2 shown]
	s_delay_alu instid0(VALU_DEP_4) | instskip(NEXT) | instid1(VALU_DEP_2)
	v_add_f32_e32 v80, v246, v80
	v_wmma_f16_16x16x16_f16 v[0:7], v[134:141], v[126:133], v[0:7] op_sel:[0,0,1]
	s_delay_alu instid0(VALU_DEP_2) | instskip(NEXT) | instid1(VALU_DEP_1)
	v_add_f32_e32 v80, v248, v80
	v_add_f32_e32 v80, v250, v80
	s_delay_alu instid0(VALU_DEP_1) | instskip(NEXT) | instid1(VALU_DEP_1)
	v_add_f32_e32 v80, v251, v80
	v_add_f32_e32 v80, v254, v80
	s_delay_alu instid0(VALU_DEP_1) | instskip(NEXT) | instid1(VALU_DEP_1)
	v_add_f32_e32 v72, v72, v80
	v_dual_add_f32 v72, v73, v72 :: v_dual_mov_b32 v73, v176
	s_delay_alu instid0(VALU_DEP_1) | instskip(NEXT) | instid1(VALU_DEP_1)
	v_add_f32_e32 v72, v74, v72
	v_add_f32_e32 v72, v75, v72
	s_delay_alu instid0(VALU_DEP_1) | instskip(NEXT) | instid1(VALU_DEP_1)
	v_add_f32_e32 v72, v76, v72
	v_add_f32_e32 v72, v77, v72
	;; [unrolled: 3-line block ×11, first 2 shown]
	s_delay_alu instid0(VALU_DEP_1)
	v_fmac_f32_e32 v176, v73, v171
	s_cbranch_vccnz .LBB14_581
; %bb.582:
	s_clause 0xe
	scratch_load_b32 v177, off, off offset:156
	scratch_load_b64 v[161:162], off, off offset:148
	scratch_load_b32 v179, off, off offset:160
	scratch_load_b32 v185, off, off offset:164
	;; [unrolled: 1-line block ×3, first 2 shown]
	scratch_load_b32 v171, off, off
	scratch_load_b32 v187, off, off offset:4
	scratch_load_b32 v82, off, off offset:12
	;; [unrolled: 1-line block ×9, first 2 shown]
	v_add_nc_u32_e32 v172, 16, v169
	v_add_nc_u32_e32 v173, 32, v169
	;; [unrolled: 1-line block ×3, first 2 shown]
	v_or_b32_e32 v191, 0x270, v170
	v_or_b32_e32 v192, 0x1a0, v170
	;; [unrolled: 1-line block ×3, first 2 shown]
	v_lshlrev_b32_e32 v86, 1, v174
	v_mov_b32_e32 v194, 32
	s_waitcnt vmcnt(14)
	v_add_nc_u32_e32 v154, 60, v177
	v_add_nc_u32_e32 v155, 56, v177
	;; [unrolled: 1-line block ×7, first 2 shown]
	s_waitcnt vmcnt(13)
	v_add_nc_u32_e32 v162, 28, v177
	v_add_nc_u32_e32 v163, 20, v177
	v_add_nc_u32_e32 v164, 48, v177
	v_and_b32_e32 v165, 15, v177
	v_add_nc_u32_e32 v166, 12, v177
	v_add_nc_u32_e32 v167, 32, v177
	;; [unrolled: 1-line block ×3, first 2 shown]
.LBB14_583:
	s_lshl_b32 s0, s102, 6
	v_lshlrev_b64 v[72:73], 1, v[122:123]
	s_ashr_i32 s1, s0, 31
	v_lshlrev_b64 v[74:75], 1, v[120:121]
	s_lshl_b64 s[2:3], s[0:1], 1
	v_lshlrev_b64 v[76:77], 1, v[124:125]
	s_add_u32 s2, s14, s2
	s_addc_u32 s3, s15, s3
	s_waitcnt vmcnt(0)
	v_add_co_u32 v80, s2, s2, v85
	s_delay_alu instid0(VALU_DEP_1) | instskip(SKIP_1) | instid1(VALU_DEP_2)
	v_add_co_ci_u32_e64 v81, null, s3, 0, s2
	s_mov_b32 s16, 0
	v_add_co_u32 v78, vcc_lo, v80, v72
	s_delay_alu instid0(VALU_DEP_2)
	v_add_co_ci_u32_e32 v79, vcc_lo, v81, v73, vcc_lo
	v_lshlrev_b64 v[72:73], 1, v[118:119]
	s_mov_b32 s17, s16
	s_mov_b32 s18, s16
	;; [unrolled: 1-line block ×5, first 2 shown]
	v_add_co_u32 v72, vcc_lo, v80, v72
	v_add_co_ci_u32_e32 v73, vcc_lo, v81, v73, vcc_lo
	v_add_co_u32 v74, vcc_lo, v80, v74
	v_add_co_ci_u32_e32 v75, vcc_lo, v81, v75, vcc_lo
	;; [unrolled: 2-line block ×3, first 2 shown]
	s_clause 0x3
	global_load_b32 v78, v[78:79], off
	global_load_b32 v72, v[72:73], off
	;; [unrolled: 1-line block ×4, first 2 shown]
	s_mov_b32 s22, s16
	s_mov_b32 s23, s16
	s_delay_alu instid0(SALU_CYCLE_1) | instskip(SKIP_3) | instid1(VALU_DEP_2)
	v_dual_mov_b32 v145, s23 :: v_dual_add_nc_u32 v76, 0, v85
	v_mov_b32_e32 v144, s22
	s_mul_hi_u32 s2, s12, s0
	s_mul_i32 s3, s12, s1
	v_add_nc_u32_e32 v75, v76, v181
	s_mul_i32 s4, s25, s0
	s_add_i32 s3, s2, s3
	s_mul_i32 s2, s12, s0
	s_add_i32 s3, s3, s4
	v_dual_mov_b32 v140, s18 :: v_dual_lshlrev_b32 v85, 2, v102
	s_lshl_b64 s[2:3], s[2:3], 2
	v_mov_b32_e32 v139, s17
	s_add_u32 s2, s11, s2
	s_addc_u32 s3, s13, s3
	s_mul_i32 s1, s10, s1
	v_dual_mov_b32 v142, s20 :: v_dual_mov_b32 v143, s21
	v_dual_mov_b32 v141, s19 :: v_dual_mov_b32 v138, s16
	s_waitcnt vmcnt(3)
	ds_store_b32 v75, v78 offset:13312
	v_add_nc_u32_e32 v75, v76, v82
	s_waitcnt vmcnt(2)
	ds_store_b32 v75, v72 offset:13312
	v_add_nc_u32_e32 v72, v76, v83
	;; [unrolled: 3-line block ×3, first 2 shown]
	s_waitcnt vmcnt(0)
	ds_store_b32 v72, v74 offset:13312
	v_lshlrev_b64 v[72:73], 2, v[104:105]
	v_lshlrev_b64 v[74:75], 2, v[102:103]
	s_delay_alu instid0(VALU_DEP_2) | instskip(NEXT) | instid1(VALU_DEP_3)
	v_add_co_u32 v77, vcc_lo, s2, v72
	v_add_co_ci_u32_e32 v78, vcc_lo, s3, v73, vcc_lo
	v_lshlrev_b64 v[72:73], 2, v[108:109]
	v_add3_u32 v108, 0, v190, v85
	v_add3_u32 v109, 0, v87, v85
	v_lshlrev_b32_e32 v85, 2, v106
	s_delay_alu instid0(VALU_DEP_4) | instskip(SKIP_3) | instid1(VALU_DEP_4)
	v_add_co_u32 v79, vcc_lo, s2, v72
	v_add_co_ci_u32_e32 v80, vcc_lo, s3, v73, vcc_lo
	v_add_co_u32 v72, vcc_lo, v77, v74
	v_add_co_ci_u32_e32 v73, vcc_lo, v78, v75, vcc_lo
	v_add_co_u32 v81, vcc_lo, v79, v74
	s_delay_alu instid0(VALU_DEP_4)
	v_add_co_ci_u32_e32 v82, vcc_lo, v80, v75, vcc_lo
	s_clause 0x1
	global_load_b128 v[77:80], v[72:73], off
	global_load_b128 v[81:84], v[81:82], off
	v_lshlrev_b64 v[72:73], 2, v[110:111]
	v_add3_u32 v110, 0, v188, v85
	v_add3_u32 v111, 0, v127, v85
	s_waitcnt vmcnt(1)
	ds_store_b128 v108, v[77:80]
	v_add_co_u32 v77, vcc_lo, s2, v72
	v_add_co_ci_u32_e32 v78, vcc_lo, s3, v73, vcc_lo
	v_lshlrev_b64 v[72:73], 2, v[112:113]
	s_waitcnt vmcnt(0)
	ds_store_b128 v109, v[81:84]
	v_add3_u32 v112, 0, v88, v85
	v_add3_u32 v113, 0, v126, v85
	v_add_nc_u32_e32 v85, 0, v182
	v_add_co_u32 v79, vcc_lo, s2, v72
	v_add_co_ci_u32_e32 v80, vcc_lo, s3, v73, vcc_lo
	v_lshlrev_b64 v[72:73], 2, v[106:107]
	s_delay_alu instid0(VALU_DEP_1) | instskip(NEXT) | instid1(VALU_DEP_2)
	v_add_co_u32 v77, vcc_lo, v77, v72
	v_add_co_ci_u32_e32 v78, vcc_lo, v78, v73, vcc_lo
	v_add_co_u32 v81, vcc_lo, v79, v72
	v_add_co_ci_u32_e32 v82, vcc_lo, v80, v73, vcc_lo
	s_clause 0x1
	global_load_b128 v[77:80], v[77:78], off
	global_load_b128 v[81:84], v[81:82], off
	s_waitcnt vmcnt(1)
	ds_store_b128 v110, v[77:80]
	v_lshlrev_b64 v[77:78], 2, v[114:115]
	s_waitcnt vmcnt(0)
	ds_store_b128 v112, v[81:84]
	v_add_co_u32 v79, vcc_lo, s2, v77
	v_add_co_ci_u32_e32 v80, vcc_lo, s3, v78, vcc_lo
	v_lshlrev_b64 v[77:78], 2, v[116:117]
	s_delay_alu instid0(VALU_DEP_1) | instskip(NEXT) | instid1(VALU_DEP_2)
	v_add_co_u32 v81, vcc_lo, s2, v77
	v_add_co_ci_u32_e32 v82, vcc_lo, s3, v78, vcc_lo
	v_add_co_u32 v77, vcc_lo, v79, v72
	v_add_co_ci_u32_e32 v78, vcc_lo, v80, v73, vcc_lo
	s_delay_alu instid0(VALU_DEP_4) | instskip(NEXT) | instid1(VALU_DEP_4)
	v_add_co_u32 v81, vcc_lo, v81, v72
	v_add_co_ci_u32_e32 v82, vcc_lo, v82, v73, vcc_lo
	s_clause 0x1
	global_load_b128 v[77:80], v[77:78], off
	global_load_b128 v[81:84], v[81:82], off
	v_cmp_lt_i32_e32 vcc_lo, v184, v194
	s_mul_hi_u32 s2, s10, s0
	s_mul_i32 s3, s5, s0
	s_add_i32 s1, s2, s1
	s_mul_i32 s0, s10, s0
	s_add_i32 s1, s1, s3
	v_cmp_eq_u32_e64 s2, 1, v174
	s_lshl_b64 s[0:1], s[0:1], 2
	s_delay_alu instid0(SALU_CYCLE_1)
	s_add_u32 s0, s6, s0
	s_addc_u32 s1, s7, s1
	s_waitcnt vmcnt(1)
	ds_store_b128 v113, v[77:80]
	s_waitcnt vmcnt(0)
	ds_store_b128 v111, v[81:84]
	s_waitcnt lgkmcnt(0)
	s_barrier
	buffer_gl0_inv
	ds_load_b128 v[77:80], v85
	ds_load_b128 v[81:84], v85 offset:16
	ds_load_b128 v[114:117], v85 offset:3328
	;; [unrolled: 1-line block ×7, first 2 shown]
	s_waitcnt lgkmcnt(6)
	v_wmma_f32_16x16x16_f16 v[146:153], v[77:84], v[64:71], v[138:145]
	s_waitcnt lgkmcnt(4)
	v_wmma_f32_16x16x16_f16 v[77:84], v[114:121], v[64:71], v[138:145]
	;; [unrolled: 2-line block ×4, first 2 shown]
	ds_load_b128 v[64:67], v85 offset:32
	ds_load_b128 v[68:71], v85 offset:48
	s_waitcnt lgkmcnt(0)
	v_wmma_f32_16x16x16_f16 v[146:153], v[64:71], v[56:63], v[146:153]
	ds_load_b128 v[64:67], v85 offset:3360
	ds_load_b128 v[68:71], v85 offset:3376
	s_waitcnt lgkmcnt(0)
	v_wmma_f32_16x16x16_f16 v[77:84], v[64:71], v[56:63], v[77:84]
	ds_load_b128 v[64:67], v85 offset:6688
	ds_load_b128 v[68:71], v85 offset:6704
	s_waitcnt lgkmcnt(0)
	v_wmma_f32_16x16x16_f16 v[114:121], v[64:71], v[56:63], v[114:121]
	ds_load_b128 v[64:67], v85 offset:10016
	ds_load_b128 v[68:71], v85 offset:10032
	s_waitcnt lgkmcnt(0)
	v_wmma_f32_16x16x16_f16 v[138:145], v[64:71], v[56:63], v[138:145]
	ds_load_b128 v[56:59], v85 offset:64
	ds_load_b128 v[60:63], v85 offset:80
	s_waitcnt lgkmcnt(0)
	v_wmma_f32_16x16x16_f16 v[146:153], v[56:63], v[48:55], v[146:153]
	ds_load_b128 v[56:59], v85 offset:3392
	ds_load_b128 v[60:63], v85 offset:3408
	s_waitcnt lgkmcnt(0)
	v_wmma_f32_16x16x16_f16 v[77:84], v[56:63], v[48:55], v[77:84]
	ds_load_b128 v[56:59], v85 offset:6720
	ds_load_b128 v[60:63], v85 offset:6736
	s_waitcnt lgkmcnt(0)
	v_wmma_f32_16x16x16_f16 v[114:121], v[56:63], v[48:55], v[114:121]
	ds_load_b128 v[56:59], v85 offset:10048
	ds_load_b128 v[60:63], v85 offset:10064
	s_waitcnt lgkmcnt(0)
	v_wmma_f32_16x16x16_f16 v[138:145], v[56:63], v[48:55], v[138:145]
	ds_load_b128 v[48:51], v85 offset:96
	ds_load_b128 v[52:55], v85 offset:112
	s_waitcnt lgkmcnt(0)
	v_wmma_f32_16x16x16_f16 v[146:153], v[48:55], v[24:31], v[146:153]
	ds_load_b128 v[48:51], v85 offset:3424
	ds_load_b128 v[52:55], v85 offset:3440
	s_waitcnt lgkmcnt(0)
	v_wmma_f32_16x16x16_f16 v[77:84], v[48:55], v[24:31], v[77:84]
	ds_load_b128 v[48:51], v85 offset:6752
	ds_load_b128 v[52:55], v85 offset:6768
	s_waitcnt lgkmcnt(0)
	v_wmma_f32_16x16x16_f16 v[114:121], v[48:55], v[24:31], v[114:121]
	ds_load_b128 v[48:51], v85 offset:10080
	ds_load_b128 v[52:55], v85 offset:10096
	s_waitcnt lgkmcnt(0)
	v_wmma_f32_16x16x16_f16 v[138:145], v[48:55], v[24:31], v[138:145]
	ds_load_b128 v[24:27], v85 offset:128
	ds_load_b128 v[28:31], v85 offset:144
	s_waitcnt lgkmcnt(0)
	v_wmma_f32_16x16x16_f16 v[146:153], v[24:31], v[32:39], v[146:153]
	ds_load_b128 v[24:27], v85 offset:3456
	ds_load_b128 v[28:31], v85 offset:3472
	s_waitcnt lgkmcnt(0)
	v_wmma_f32_16x16x16_f16 v[77:84], v[24:31], v[32:39], v[77:84]
	ds_load_b128 v[24:27], v85 offset:6784
	ds_load_b128 v[28:31], v85 offset:6800
	s_waitcnt lgkmcnt(0)
	v_wmma_f32_16x16x16_f16 v[114:121], v[24:31], v[32:39], v[114:121]
	ds_load_b128 v[24:27], v85 offset:10112
	ds_load_b128 v[28:31], v85 offset:10128
	s_waitcnt lgkmcnt(0)
	v_wmma_f32_16x16x16_f16 v[138:145], v[24:31], v[32:39], v[138:145]
	ds_load_b128 v[24:27], v85 offset:160
	ds_load_b128 v[28:31], v85 offset:176
	v_add3_u32 v32, 0, v189, v86
	s_waitcnt lgkmcnt(0)
	v_wmma_f32_16x16x16_f16 v[146:153], v[24:31], v[40:47], v[146:153]
	ds_load_b128 v[24:27], v85 offset:3488
	ds_load_b128 v[28:31], v85 offset:3504
	s_waitcnt lgkmcnt(0)
	v_wmma_f32_16x16x16_f16 v[77:84], v[24:31], v[40:47], v[77:84]
	ds_load_b128 v[24:27], v85 offset:6816
	ds_load_b128 v[28:31], v85 offset:6832
	s_waitcnt lgkmcnt(0)
	v_wmma_f32_16x16x16_f16 v[114:121], v[24:31], v[40:47], v[114:121]
	ds_load_b128 v[24:27], v85 offset:10144
	ds_load_b128 v[28:31], v85 offset:10160
	s_waitcnt lgkmcnt(0)
	s_barrier
	buffer_gl0_inv
	v_wmma_f32_16x16x16_f16 v[138:145], v[24:31], v[40:47], v[138:145]
	ds_load_u16 v24, v32 offset:13312
	ds_load_u16 v25, v32 offset:13316
	;; [unrolled: 1-line block ×8, first 2 shown]
	s_waitcnt lgkmcnt(7)
	v_cvt_f32_f16_e32 v24, v24
	s_waitcnt lgkmcnt(6)
	v_cvt_f32_f16_e32 v33, v25
	;; [unrolled: 2-line block ×7, first 2 shown]
	v_dual_add_f32 v25, v146, v24 :: v_dual_add_f32 v24, v147, v33
	ds_load_u16 v33, v32 offset:13344
	ds_load_u16 v34, v32 offset:13348
	;; [unrolled: 1-line block ×8, first 2 shown]
	s_waitcnt lgkmcnt(8)
	v_cvt_f32_f16_e32 v31, v31
	v_add_f32_e32 v30, v152, v30
	v_dual_add_f32 v26, v148, v26 :: v_dual_add_f32 v27, v149, v27
	v_add_f32_e32 v28, v150, v28
	s_waitcnt lgkmcnt(7)
	v_cvt_f32_f16_e32 v33, v33
	s_waitcnt lgkmcnt(6)
	v_cvt_f32_f16_e32 v34, v34
	s_waitcnt lgkmcnt(5)
	v_cvt_f32_f16_e32 v35, v35
	s_waitcnt lgkmcnt(4)
	v_cvt_f32_f16_e32 v36, v36
	s_waitcnt lgkmcnt(3)
	v_cvt_f32_f16_e32 v37, v37
	s_waitcnt lgkmcnt(2)
	v_cvt_f32_f16_e32 v38, v38
	s_waitcnt lgkmcnt(1)
	v_cvt_f32_f16_e32 v39, v39
	s_waitcnt lgkmcnt(0)
	v_cvt_f32_f16_e32 v40, v40
	v_dual_add_f32 v29, v151, v29 :: v_dual_add_f32 v106, v78, v34
	v_dual_add_f32 v31, v153, v31 :: v_dual_add_f32 v88, v82, v38
	;; [unrolled: 1-line block ×5, first 2 shown]
	ds_load_u16 v33, v32 offset:13376
	ds_load_u16 v34, v32 offset:13380
	;; [unrolled: 1-line block ×8, first 2 shown]
	s_waitcnt lgkmcnt(7)
	v_cvt_f32_f16_e32 v33, v33
	s_waitcnt lgkmcnt(6)
	v_cvt_f32_f16_e32 v34, v34
	;; [unrolled: 2-line block ×8, first 2 shown]
	v_dual_add_f32 v84, v114, v33 :: v_dual_add_f32 v85, v115, v34
	v_dual_add_f32 v83, v116, v35 :: v_dual_add_f32 v82, v117, v36
	v_dual_add_f32 v81, v118, v37 :: v_dual_add_f32 v80, v119, v38
	s_delay_alu instid0(VALU_DEP_4)
	v_dual_add_f32 v79, v120, v39 :: v_dual_add_f32 v78, v121, v40
	ds_load_u16 v33, v32 offset:13408
	ds_load_u16 v34, v32 offset:13412
	;; [unrolled: 1-line block ×8, first 2 shown]
	s_waitcnt lgkmcnt(7)
	v_cvt_f32_f16_e32 v33, v33
	s_waitcnt lgkmcnt(6)
	v_cvt_f32_f16_e32 v34, v34
	;; [unrolled: 2-line block ×6, first 2 shown]
	v_dual_add_f32 v71, v138, v33 :: v_dual_add_f32 v70, v140, v35
	s_waitcnt lgkmcnt(0)
	v_cvt_f32_f16_e32 v32, v32
	v_add_f32_e32 v33, 0x40051340, v24
	v_add_f32_e32 v67, v143, v38
	v_dual_add_f32 v77, v139, v34 :: v_dual_add_f32 v68, v142, v37
	s_delay_alu instid0(VALU_DEP_4) | instskip(SKIP_3) | instid1(VALU_DEP_3)
	v_dual_add_f32 v65, v145, v32 :: v_dual_add_f32 v34, 0x40051340, v27
	v_add_f32_e32 v32, 0x40051340, v25
	v_cvt_f32_f16_e32 v39, v39
	v_add_f32_e32 v69, v141, v36
	v_max3_f32 v32, v180, v32, v33
	s_delay_alu instid0(VALU_DEP_3) | instskip(NEXT) | instid1(VALU_DEP_1)
	v_dual_add_f32 v66, v144, v39 :: v_dual_add_f32 v33, 0x40051340, v26
	v_max3_f32 v32, v32, v33, v34
	v_dual_add_f32 v33, 0x40051340, v28 :: v_dual_add_f32 v34, 0x40051340, v29
	s_delay_alu instid0(VALU_DEP_1) | instskip(SKIP_1) | instid1(VALU_DEP_1)
	v_max3_f32 v32, v32, v33, v34
	v_dual_add_f32 v33, 0x40051340, v30 :: v_dual_add_f32 v34, 0x40051340, v31
	v_max3_f32 v32, v32, v33, v34
	v_dual_add_f32 v33, 0x40051340, v105 :: v_dual_add_f32 v34, 0x40051340, v106
	s_delay_alu instid0(VALU_DEP_1) | instskip(SKIP_1) | instid1(VALU_DEP_1)
	v_max3_f32 v32, v32, v33, v34
	;; [unrolled: 5-line block ×7, first 2 shown]
	v_dual_add_f32 v33, 0x40051340, v66 :: v_dual_add_f32 v34, 0x40051340, v65
	v_max3_f32 v32, v32, v33, v34
	v_cndmask_b32_e32 v33, v183, v184, vcc_lo
	s_delay_alu instid0(VALU_DEP_1) | instskip(SKIP_3) | instid1(VALU_DEP_1)
	v_lshlrev_b32_e32 v64, 2, v33
	ds_bpermute_b32 v33, v64, v32
	s_waitcnt lgkmcnt(0)
	v_max_f32_e32 v33, v33, v33
	v_max_f32_e32 v40, v32, v33
	s_delay_alu instid0(VALU_DEP_1) | instskip(NEXT) | instid1(VALU_DEP_1)
	v_sub_f32_e32 v32, v180, v40
	v_mul_f32_e32 v33, 0x3fb8aa3b, v32
	v_cmp_ngt_f32_e32 vcc_lo, 0xc2ce8ed0, v32
	s_delay_alu instid0(VALU_DEP_2) | instskip(SKIP_1) | instid1(VALU_DEP_1)
	v_fma_f32 v34, 0x3fb8aa3b, v32, -v33
	v_rndne_f32_e32 v35, v33
	v_dual_fmac_f32 v34, 0x32a5705f, v32 :: v_dual_sub_f32 v33, v33, v35
	v_sub_f32_e32 v24, v24, v40
	v_sub_f32_e32 v25, v25, v40
	;; [unrolled: 1-line block ×4, first 2 shown]
	v_add_f32_e32 v33, v33, v34
	v_cvt_i32_f32_e32 v34, v35
	v_sub_f32_e32 v28, v28, v40
	v_cmp_ngt_f32_e64 s3, 0xc2ce8ed0, v26
	v_sub_f32_e32 v30, v30, v40
	v_exp_f32_e32 v33, v33
	s_waitcnt_depctr 0xfff
	v_ldexp_f32 v33, v33, v34
	s_delay_alu instid0(VALU_DEP_1) | instskip(SKIP_1) | instid1(VALU_DEP_2)
	v_cndmask_b32_e32 v33, 0, v33, vcc_lo
	v_cmp_nlt_f32_e32 vcc_lo, 0x42b17218, v32
	v_cndmask_b32_e32 v33, 0x7f800000, v33, vcc_lo
	v_cmp_le_f32_e32 vcc_lo, 0xc1a00000, v32
	s_delay_alu instid0(VALU_DEP_2) | instskip(NEXT) | instid1(VALU_DEP_1)
	v_cndmask_b32_e32 v107, 0, v33, vcc_lo
	v_cvt_f16_f32_e32 v32, v107
	s_delay_alu instid0(VALU_DEP_1)
	v_pk_mul_f16 v16, v32, v16 op_sel_hi:[0,1]
	v_pk_mul_f16 v17, v32, v17 op_sel_hi:[0,1]
	v_pk_mul_f16 v18, v32, v18 op_sel_hi:[0,1]
	v_pk_mul_f16 v19, v32, v19 op_sel_hi:[0,1]
	v_pk_mul_f16 v20, v32, v20 op_sel_hi:[0,1]
	v_pk_mul_f16 v21, v32, v21 op_sel_hi:[0,1]
	v_pk_mul_f16 v22, v32, v22 op_sel_hi:[0,1]
	v_pk_mul_f16 v23, v32, v23 op_sel_hi:[0,1]
	v_pk_mul_f16 v8, v32, v8 op_sel_hi:[0,1]
	v_pk_mul_f16 v9, v32, v9 op_sel_hi:[0,1]
	v_pk_mul_f16 v10, v32, v10 op_sel_hi:[0,1]
	v_pk_mul_f16 v11, v32, v11 op_sel_hi:[0,1]
	v_pk_mul_f16 v12, v32, v12 op_sel_hi:[0,1]
	v_pk_mul_f16 v13, v32, v13 op_sel_hi:[0,1]
	v_pk_mul_f16 v14, v32, v14 op_sel_hi:[0,1]
	v_pk_mul_f16 v15, v32, v15 op_sel_hi:[0,1]
	v_pk_mul_f16 v0, v32, v0 op_sel_hi:[0,1]
	v_pk_mul_f16 v1, v32, v1 op_sel_hi:[0,1]
	v_pk_mul_f16 v2, v32, v2 op_sel_hi:[0,1]
	v_pk_mul_f16 v3, v32, v3 op_sel_hi:[0,1]
	v_pk_mul_f16 v4, v32, v4 op_sel_hi:[0,1]
	v_pk_mul_f16 v5, v32, v5 op_sel_hi:[0,1]
	v_pk_mul_f16 v6, v32, v6 op_sel_hi:[0,1]
	v_pk_mul_f16 v7, v32, v7 op_sel_hi:[0,1]
	v_lshlrev_b64 v[32:33], 2, v[100:101]
	s_delay_alu instid0(VALU_DEP_1) | instskip(NEXT) | instid1(VALU_DEP_2)
	v_add_co_u32 v34, vcc_lo, s0, v32
	v_add_co_ci_u32_e32 v35, vcc_lo, s1, v33, vcc_lo
	v_lshlrev_b64 v[32:33], 2, v[98:99]
	s_delay_alu instid0(VALU_DEP_1) | instskip(NEXT) | instid1(VALU_DEP_2)
	v_add_co_u32 v36, vcc_lo, s0, v32
	v_add_co_ci_u32_e32 v37, vcc_lo, s1, v33, vcc_lo
	v_add_co_u32 v32, vcc_lo, v34, v74
	v_add_co_ci_u32_e32 v33, vcc_lo, v35, v75, vcc_lo
	s_delay_alu instid0(VALU_DEP_4) | instskip(NEXT) | instid1(VALU_DEP_4)
	v_add_co_u32 v36, vcc_lo, v36, v74
	v_add_co_ci_u32_e32 v37, vcc_lo, v37, v75, vcc_lo
	s_clause 0x1
	global_load_b128 v[32:35], v[32:33], off
	global_load_b128 v[36:39], v[36:37], off
	s_waitcnt vmcnt(1)
	ds_store_b128 v108, v[32:35]
	s_waitcnt vmcnt(0)
	ds_store_b128 v109, v[36:39]
	v_lshlrev_b64 v[32:33], 2, v[90:91]
	s_delay_alu instid0(VALU_DEP_1) | instskip(NEXT) | instid1(VALU_DEP_2)
	v_add_co_u32 v34, vcc_lo, s0, v32
	v_add_co_ci_u32_e32 v35, vcc_lo, s1, v33, vcc_lo
	v_lshlrev_b64 v[32:33], 2, v[92:93]
	s_delay_alu instid0(VALU_DEP_1) | instskip(NEXT) | instid1(VALU_DEP_2)
	v_add_co_u32 v36, vcc_lo, s0, v32
	v_add_co_ci_u32_e32 v37, vcc_lo, s1, v33, vcc_lo
	v_add_co_u32 v32, vcc_lo, v34, v72
	v_add_co_ci_u32_e32 v33, vcc_lo, v35, v73, vcc_lo
	s_delay_alu instid0(VALU_DEP_4) | instskip(NEXT) | instid1(VALU_DEP_4)
	v_add_co_u32 v36, vcc_lo, v36, v72
	v_add_co_ci_u32_e32 v37, vcc_lo, v37, v73, vcc_lo
	s_clause 0x1
	global_load_b128 v[32:35], v[32:33], off
	global_load_b128 v[36:39], v[36:37], off
	s_waitcnt vmcnt(1)
	ds_store_b128 v110, v[32:35]
	s_waitcnt vmcnt(0)
	ds_store_b128 v112, v[36:39]
	v_lshlrev_b64 v[32:33], 2, v[94:95]
	v_lshl_add_u32 v94, v193, 2, 0
	v_lshl_add_u32 v95, v192, 2, 0
	s_delay_alu instid0(VALU_DEP_3) | instskip(NEXT) | instid1(VALU_DEP_4)
	v_add_co_u32 v34, vcc_lo, s0, v32
	v_add_co_ci_u32_e32 v35, vcc_lo, s1, v33, vcc_lo
	v_lshlrev_b64 v[32:33], 2, v[96:97]
	v_lshl_add_u32 v96, v191, 2, 0
	s_delay_alu instid0(VALU_DEP_2) | instskip(NEXT) | instid1(VALU_DEP_3)
	v_add_co_u32 v36, vcc_lo, s0, v32
	v_add_co_ci_u32_e32 v37, vcc_lo, s1, v33, vcc_lo
	v_add_co_u32 v32, vcc_lo, v34, v72
	v_add_co_ci_u32_e32 v33, vcc_lo, v35, v73, vcc_lo
	s_delay_alu instid0(VALU_DEP_4) | instskip(NEXT) | instid1(VALU_DEP_4)
	v_add_co_u32 v36, vcc_lo, v36, v72
	v_add_co_ci_u32_e32 v37, vcc_lo, v37, v73, vcc_lo
	s_clause 0x1
	global_load_b128 v[32:35], v[32:33], off
	global_load_b128 v[36:39], v[36:37], off
	s_waitcnt vmcnt(1)
	ds_store_b128 v113, v[32:35]
	s_waitcnt vmcnt(0)
	ds_store_b128 v111, v[36:39]
	v_mul_f32_e32 v32, 0x3fb8aa3b, v25
	v_cmp_ngt_f32_e64 s1, 0xc2ce8ed0, v24
	v_cmp_eq_u32_e64 s0, 0, v89
	v_lshl_add_u32 v72, v170, 2, 0
	s_waitcnt lgkmcnt(0)
	v_fma_f32 v33, 0x3fb8aa3b, v25, -v32
	v_rndne_f32_e32 v34, v32
	s_barrier
	v_add_nc_u32_e32 v97, 0xc00, v72
	buffer_gl0_inv
	v_dual_fmac_f32 v33, 0x32a5705f, v25 :: v_dual_sub_f32 v32, v32, v34
	ds_load_2addr_b32 v[98:99], v72 offset1:16
	ds_load_2addr_b32 v[41:42], v72 offset0:32 offset1:52
	ds_load_2addr_b32 v[100:101], v72 offset0:104 offset1:120
	;; [unrolled: 1-line block ×3, first 2 shown]
	v_add_nc_u32_e32 v58, 0x400, v72
	ds_load_2addr_b32 v[108:109], v94 offset1:16
	ds_load_2addr_b32 v[110:111], v58 offset0:4 offset1:20
	v_add_f32_e32 v32, v32, v33
	v_cvt_i32_f32_e32 v33, v34
	v_cmp_ngt_f32_e32 vcc_lo, 0xc2ce8ed0, v25
	ds_load_2addr_b32 v[45:46], v58 offset0:36 offset1:56
	ds_load_2addr_b32 v[112:113], v58 offset0:108 offset1:124
	ds_load_2addr_b32 v[114:115], v95 offset1:16
	ds_load_2addr_b32 v[47:48], v58 offset0:140 offset1:212
	v_exp_f32_e32 v32, v32
	v_add_nc_u32_e32 v62, 0x800, v72
	ds_load_2addr_b32 v[116:117], v62 offset0:8 offset1:24
	ds_load_2addr_b32 v[49:50], v62 offset0:40 offset1:60
	ds_load_2addr_b32 v[118:119], v96 offset1:16
	ds_load_2addr_b32 v[120:121], v62 offset0:164 offset1:180
	ds_load_2addr_b32 v[51:52], v62 offset0:196 offset1:216
	;; [unrolled: 1-line block ×3, first 2 shown]
	v_ldexp_f32 v32, v32, v33
	s_delay_alu instid0(VALU_DEP_1) | instskip(SKIP_1) | instid1(VALU_DEP_2)
	v_cndmask_b32_e32 v32, 0, v32, vcc_lo
	v_cmp_nlt_f32_e32 vcc_lo, 0x42b17218, v25
	v_cndmask_b32_e32 v73, 0x7f800000, v32, vcc_lo
	v_mul_f32_e32 v32, 0x3fb8aa3b, v24
	v_cmp_eq_u32_e32 vcc_lo, 1, v89
	v_sub_f32_e32 v29, v29, v40
	v_sub_f32_e32 v31, v31, v40
	s_waitcnt lgkmcnt(4)
	v_perm_b32 v37, v50, v116, 0x5040100
	v_fma_f32 v33, 0x3fb8aa3b, v24, -v32
	v_rndne_f32_e32 v34, v32
	s_waitcnt lgkmcnt(2)
	v_perm_b32 v38, v120, v118, 0x5040100
	s_waitcnt lgkmcnt(0)
	v_perm_b32 v39, v122, v52, 0x5040100
	v_dual_fmac_f32 v33, 0x32a5705f, v24 :: v_dual_sub_f32 v32, v32, v34
	s_delay_alu instid0(VALU_DEP_1)
	v_add_f32_e32 v32, v32, v33
	v_cvt_i32_f32_e32 v33, v34
	ds_bpermute_b32 v25, v64, v73
	v_exp_f32_e32 v32, v32
	s_waitcnt_depctr 0xfff
	v_ldexp_f32 v32, v32, v33
	s_delay_alu instid0(VALU_DEP_1) | instskip(SKIP_4) | instid1(VALU_DEP_3)
	v_cndmask_b32_e64 v32, 0, v32, s1
	v_cmp_nlt_f32_e64 s1, 0x42b17218, v24
	s_waitcnt lgkmcnt(0)
	v_cndmask_b32_e64 v24, v73, v25, s0
	v_cndmask_b32_e32 v25, v73, v25, vcc_lo
	v_cndmask_b32_e64 v74, 0x7f800000, v32, s1
	v_cmp_eq_u32_e64 s1, 0, v174
	ds_bpermute_b32 v32, v64, v74
	v_cndmask_b32_e64 v33, v24, v74, s1
	v_cndmask_b32_e64 v34, v25, v74, s2
	v_cvt_f16_f32_e32 v24, v24
	v_cvt_f16_f32_e32 v25, v25
	s_delay_alu instid0(VALU_DEP_1) | instskip(SKIP_3) | instid1(VALU_DEP_2)
	v_pack_b32_f16 v24, v24, v25
	s_waitcnt lgkmcnt(0)
	v_cndmask_b32_e64 v33, v33, v32, s0
	v_cndmask_b32_e32 v32, v34, v32, vcc_lo
	v_cvt_f16_f32_e32 v34, v33
	s_delay_alu instid0(VALU_DEP_2) | instskip(NEXT) | instid1(VALU_DEP_1)
	v_cvt_f16_f32_e32 v35, v32
	v_pack_b32_f16 v25, v34, v35
	v_mul_f32_e32 v34, 0x3fb8aa3b, v26
	s_delay_alu instid0(VALU_DEP_1) | instskip(SKIP_1) | instid1(VALU_DEP_1)
	v_fma_f32 v35, 0x3fb8aa3b, v26, -v34
	v_rndne_f32_e32 v36, v34
	v_dual_fmac_f32 v35, 0x32a5705f, v26 :: v_dual_sub_f32 v34, v34, v36
	s_delay_alu instid0(VALU_DEP_1) | instskip(SKIP_1) | instid1(VALU_DEP_2)
	v_add_f32_e32 v34, v34, v35
	v_cvt_i32_f32_e32 v35, v36
	v_exp_f32_e32 v34, v34
	s_waitcnt_depctr 0xfff
	v_ldexp_f32 v34, v34, v35
	s_delay_alu instid0(VALU_DEP_1) | instskip(SKIP_1) | instid1(VALU_DEP_1)
	v_cndmask_b32_e64 v34, 0, v34, s3
	v_cmp_nlt_f32_e64 s3, 0x42b17218, v26
	v_cndmask_b32_e64 v75, 0x7f800000, v34, s3
	v_cmp_ngt_f32_e64 s3, 0xc2ce8ed0, v27
	s_delay_alu instid0(VALU_DEP_2) | instskip(SKIP_4) | instid1(VALU_DEP_2)
	v_cndmask_b32_e64 v26, v33, v75, s1
	ds_bpermute_b32 v33, v64, v75
	v_cndmask_b32_e64 v32, v32, v75, s2
	s_waitcnt lgkmcnt(0)
	v_cndmask_b32_e64 v34, v26, v33, s0
	v_cndmask_b32_e32 v32, v32, v33, vcc_lo
	s_delay_alu instid0(VALU_DEP_2) | instskip(NEXT) | instid1(VALU_DEP_2)
	v_cvt_f16_f32_e32 v26, v34
	v_cvt_f16_f32_e32 v33, v32
	s_delay_alu instid0(VALU_DEP_1) | instskip(SKIP_1) | instid1(VALU_DEP_1)
	v_pack_b32_f16 v26, v26, v33
	v_mul_f32_e32 v33, 0x3fb8aa3b, v27
	v_fma_f32 v35, 0x3fb8aa3b, v27, -v33
	v_rndne_f32_e32 v36, v33
	s_delay_alu instid0(VALU_DEP_2) | instskip(NEXT) | instid1(VALU_DEP_2)
	v_fmac_f32_e32 v35, 0x32a5705f, v27
	v_sub_f32_e32 v33, v33, v36
	s_delay_alu instid0(VALU_DEP_1) | instskip(SKIP_1) | instid1(VALU_DEP_2)
	v_add_f32_e32 v33, v33, v35
	v_cvt_i32_f32_e32 v35, v36
	v_exp_f32_e32 v33, v33
	s_waitcnt_depctr 0xfff
	v_ldexp_f32 v33, v33, v35
	s_delay_alu instid0(VALU_DEP_1) | instskip(SKIP_1) | instid1(VALU_DEP_1)
	v_cndmask_b32_e64 v33, 0, v33, s3
	v_cmp_nlt_f32_e64 s3, 0x42b17218, v27
	v_cndmask_b32_e64 v89, 0x7f800000, v33, s3
	v_cmp_ngt_f32_e64 s3, 0xc2ce8ed0, v28
	ds_bpermute_b32 v33, v64, v89
	v_cndmask_b32_e64 v27, v34, v89, s1
	v_cndmask_b32_e64 v32, v32, v89, s2
	s_waitcnt lgkmcnt(0)
	s_delay_alu instid0(VALU_DEP_2) | instskip(NEXT) | instid1(VALU_DEP_2)
	v_cndmask_b32_e64 v34, v27, v33, s0
	v_cndmask_b32_e32 v32, v32, v33, vcc_lo
	s_delay_alu instid0(VALU_DEP_2) | instskip(NEXT) | instid1(VALU_DEP_2)
	v_cvt_f16_f32_e32 v27, v34
	v_cvt_f16_f32_e32 v33, v32
	s_delay_alu instid0(VALU_DEP_1) | instskip(SKIP_1) | instid1(VALU_DEP_1)
	v_pack_b32_f16 v27, v27, v33
	v_mul_f32_e32 v33, 0x3fb8aa3b, v28
	v_fma_f32 v35, 0x3fb8aa3b, v28, -v33
	v_rndne_f32_e32 v36, v33
	s_delay_alu instid0(VALU_DEP_2) | instskip(NEXT) | instid1(VALU_DEP_2)
	v_fmac_f32_e32 v35, 0x32a5705f, v28
	v_sub_f32_e32 v33, v33, v36
	s_delay_alu instid0(VALU_DEP_1) | instskip(SKIP_1) | instid1(VALU_DEP_2)
	v_add_f32_e32 v33, v33, v35
	v_cvt_i32_f32_e32 v35, v36
	v_exp_f32_e32 v33, v33
	s_waitcnt_depctr 0xfff
	v_ldexp_f32 v33, v33, v35
	s_delay_alu instid0(VALU_DEP_1) | instskip(SKIP_1) | instid1(VALU_DEP_1)
	v_cndmask_b32_e64 v33, 0, v33, s3
	v_cmp_nlt_f32_e64 s3, 0x42b17218, v28
	v_cndmask_b32_e64 v90, 0x7f800000, v33, s3
	v_cmp_ngt_f32_e64 s3, 0xc2ce8ed0, v29
	ds_bpermute_b32 v33, v64, v90
	v_cndmask_b32_e64 v28, v34, v90, s1
	v_cndmask_b32_e64 v32, v32, v90, s2
	s_waitcnt lgkmcnt(0)
	s_delay_alu instid0(VALU_DEP_2) | instskip(NEXT) | instid1(VALU_DEP_2)
	v_cndmask_b32_e64 v34, v28, v33, s0
	v_cndmask_b32_e32 v32, v32, v33, vcc_lo
	s_delay_alu instid0(VALU_DEP_2) | instskip(NEXT) | instid1(VALU_DEP_2)
	v_cvt_f16_f32_e32 v28, v34
	v_cvt_f16_f32_e32 v33, v32
	s_delay_alu instid0(VALU_DEP_1) | instskip(SKIP_1) | instid1(VALU_DEP_1)
	v_pack_b32_f16 v28, v28, v33
	v_mul_f32_e32 v33, 0x3fb8aa3b, v29
	v_fma_f32 v35, 0x3fb8aa3b, v29, -v33
	v_rndne_f32_e32 v36, v33
	s_delay_alu instid0(VALU_DEP_2) | instskip(NEXT) | instid1(VALU_DEP_2)
	v_fmac_f32_e32 v35, 0x32a5705f, v29
	v_sub_f32_e32 v33, v33, v36
	s_delay_alu instid0(VALU_DEP_1) | instskip(SKIP_1) | instid1(VALU_DEP_2)
	v_add_f32_e32 v33, v33, v35
	v_cvt_i32_f32_e32 v35, v36
	v_exp_f32_e32 v33, v33
	s_waitcnt_depctr 0xfff
	v_ldexp_f32 v33, v33, v35
	s_delay_alu instid0(VALU_DEP_1) | instskip(SKIP_1) | instid1(VALU_DEP_1)
	v_cndmask_b32_e64 v33, 0, v33, s3
	v_cmp_nlt_f32_e64 s3, 0x42b17218, v29
	v_cndmask_b32_e64 v91, 0x7f800000, v33, s3
	v_cmp_ngt_f32_e64 s3, 0xc2ce8ed0, v30
	ds_bpermute_b32 v33, v64, v91
	v_cndmask_b32_e64 v29, v34, v91, s1
	v_cndmask_b32_e64 v32, v32, v91, s2
	s_waitcnt lgkmcnt(0)
	s_delay_alu instid0(VALU_DEP_2) | instskip(NEXT) | instid1(VALU_DEP_2)
	v_cndmask_b32_e64 v34, v29, v33, s0
	v_cndmask_b32_e32 v32, v32, v33, vcc_lo
	s_delay_alu instid0(VALU_DEP_2) | instskip(NEXT) | instid1(VALU_DEP_2)
	v_cvt_f16_f32_e32 v29, v34
	v_cvt_f16_f32_e32 v33, v32
	s_delay_alu instid0(VALU_DEP_1) | instskip(SKIP_1) | instid1(VALU_DEP_1)
	v_pack_b32_f16 v29, v29, v33
	v_mul_f32_e32 v33, 0x3fb8aa3b, v30
	v_fma_f32 v35, 0x3fb8aa3b, v30, -v33
	v_rndne_f32_e32 v36, v33
	s_delay_alu instid0(VALU_DEP_2) | instskip(NEXT) | instid1(VALU_DEP_2)
	v_fmac_f32_e32 v35, 0x32a5705f, v30
	v_sub_f32_e32 v33, v33, v36
	s_delay_alu instid0(VALU_DEP_1) | instskip(SKIP_1) | instid1(VALU_DEP_2)
	v_add_f32_e32 v33, v33, v35
	v_cvt_i32_f32_e32 v35, v36
	v_exp_f32_e32 v33, v33
	s_waitcnt_depctr 0xfff
	v_ldexp_f32 v33, v33, v35
	s_delay_alu instid0(VALU_DEP_1) | instskip(SKIP_1) | instid1(VALU_DEP_1)
	v_cndmask_b32_e64 v33, 0, v33, s3
	v_cmp_nlt_f32_e64 s3, 0x42b17218, v30
	v_cndmask_b32_e64 v92, 0x7f800000, v33, s3
	v_cmp_ngt_f32_e64 s3, 0xc2ce8ed0, v31
	ds_bpermute_b32 v33, v64, v92
	v_cndmask_b32_e64 v30, v34, v92, s1
	v_cndmask_b32_e64 v32, v32, v92, s2
	s_waitcnt lgkmcnt(0)
	s_delay_alu instid0(VALU_DEP_2) | instskip(NEXT) | instid1(VALU_DEP_2)
	v_cndmask_b32_e64 v34, v30, v33, s0
	v_cndmask_b32_e32 v32, v32, v33, vcc_lo
	s_delay_alu instid0(VALU_DEP_2) | instskip(NEXT) | instid1(VALU_DEP_2)
	v_cvt_f16_f32_e32 v30, v34
	v_cvt_f16_f32_e32 v33, v32
	s_delay_alu instid0(VALU_DEP_1) | instskip(SKIP_1) | instid1(VALU_DEP_1)
	v_pack_b32_f16 v30, v30, v33
	v_mul_f32_e32 v33, 0x3fb8aa3b, v31
	v_fma_f32 v35, 0x3fb8aa3b, v31, -v33
	v_rndne_f32_e32 v36, v33
	s_delay_alu instid0(VALU_DEP_2) | instskip(NEXT) | instid1(VALU_DEP_2)
	v_fmac_f32_e32 v35, 0x32a5705f, v31
	v_sub_f32_e32 v33, v33, v36
	s_delay_alu instid0(VALU_DEP_1) | instskip(SKIP_2) | instid1(VALU_DEP_3)
	v_add_f32_e32 v33, v33, v35
	v_cvt_i32_f32_e32 v35, v36
	v_perm_b32 v36, v48, v114, 0x5040100
	v_exp_f32_e32 v33, v33
	s_waitcnt_depctr 0xfff
	v_ldexp_f32 v33, v33, v35
	v_perm_b32 v35, v112, v46, 0x5040100
	s_delay_alu instid0(VALU_DEP_2) | instskip(SKIP_1) | instid1(VALU_DEP_1)
	v_cndmask_b32_e64 v33, 0, v33, s3
	v_cmp_nlt_f32_e64 s3, 0x42b17218, v31
	v_cndmask_b32_e64 v93, 0x7f800000, v33, s3
	ds_bpermute_b32 v33, v64, v93
	v_cndmask_b32_e64 v31, v34, v93, s1
	v_cndmask_b32_e64 v32, v32, v93, s2
	v_perm_b32 v34, v110, v108, 0x5040100
	s_waitcnt lgkmcnt(0)
	s_delay_alu instid0(VALU_DEP_3) | instskip(NEXT) | instid1(VALU_DEP_3)
	v_cndmask_b32_e64 v31, v31, v33, s0
	v_cndmask_b32_e32 v32, v32, v33, vcc_lo
	v_perm_b32 v33, v44, v100, 0x5040100
	s_delay_alu instid0(VALU_DEP_3) | instskip(NEXT) | instid1(VALU_DEP_3)
	v_cvt_f16_f32_e32 v31, v31
	v_cvt_f16_f32_e32 v32, v32
	s_delay_alu instid0(VALU_DEP_1) | instskip(SKIP_1) | instid1(VALU_DEP_1)
	v_pack_b32_f16 v31, v31, v32
	v_perm_b32 v32, v42, v98, 0x5040100
	v_wmma_f16_16x16x16_f16 v[16:23], v[32:39], v[24:31], v[16:23]
	v_perm_b32 v39, v122, v52, 0x7060302
	ds_load_2addr_b32 v[52:53], v72 offset0:68 offset1:84
	ds_load_2addr_b32 v[54:55], v72 offset0:172 offset1:188
	;; [unrolled: 1-line block ×6, first 2 shown]
	v_perm_b32 v32, v42, v98, 0x7060302
	v_perm_b32 v33, v44, v100, 0x7060302
	;; [unrolled: 1-line block ×7, first 2 shown]
	s_delay_alu instid0(VALU_DEP_1)
	v_wmma_f16_16x16x16_f16 v[16:23], v[32:39], v[24:31], v[16:23] op_sel:[0,0,1]
	v_perm_b32 v34, v111, v109, 0x5040100
	v_perm_b32 v38, v121, v119, 0x5040100
	s_waitcnt lgkmcnt(5)
	v_perm_b32 v32, v52, v99, 0x5040100
	s_waitcnt lgkmcnt(4)
	;; [unrolled: 2-line block ×6, first 2 shown]
	v_perm_b32 v39, v123, v62, 0x5040100
	s_delay_alu instid0(VALU_DEP_1)
	v_wmma_f16_16x16x16_f16 v[8:15], v[32:39], v[24:31], v[8:15]
	v_perm_b32 v34, v111, v109, 0x7060302
	v_perm_b32 v32, v52, v99, 0x7060302
	;; [unrolled: 1-line block ×7, first 2 shown]
	ds_load_b32 v42, v94 offset:128
	ds_load_b32 v50, v94 offset:3456
	;; [unrolled: 1-line block ×12, first 2 shown]
	ds_load_2addr_b32 v[108:109], v97 offset0:44 offset1:64
	v_perm_b32 v38, v121, v119, 0x7060302
	s_delay_alu instid0(VALU_DEP_1)
	v_wmma_f16_16x16x16_f16 v[8:15], v[32:39], v[24:31], v[8:15] op_sel:[0,0,1]
	v_perm_b32 v32, v53, v41, 0x5040100
	v_perm_b32 v33, v55, v43, 0x5040100
	;; [unrolled: 1-line block ×4, first 2 shown]
	s_waitcnt lgkmcnt(12)
	v_perm_b32 v34, v45, v42, 0x5040100
	s_waitcnt lgkmcnt(4)
	v_perm_b32 v38, v51, v62, 0x5040100
	v_perm_b32 v36, v59, v60, 0x5040100
	s_waitcnt lgkmcnt(0)
	v_perm_b32 v39, v108, v63, 0x5040100
	s_delay_alu instid0(VALU_DEP_1)
	v_wmma_f16_16x16x16_f16 v[0:7], v[32:39], v[24:31], v[0:7]
	v_perm_b32 v32, v53, v41, 0x7060302
	v_perm_b32 v33, v55, v43, 0x7060302
	;; [unrolled: 1-line block ×8, first 2 shown]
	v_add_nc_u32_e32 v47, 0x1400, v72
	v_add_nc_u32_e32 v51, 0x1c00, v72
	;; [unrolled: 1-line block ×3, first 2 shown]
	s_delay_alu instid0(VALU_DEP_4) | instskip(SKIP_1) | instid1(VALU_DEP_1)
	v_wmma_f16_16x16x16_f16 v[0:7], v[32:39], v[24:31], v[0:7] op_sel:[0,0,1]
	v_sub_f32_e32 v24, v106, v40
	v_mul_f32_e32 v25, 0x3fb8aa3b, v24
	v_cmp_ngt_f32_e64 s3, 0xc2ce8ed0, v24
	s_delay_alu instid0(VALU_DEP_2) | instskip(SKIP_1) | instid1(VALU_DEP_1)
	v_fma_f32 v26, 0x3fb8aa3b, v24, -v25
	v_rndne_f32_e32 v27, v25
	v_dual_fmac_f32 v26, 0x32a5705f, v24 :: v_dual_sub_f32 v25, v25, v27
	v_cvt_i32_f32_e32 v27, v27
	s_delay_alu instid0(VALU_DEP_2) | instskip(SKIP_1) | instid1(VALU_DEP_2)
	v_add_f32_e32 v25, v25, v26
	v_sub_f32_e32 v26, v105, v40
	v_exp_f32_e32 v25, v25
	s_delay_alu instid0(VALU_DEP_1) | instskip(SKIP_1) | instid1(VALU_DEP_2)
	v_mul_f32_e32 v28, 0x3fb8aa3b, v26
	v_cmp_ngt_f32_e64 s4, 0xc2ce8ed0, v26
	v_fma_f32 v29, 0x3fb8aa3b, v26, -v28
	v_rndne_f32_e32 v30, v28
	s_waitcnt_depctr 0xfff
	v_ldexp_f32 v25, v25, v27
	v_fmac_f32_e32 v29, 0x32a5705f, v26
	v_sub_f32_e32 v28, v28, v30
	s_delay_alu instid0(VALU_DEP_3) | instskip(SKIP_1) | instid1(VALU_DEP_3)
	v_cndmask_b32_e64 v25, 0, v25, s3
	v_cmp_nlt_f32_e64 s3, 0x42b17218, v24
	v_add_f32_e32 v28, v28, v29
	s_delay_alu instid0(VALU_DEP_2) | instskip(NEXT) | instid1(VALU_DEP_2)
	v_cndmask_b32_e64 v25, 0x7f800000, v25, s3
	v_exp_f32_e32 v27, v28
	v_cvt_i32_f32_e32 v28, v30
	s_waitcnt_depctr 0xfff
	v_ldexp_f32 v27, v27, v28
	ds_bpermute_b32 v28, v64, v25
	v_cndmask_b32_e64 v24, 0, v27, s4
	v_cmp_nlt_f32_e64 s4, 0x42b17218, v26
	s_delay_alu instid0(VALU_DEP_1) | instskip(SKIP_4) | instid1(VALU_DEP_2)
	v_cndmask_b32_e64 v24, 0x7f800000, v24, s4
	ds_bpermute_b32 v26, v64, v24
	s_waitcnt lgkmcnt(0)
	v_cndmask_b32_e32 v27, v24, v26, vcc_lo
	v_cndmask_b32_e64 v26, v24, v26, s0
	v_cndmask_b32_e64 v30, v27, v25, s2
	s_delay_alu instid0(VALU_DEP_2) | instskip(SKIP_2) | instid1(VALU_DEP_3)
	v_cndmask_b32_e64 v29, v26, v25, s1
	v_cvt_f16_f32_e32 v26, v26
	v_cvt_f16_f32_e32 v27, v27
	v_cndmask_b32_e64 v29, v29, v28, s0
	v_cndmask_b32_e32 v28, v30, v28, vcc_lo
	s_delay_alu instid0(VALU_DEP_3) | instskip(SKIP_1) | instid1(VALU_DEP_4)
	v_pack_b32_f16 v32, v26, v27
	v_sub_f32_e32 v26, v104, v40
	v_cvt_f16_f32_e32 v30, v29
	s_delay_alu instid0(VALU_DEP_4) | instskip(NEXT) | instid1(VALU_DEP_3)
	v_cvt_f16_f32_e32 v31, v28
	v_mul_f32_e32 v27, 0x3fb8aa3b, v26
	v_cmp_ngt_f32_e64 s3, 0xc2ce8ed0, v26
	s_delay_alu instid0(VALU_DEP_3) | instskip(NEXT) | instid1(VALU_DEP_3)
	v_pack_b32_f16 v33, v30, v31
	v_fma_f32 v30, 0x3fb8aa3b, v26, -v27
	v_rndne_f32_e32 v31, v27
	s_delay_alu instid0(VALU_DEP_1) | instskip(NEXT) | instid1(VALU_DEP_1)
	v_dual_fmac_f32 v30, 0x32a5705f, v26 :: v_dual_sub_f32 v27, v27, v31
	v_add_f32_e32 v27, v27, v30
	v_cvt_i32_f32_e32 v30, v31
	s_delay_alu instid0(VALU_DEP_2) | instskip(SKIP_2) | instid1(VALU_DEP_1)
	v_exp_f32_e32 v27, v27
	s_waitcnt_depctr 0xfff
	v_ldexp_f32 v27, v27, v30
	v_cndmask_b32_e64 v27, 0, v27, s3
	v_cmp_nlt_f32_e64 s3, 0x42b17218, v26
	s_delay_alu instid0(VALU_DEP_1) | instskip(NEXT) | instid1(VALU_DEP_1)
	v_cndmask_b32_e64 v26, 0x7f800000, v27, s3
	v_cndmask_b32_e64 v27, v28, v26, s2
	;; [unrolled: 1-line block ×3, first 2 shown]
	ds_bpermute_b32 v29, v64, v26
	s_waitcnt lgkmcnt(0)
	v_cndmask_b32_e64 v28, v28, v29, s0
	v_cndmask_b32_e32 v29, v27, v29, vcc_lo
	s_delay_alu instid0(VALU_DEP_2) | instskip(NEXT) | instid1(VALU_DEP_2)
	v_cvt_f16_f32_e32 v27, v28
	v_cvt_f16_f32_e32 v30, v29
	s_delay_alu instid0(VALU_DEP_1) | instskip(SKIP_1) | instid1(VALU_DEP_1)
	v_pack_b32_f16 v34, v27, v30
	v_sub_f32_e32 v27, v103, v40
	v_mul_f32_e32 v30, 0x3fb8aa3b, v27
	v_cmp_ngt_f32_e64 s3, 0xc2ce8ed0, v27
	s_delay_alu instid0(VALU_DEP_2) | instskip(SKIP_1) | instid1(VALU_DEP_2)
	v_fma_f32 v31, 0x3fb8aa3b, v27, -v30
	v_rndne_f32_e32 v35, v30
	v_fmac_f32_e32 v31, 0x32a5705f, v27
	s_delay_alu instid0(VALU_DEP_2) | instskip(NEXT) | instid1(VALU_DEP_1)
	v_sub_f32_e32 v30, v30, v35
	v_add_f32_e32 v30, v30, v31
	v_cvt_i32_f32_e32 v31, v35
	s_delay_alu instid0(VALU_DEP_2) | instskip(SKIP_2) | instid1(VALU_DEP_1)
	v_exp_f32_e32 v30, v30
	s_waitcnt_depctr 0xfff
	v_ldexp_f32 v30, v30, v31
	v_cndmask_b32_e64 v30, 0, v30, s3
	v_cmp_nlt_f32_e64 s3, 0x42b17218, v27
	s_delay_alu instid0(VALU_DEP_1) | instskip(SKIP_4) | instid1(VALU_DEP_1)
	v_cndmask_b32_e64 v27, 0x7f800000, v30, s3
	ds_bpermute_b32 v30, v64, v27
	v_cndmask_b32_e64 v29, v29, v27, s2
	v_cndmask_b32_e64 v28, v28, v27, s1
	s_waitcnt lgkmcnt(0)
	v_cndmask_b32_e64 v31, v28, v30, s0
	s_delay_alu instid0(VALU_DEP_3) | instskip(NEXT) | instid1(VALU_DEP_2)
	v_cndmask_b32_e32 v29, v29, v30, vcc_lo
	v_cvt_f16_f32_e32 v28, v31
	s_delay_alu instid0(VALU_DEP_2) | instskip(NEXT) | instid1(VALU_DEP_1)
	v_cvt_f16_f32_e32 v30, v29
	v_pack_b32_f16 v35, v28, v30
	v_sub_f32_e32 v28, v102, v40
	s_delay_alu instid0(VALU_DEP_1) | instskip(SKIP_1) | instid1(VALU_DEP_2)
	v_mul_f32_e32 v30, 0x3fb8aa3b, v28
	v_cmp_ngt_f32_e64 s3, 0xc2ce8ed0, v28
	v_fma_f32 v36, 0x3fb8aa3b, v28, -v30
	v_rndne_f32_e32 v37, v30
	s_delay_alu instid0(VALU_DEP_2) | instskip(NEXT) | instid1(VALU_DEP_2)
	v_fmac_f32_e32 v36, 0x32a5705f, v28
	v_sub_f32_e32 v30, v30, v37
	s_delay_alu instid0(VALU_DEP_1) | instskip(SKIP_1) | instid1(VALU_DEP_2)
	v_add_f32_e32 v30, v30, v36
	v_cvt_i32_f32_e32 v36, v37
	v_exp_f32_e32 v30, v30
	s_waitcnt_depctr 0xfff
	v_ldexp_f32 v30, v30, v36
	s_delay_alu instid0(VALU_DEP_1) | instskip(SKIP_1) | instid1(VALU_DEP_1)
	v_cndmask_b32_e64 v30, 0, v30, s3
	v_cmp_nlt_f32_e64 s3, 0x42b17218, v28
	v_cndmask_b32_e64 v28, 0x7f800000, v30, s3
	s_delay_alu instid0(VALU_DEP_1) | instskip(SKIP_4) | instid1(VALU_DEP_2)
	v_cndmask_b32_e64 v30, v31, v28, s1
	ds_bpermute_b32 v31, v64, v28
	v_cndmask_b32_e64 v29, v29, v28, s2
	s_waitcnt lgkmcnt(0)
	v_cndmask_b32_e64 v30, v30, v31, s0
	v_cndmask_b32_e32 v31, v29, v31, vcc_lo
	s_delay_alu instid0(VALU_DEP_2) | instskip(NEXT) | instid1(VALU_DEP_2)
	v_cvt_f16_f32_e32 v29, v30
	v_cvt_f16_f32_e32 v36, v31
	s_delay_alu instid0(VALU_DEP_1) | instskip(SKIP_1) | instid1(VALU_DEP_1)
	v_pack_b32_f16 v36, v29, v36
	v_sub_f32_e32 v29, v88, v40
	v_mul_f32_e32 v37, 0x3fb8aa3b, v29
	v_cmp_ngt_f32_e64 s3, 0xc2ce8ed0, v29
	s_delay_alu instid0(VALU_DEP_2) | instskip(SKIP_1) | instid1(VALU_DEP_1)
	v_fma_f32 v38, 0x3fb8aa3b, v29, -v37
	v_rndne_f32_e32 v39, v37
	v_dual_fmac_f32 v38, 0x32a5705f, v29 :: v_dual_sub_f32 v37, v37, v39
	s_delay_alu instid0(VALU_DEP_1) | instskip(SKIP_1) | instid1(VALU_DEP_2)
	v_add_f32_e32 v37, v37, v38
	v_cvt_i32_f32_e32 v38, v39
	v_exp_f32_e32 v37, v37
	s_waitcnt_depctr 0xfff
	v_ldexp_f32 v37, v37, v38
	s_delay_alu instid0(VALU_DEP_1) | instskip(SKIP_1) | instid1(VALU_DEP_1)
	v_cndmask_b32_e64 v37, 0, v37, s3
	v_cmp_nlt_f32_e64 s3, 0x42b17218, v29
	v_cndmask_b32_e64 v29, 0x7f800000, v37, s3
	ds_bpermute_b32 v37, v64, v29
	v_cndmask_b32_e64 v30, v30, v29, s1
	v_cndmask_b32_e64 v31, v31, v29, s2
	s_waitcnt lgkmcnt(0)
	s_delay_alu instid0(VALU_DEP_2) | instskip(NEXT) | instid1(VALU_DEP_2)
	v_cndmask_b32_e64 v38, v30, v37, s0
	v_cndmask_b32_e32 v31, v31, v37, vcc_lo
	s_delay_alu instid0(VALU_DEP_2) | instskip(NEXT) | instid1(VALU_DEP_2)
	v_cvt_f16_f32_e32 v30, v38
	v_cvt_f16_f32_e32 v37, v31
	s_delay_alu instid0(VALU_DEP_1) | instskip(SKIP_1) | instid1(VALU_DEP_1)
	v_pack_b32_f16 v37, v30, v37
	v_sub_f32_e32 v30, v87, v40
	v_mul_f32_e32 v39, 0x3fb8aa3b, v30
	v_cmp_ngt_f32_e64 s3, 0xc2ce8ed0, v30
	s_delay_alu instid0(VALU_DEP_2) | instskip(SKIP_1) | instid1(VALU_DEP_2)
	v_fma_f32 v41, 0x3fb8aa3b, v30, -v39
	v_rndne_f32_e32 v42, v39
	v_fmac_f32_e32 v41, 0x32a5705f, v30
	s_delay_alu instid0(VALU_DEP_2) | instskip(NEXT) | instid1(VALU_DEP_1)
	v_sub_f32_e32 v39, v39, v42
	v_add_f32_e32 v39, v39, v41
	v_cvt_i32_f32_e32 v41, v42
	s_delay_alu instid0(VALU_DEP_2) | instskip(SKIP_2) | instid1(VALU_DEP_1)
	v_exp_f32_e32 v39, v39
	s_waitcnt_depctr 0xfff
	v_ldexp_f32 v39, v39, v41
	v_cndmask_b32_e64 v39, 0, v39, s3
	v_cmp_nlt_f32_e64 s3, 0x42b17218, v30
	s_delay_alu instid0(VALU_DEP_1) | instskip(SKIP_4) | instid1(VALU_DEP_2)
	v_cndmask_b32_e64 v30, 0x7f800000, v39, s3
	ds_bpermute_b32 v39, v64, v30
	v_cndmask_b32_e64 v38, v38, v30, s1
	v_cndmask_b32_e64 v31, v31, v30, s2
	s_waitcnt lgkmcnt(0)
	v_cndmask_b32_e64 v41, v38, v39, s0
	s_delay_alu instid0(VALU_DEP_2) | instskip(NEXT) | instid1(VALU_DEP_2)
	v_cndmask_b32_e32 v39, v31, v39, vcc_lo
	v_cvt_f16_f32_e32 v31, v41
	s_delay_alu instid0(VALU_DEP_2) | instskip(NEXT) | instid1(VALU_DEP_1)
	v_cvt_f16_f32_e32 v38, v39
	v_pack_b32_f16 v38, v31, v38
	v_sub_f32_e32 v31, v86, v40
	s_delay_alu instid0(VALU_DEP_1) | instskip(SKIP_1) | instid1(VALU_DEP_2)
	v_mul_f32_e32 v42, 0x3fb8aa3b, v31
	v_cmp_ngt_f32_e64 s3, 0xc2ce8ed0, v31
	v_fma_f32 v43, 0x3fb8aa3b, v31, -v42
	v_rndne_f32_e32 v45, v42
	s_delay_alu instid0(VALU_DEP_1) | instskip(NEXT) | instid1(VALU_DEP_1)
	v_dual_fmac_f32 v43, 0x32a5705f, v31 :: v_dual_sub_f32 v42, v42, v45
	v_add_f32_e32 v42, v42, v43
	v_cvt_i32_f32_e32 v43, v45
	v_add_nc_u32_e32 v45, 0xe00, v72
	s_delay_alu instid0(VALU_DEP_3) | instskip(SKIP_3) | instid1(VALU_DEP_2)
	v_exp_f32_e32 v42, v42
	s_waitcnt_depctr 0xfff
	v_ldexp_f32 v42, v42, v43
	v_add_nc_u32_e32 v43, 0xc00, v94
	v_cndmask_b32_e64 v42, 0, v42, s3
	v_cmp_nlt_f32_e64 s3, 0x42b17218, v31
	s_delay_alu instid0(VALU_DEP_1) | instskip(SKIP_4) | instid1(VALU_DEP_2)
	v_cndmask_b32_e64 v31, 0x7f800000, v42, s3
	ds_bpermute_b32 v42, v64, v31
	v_cndmask_b32_e64 v41, v41, v31, s1
	v_cndmask_b32_e64 v39, v39, v31, s2
	s_waitcnt lgkmcnt(0)
	v_cndmask_b32_e64 v41, v41, v42, s0
	s_delay_alu instid0(VALU_DEP_2) | instskip(NEXT) | instid1(VALU_DEP_2)
	v_cndmask_b32_e32 v39, v39, v42, vcc_lo
	v_cvt_f16_f32_e32 v41, v41
	s_delay_alu instid0(VALU_DEP_2) | instskip(NEXT) | instid1(VALU_DEP_1)
	v_cvt_f16_f32_e32 v39, v39
	v_pack_b32_f16 v39, v41, v39
	ds_load_2addr_b32 v[41:42], v97 offset0:116 offset1:132
	ds_load_2addr_b32 v[59:60], v97 offset0:148 offset1:168
	;; [unrolled: 1-line block ×5, first 2 shown]
	v_add_nc_u32_e32 v43, 0x1000, v72
	v_add_nc_u32_e32 v45, 0xc00, v95
	ds_load_2addr_b32 v[112:113], v43 offset0:120 offset1:136
	ds_load_2addr_b32 v[114:115], v43 offset0:152 offset1:172
	;; [unrolled: 1-line block ×4, first 2 shown]
	v_add_nc_u32_e32 v45, 0xc00, v96
	ds_load_2addr_b32 v[120:121], v47 offset0:52 offset1:72
	ds_load_2addr_b32 v[122:123], v47 offset0:124 offset1:140
	ds_load_2addr_b32 v[124:125], v45 offset0:64 offset1:80
	ds_load_2addr_b32 v[126:127], v47 offset0:156 offset1:228
	v_add_nc_u32_e32 v45, 0x1800, v72
	ds_load_2addr_b32 v[128:129], v45 offset0:24 offset1:40
	ds_load_2addr_b32 v[130:131], v45 offset0:56 offset1:76
	s_waitcnt lgkmcnt(14)
	v_perm_b32 v98, v41, v109, 0x5040100
	s_waitcnt lgkmcnt(12)
	v_perm_b32 v99, v61, v60, 0x5040100
	;; [unrolled: 2-line block ×8, first 2 shown]
	s_delay_alu instid0(VALU_DEP_1)
	v_wmma_f16_16x16x16_f16 v[16:23], v[98:105], v[32:39], v[16:23]
	v_perm_b32 v98, v41, v109, 0x7060302
	v_perm_b32 v99, v61, v60, 0x7060302
	;; [unrolled: 1-line block ×8, first 2 shown]
	v_add_nc_u32_e32 v41, 0x1600, v72
	v_add_nc_u32_e32 v124, 0x2400, v72
	s_delay_alu instid0(VALU_DEP_3)
	v_wmma_f16_16x16x16_f16 v[16:23], v[98:105], v[32:39], v[16:23] op_sel:[0,0,1]
	ds_load_2addr_b32 v[60:61], v97 offset0:80 offset1:96
	ds_load_2addr_b32 v[105:106], v97 offset0:184 offset1:200
	;; [unrolled: 1-line block ×7, first 2 shown]
	v_perm_b32 v101, v119, v117, 0x5040100
	s_waitcnt lgkmcnt(6)
	v_perm_b32 v97, v42, v60, 0x5040100
	s_waitcnt lgkmcnt(5)
	;; [unrolled: 2-line block ×7, first 2 shown]
	v_perm_b32 v104, v127, v129, 0x5040100
	s_delay_alu instid0(VALU_DEP_1)
	v_wmma_f16_16x16x16_f16 v[8:15], v[97:104], v[32:39], v[8:15]
	v_perm_b32 v101, v119, v117, 0x7060302
	v_perm_b32 v97, v42, v60, 0x7060302
	;; [unrolled: 1-line block ×8, first 2 shown]
	s_delay_alu instid0(VALU_DEP_1)
	v_wmma_f16_16x16x16_f16 v[8:15], v[97:104], v[32:39], v[8:15] op_sel:[0,0,1]
	v_perm_b32 v97, v59, v61, 0x5040100
	v_perm_b32 v98, v110, v106, 0x5040100
	;; [unrolled: 1-line block ×8, first 2 shown]
	s_delay_alu instid0(VALU_DEP_1)
	v_wmma_f16_16x16x16_f16 v[0:7], v[97:104], v[32:39], v[0:7]
	v_perm_b32 v97, v59, v61, 0x7060302
	v_perm_b32 v98, v110, v106, 0x7060302
	;; [unrolled: 1-line block ×8, first 2 shown]
	s_delay_alu instid0(VALU_DEP_1) | instskip(SKIP_1) | instid1(VALU_DEP_1)
	v_wmma_f16_16x16x16_f16 v[0:7], v[97:104], v[32:39], v[0:7] op_sel:[0,0,1]
	v_sub_f32_e32 v32, v85, v40
	v_mul_f32_e32 v33, 0x3fb8aa3b, v32
	v_cmp_ngt_f32_e64 s3, 0xc2ce8ed0, v32
	s_delay_alu instid0(VALU_DEP_2) | instskip(SKIP_1) | instid1(VALU_DEP_1)
	v_fma_f32 v34, 0x3fb8aa3b, v32, -v33
	v_rndne_f32_e32 v35, v33
	v_dual_fmac_f32 v34, 0x32a5705f, v32 :: v_dual_sub_f32 v33, v33, v35
	v_cvt_i32_f32_e32 v35, v35
	s_delay_alu instid0(VALU_DEP_2) | instskip(NEXT) | instid1(VALU_DEP_1)
	v_dual_add_f32 v33, v33, v34 :: v_dual_sub_f32 v34, v84, v40
	v_exp_f32_e32 v33, v33
	s_delay_alu instid0(VALU_DEP_1) | instskip(SKIP_1) | instid1(VALU_DEP_2)
	v_mul_f32_e32 v36, 0x3fb8aa3b, v34
	v_cmp_ngt_f32_e64 s4, 0xc2ce8ed0, v34
	v_fma_f32 v37, 0x3fb8aa3b, v34, -v36
	v_rndne_f32_e32 v38, v36
	s_waitcnt_depctr 0xfff
	v_ldexp_f32 v33, v33, v35
	v_fmac_f32_e32 v37, 0x32a5705f, v34
	v_sub_f32_e32 v36, v36, v38
	s_delay_alu instid0(VALU_DEP_3) | instskip(SKIP_1) | instid1(VALU_DEP_3)
	v_cndmask_b32_e64 v33, 0, v33, s3
	v_cmp_nlt_f32_e64 s3, 0x42b17218, v32
	v_add_f32_e32 v36, v36, v37
	s_delay_alu instid0(VALU_DEP_2) | instskip(NEXT) | instid1(VALU_DEP_2)
	v_cndmask_b32_e64 v33, 0x7f800000, v33, s3
	v_exp_f32_e32 v35, v36
	v_cvt_i32_f32_e32 v36, v38
	s_waitcnt_depctr 0xfff
	v_ldexp_f32 v35, v35, v36
	ds_bpermute_b32 v36, v64, v33
	v_cndmask_b32_e64 v32, 0, v35, s4
	v_cmp_nlt_f32_e64 s4, 0x42b17218, v34
	s_delay_alu instid0(VALU_DEP_1) | instskip(SKIP_4) | instid1(VALU_DEP_2)
	v_cndmask_b32_e64 v32, 0x7f800000, v32, s4
	ds_bpermute_b32 v34, v64, v32
	s_waitcnt lgkmcnt(0)
	v_cndmask_b32_e64 v35, v32, v34, s0
	v_cndmask_b32_e32 v34, v32, v34, vcc_lo
	v_cndmask_b32_e64 v37, v35, v33, s1
	s_delay_alu instid0(VALU_DEP_2) | instskip(SKIP_2) | instid1(VALU_DEP_4)
	v_cndmask_b32_e64 v38, v34, v33, s2
	v_cvt_f16_f32_e32 v35, v35
	v_cvt_f16_f32_e32 v34, v34
	v_cndmask_b32_e64 v37, v37, v36, s0
	s_delay_alu instid0(VALU_DEP_4) | instskip(NEXT) | instid1(VALU_DEP_3)
	v_cndmask_b32_e32 v36, v38, v36, vcc_lo
	v_pack_b32_f16 v97, v35, v34
	v_sub_f32_e32 v34, v83, v40
	s_delay_alu instid0(VALU_DEP_4) | instskip(NEXT) | instid1(VALU_DEP_4)
	v_cvt_f16_f32_e32 v38, v37
	v_cvt_f16_f32_e32 v39, v36
	s_delay_alu instid0(VALU_DEP_3) | instskip(SKIP_1) | instid1(VALU_DEP_3)
	v_mul_f32_e32 v35, 0x3fb8aa3b, v34
	v_cmp_ngt_f32_e64 s3, 0xc2ce8ed0, v34
	v_pack_b32_f16 v98, v38, v39
	s_delay_alu instid0(VALU_DEP_3) | instskip(SKIP_1) | instid1(VALU_DEP_1)
	v_fma_f32 v38, 0x3fb8aa3b, v34, -v35
	v_rndne_f32_e32 v39, v35
	v_dual_fmac_f32 v38, 0x32a5705f, v34 :: v_dual_sub_f32 v35, v35, v39
	s_delay_alu instid0(VALU_DEP_1) | instskip(SKIP_1) | instid1(VALU_DEP_2)
	v_add_f32_e32 v35, v35, v38
	v_cvt_i32_f32_e32 v38, v39
	v_exp_f32_e32 v35, v35
	s_waitcnt_depctr 0xfff
	v_ldexp_f32 v35, v35, v38
	s_delay_alu instid0(VALU_DEP_1) | instskip(SKIP_1) | instid1(VALU_DEP_1)
	v_cndmask_b32_e64 v35, 0, v35, s3
	v_cmp_nlt_f32_e64 s3, 0x42b17218, v34
	v_cndmask_b32_e64 v34, 0x7f800000, v35, s3
	s_delay_alu instid0(VALU_DEP_1) | instskip(SKIP_4) | instid1(VALU_DEP_2)
	v_cndmask_b32_e64 v35, v37, v34, s1
	ds_bpermute_b32 v37, v64, v34
	v_cndmask_b32_e64 v36, v36, v34, s2
	s_waitcnt lgkmcnt(0)
	v_cndmask_b32_e64 v38, v35, v37, s0
	v_cndmask_b32_e32 v36, v36, v37, vcc_lo
	s_delay_alu instid0(VALU_DEP_2) | instskip(NEXT) | instid1(VALU_DEP_2)
	v_cvt_f16_f32_e32 v35, v38
	v_cvt_f16_f32_e32 v37, v36
	s_delay_alu instid0(VALU_DEP_1) | instskip(SKIP_1) | instid1(VALU_DEP_1)
	v_pack_b32_f16 v99, v35, v37
	v_sub_f32_e32 v35, v82, v40
	v_mul_f32_e32 v37, 0x3fb8aa3b, v35
	v_cmp_ngt_f32_e64 s3, 0xc2ce8ed0, v35
	s_delay_alu instid0(VALU_DEP_2) | instskip(SKIP_1) | instid1(VALU_DEP_2)
	v_fma_f32 v39, 0x3fb8aa3b, v35, -v37
	v_rndne_f32_e32 v41, v37
	v_fmac_f32_e32 v39, 0x32a5705f, v35
	s_delay_alu instid0(VALU_DEP_2) | instskip(NEXT) | instid1(VALU_DEP_1)
	v_sub_f32_e32 v37, v37, v41
	v_add_f32_e32 v37, v37, v39
	v_cvt_i32_f32_e32 v39, v41
	s_delay_alu instid0(VALU_DEP_2) | instskip(SKIP_2) | instid1(VALU_DEP_1)
	v_exp_f32_e32 v37, v37
	s_waitcnt_depctr 0xfff
	v_ldexp_f32 v37, v37, v39
	v_cndmask_b32_e64 v37, 0, v37, s3
	v_cmp_nlt_f32_e64 s3, 0x42b17218, v35
	s_delay_alu instid0(VALU_DEP_1) | instskip(NEXT) | instid1(VALU_DEP_1)
	v_cndmask_b32_e64 v35, 0x7f800000, v37, s3
	v_cndmask_b32_e64 v37, v38, v35, s1
	ds_bpermute_b32 v38, v64, v35
	v_cndmask_b32_e64 v36, v36, v35, s2
	s_waitcnt lgkmcnt(0)
	v_cndmask_b32_e64 v37, v37, v38, s0
	s_delay_alu instid0(VALU_DEP_2) | instskip(NEXT) | instid1(VALU_DEP_2)
	v_cndmask_b32_e32 v38, v36, v38, vcc_lo
	v_cvt_f16_f32_e32 v36, v37
	s_delay_alu instid0(VALU_DEP_2) | instskip(NEXT) | instid1(VALU_DEP_1)
	v_cvt_f16_f32_e32 v39, v38
	v_pack_b32_f16 v100, v36, v39
	v_sub_f32_e32 v36, v81, v40
	s_delay_alu instid0(VALU_DEP_1) | instskip(SKIP_1) | instid1(VALU_DEP_2)
	v_mul_f32_e32 v39, 0x3fb8aa3b, v36
	v_cmp_ngt_f32_e64 s3, 0xc2ce8ed0, v36
	v_fma_f32 v41, 0x3fb8aa3b, v36, -v39
	v_rndne_f32_e32 v42, v39
	s_delay_alu instid0(VALU_DEP_2) | instskip(NEXT) | instid1(VALU_DEP_2)
	v_fmac_f32_e32 v41, 0x32a5705f, v36
	v_sub_f32_e32 v39, v39, v42
	s_delay_alu instid0(VALU_DEP_1) | instskip(SKIP_1) | instid1(VALU_DEP_2)
	v_add_f32_e32 v39, v39, v41
	v_cvt_i32_f32_e32 v41, v42
	v_exp_f32_e32 v39, v39
	s_waitcnt_depctr 0xfff
	v_ldexp_f32 v39, v39, v41
	s_delay_alu instid0(VALU_DEP_1) | instskip(SKIP_1) | instid1(VALU_DEP_1)
	v_cndmask_b32_e64 v39, 0, v39, s3
	v_cmp_nlt_f32_e64 s3, 0x42b17218, v36
	v_cndmask_b32_e64 v36, 0x7f800000, v39, s3
	ds_bpermute_b32 v39, v64, v36
	v_cndmask_b32_e64 v37, v37, v36, s1
	v_cndmask_b32_e64 v38, v38, v36, s2
	s_waitcnt lgkmcnt(0)
	s_delay_alu instid0(VALU_DEP_2) | instskip(NEXT) | instid1(VALU_DEP_2)
	v_cndmask_b32_e64 v37, v37, v39, s0
	v_cndmask_b32_e32 v38, v38, v39, vcc_lo
	s_delay_alu instid0(VALU_DEP_2) | instskip(NEXT) | instid1(VALU_DEP_2)
	v_cvt_f16_f32_e32 v39, v37
	v_cvt_f16_f32_e32 v41, v38
	s_delay_alu instid0(VALU_DEP_1) | instskip(SKIP_1) | instid1(VALU_DEP_1)
	v_pack_b32_f16 v101, v39, v41
	v_sub_f32_e32 v39, v80, v40
	v_mul_f32_e32 v41, 0x3fb8aa3b, v39
	v_cmp_ngt_f32_e64 s3, 0xc2ce8ed0, v39
	s_delay_alu instid0(VALU_DEP_2) | instskip(SKIP_1) | instid1(VALU_DEP_2)
	v_fma_f32 v42, 0x3fb8aa3b, v39, -v41
	v_rndne_f32_e32 v43, v41
	v_fmac_f32_e32 v42, 0x32a5705f, v39
	s_delay_alu instid0(VALU_DEP_2) | instskip(NEXT) | instid1(VALU_DEP_1)
	v_sub_f32_e32 v41, v41, v43
	v_add_f32_e32 v41, v41, v42
	v_cvt_i32_f32_e32 v42, v43
	s_delay_alu instid0(VALU_DEP_2) | instskip(SKIP_2) | instid1(VALU_DEP_1)
	v_exp_f32_e32 v41, v41
	s_waitcnt_depctr 0xfff
	v_ldexp_f32 v41, v41, v42
	v_cndmask_b32_e64 v41, 0, v41, s3
	v_cmp_nlt_f32_e64 s3, 0x42b17218, v39
	s_delay_alu instid0(VALU_DEP_1) | instskip(SKIP_4) | instid1(VALU_DEP_2)
	v_cndmask_b32_e64 v39, 0x7f800000, v41, s3
	ds_bpermute_b32 v41, v64, v39
	v_cndmask_b32_e64 v37, v37, v39, s1
	v_cndmask_b32_e64 v38, v38, v39, s2
	s_waitcnt lgkmcnt(0)
	v_cndmask_b32_e64 v37, v37, v41, s0
	s_delay_alu instid0(VALU_DEP_2) | instskip(NEXT) | instid1(VALU_DEP_2)
	v_cndmask_b32_e32 v38, v38, v41, vcc_lo
	v_cvt_f16_f32_e32 v41, v37
	s_delay_alu instid0(VALU_DEP_2) | instskip(NEXT) | instid1(VALU_DEP_1)
	v_cvt_f16_f32_e32 v42, v38
	v_pack_b32_f16 v102, v41, v42
	v_sub_f32_e32 v41, v79, v40
	s_delay_alu instid0(VALU_DEP_1) | instskip(SKIP_1) | instid1(VALU_DEP_2)
	v_mul_f32_e32 v42, 0x3fb8aa3b, v41
	v_cmp_ngt_f32_e64 s3, 0xc2ce8ed0, v41
	v_fma_f32 v43, 0x3fb8aa3b, v41, -v42
	v_rndne_f32_e32 v47, v42
	s_delay_alu instid0(VALU_DEP_1) | instskip(NEXT) | instid1(VALU_DEP_1)
	v_dual_fmac_f32 v43, 0x32a5705f, v41 :: v_dual_sub_f32 v42, v42, v47
	v_add_f32_e32 v42, v42, v43
	v_cvt_i32_f32_e32 v43, v47
	s_delay_alu instid0(VALU_DEP_2) | instskip(SKIP_2) | instid1(VALU_DEP_1)
	v_exp_f32_e32 v42, v42
	s_waitcnt_depctr 0xfff
	v_ldexp_f32 v42, v42, v43
	v_cndmask_b32_e64 v42, 0, v42, s3
	v_cmp_nlt_f32_e64 s3, 0x42b17218, v41
	s_delay_alu instid0(VALU_DEP_1) | instskip(SKIP_4) | instid1(VALU_DEP_2)
	v_cndmask_b32_e64 v47, 0x7f800000, v42, s3
	ds_bpermute_b32 v41, v64, v47
	v_cndmask_b32_e64 v37, v37, v47, s1
	v_cndmask_b32_e64 v38, v38, v47, s2
	s_waitcnt lgkmcnt(0)
	v_cndmask_b32_e64 v37, v37, v41, s0
	s_delay_alu instid0(VALU_DEP_2) | instskip(NEXT) | instid1(VALU_DEP_2)
	v_cndmask_b32_e32 v38, v38, v41, vcc_lo
	v_cvt_f16_f32_e32 v41, v37
	s_delay_alu instid0(VALU_DEP_2) | instskip(NEXT) | instid1(VALU_DEP_1)
	v_cvt_f16_f32_e32 v42, v38
	v_pack_b32_f16 v103, v41, v42
	v_sub_f32_e32 v41, v78, v40
	s_delay_alu instid0(VALU_DEP_1) | instskip(SKIP_1) | instid1(VALU_DEP_2)
	v_mul_f32_e32 v42, 0x3fb8aa3b, v41
	v_cmp_ngt_f32_e64 s3, 0xc2ce8ed0, v41
	v_fma_f32 v43, 0x3fb8aa3b, v41, -v42
	v_rndne_f32_e32 v49, v42
	s_delay_alu instid0(VALU_DEP_2) | instskip(NEXT) | instid1(VALU_DEP_2)
	v_fmac_f32_e32 v43, 0x32a5705f, v41
	v_sub_f32_e32 v42, v42, v49
	s_delay_alu instid0(VALU_DEP_1) | instskip(SKIP_1) | instid1(VALU_DEP_2)
	v_add_f32_e32 v42, v42, v43
	v_cvt_i32_f32_e32 v43, v49
	v_exp_f32_e32 v42, v42
	s_waitcnt_depctr 0xfff
	v_ldexp_f32 v42, v42, v43
	v_add_nc_u32_e32 v43, 0x1800, v94
	s_delay_alu instid0(VALU_DEP_2) | instskip(SKIP_1) | instid1(VALU_DEP_1)
	v_cndmask_b32_e64 v42, 0, v42, s3
	v_cmp_nlt_f32_e64 s3, 0x42b17218, v41
	v_cndmask_b32_e64 v63, 0x7f800000, v42, s3
	ds_bpermute_b32 v41, v64, v63
	v_cndmask_b32_e64 v37, v37, v63, s1
	v_cndmask_b32_e64 v38, v38, v63, s2
	s_waitcnt lgkmcnt(0)
	s_delay_alu instid0(VALU_DEP_2) | instskip(NEXT) | instid1(VALU_DEP_2)
	v_cndmask_b32_e64 v37, v37, v41, s0
	v_cndmask_b32_e32 v38, v38, v41, vcc_lo
	s_delay_alu instid0(VALU_DEP_2) | instskip(NEXT) | instid1(VALU_DEP_2)
	v_cvt_f16_f32_e32 v37, v37
	v_cvt_f16_f32_e32 v38, v38
	s_delay_alu instid0(VALU_DEP_1)
	v_pack_b32_f16 v104, v37, v38
	ds_load_2addr_b32 v[37:38], v45 offset0:128 offset1:144
	ds_load_2addr_b32 v[41:42], v45 offset0:160 offset1:180
	;; [unrolled: 1-line block ×6, first 2 shown]
	v_add_nc_u32_e32 v43, 0x1800, v95
	ds_load_2addr_b32 v[86:87], v51 offset0:164 offset1:184
	ds_load_2addr_b32 v[105:106], v51 offset0:236 offset1:252
	;; [unrolled: 1-line block ×4, first 2 shown]
	v_add_nc_u32_e32 v43, 0x1800, v96
	ds_load_2addr_b32 v[112:113], v53 offset0:136 offset1:152
	ds_load_2addr_b32 v[114:115], v53 offset0:168 offset1:188
	;; [unrolled: 1-line block ×6, first 2 shown]
	s_waitcnt lgkmcnt(14)
	v_perm_b32 v78, v42, v37, 0x5040100
	s_waitcnt lgkmcnt(12)
	v_perm_b32 v79, v56, v49, 0x5040100
	;; [unrolled: 2-line block ×8, first 2 shown]
	s_delay_alu instid0(VALU_DEP_1)
	v_wmma_f16_16x16x16_f16 v[16:23], v[78:85], v[97:104], v[16:23]
	v_perm_b32 v78, v42, v37, 0x7060302
	v_perm_b32 v79, v56, v49, 0x7060302
	v_perm_b32 v81, v105, v87, 0x7060302
	v_perm_b32 v82, v111, v108, 0x7060302
	v_perm_b32 v83, v115, v112, 0x7060302
	v_perm_b32 v84, v118, v116, 0x7060302
	v_perm_b32 v85, v122, v121, 0x7060302
	ds_load_2addr_b32 v[42:43], v45 offset0:196 offset1:212
	ds_load_2addr_b32 v[56:57], v51 offset0:44 offset1:60
	;; [unrolled: 1-line block ×6, first 2 shown]
	v_perm_b32 v80, v61, v59, 0x7060302
	v_add_nc_u32_e32 v61, 0x2400, v94
	s_delay_alu instid0(VALU_DEP_2)
	v_wmma_f16_16x16x16_f16 v[16:23], v[78:85], v[97:104], v[16:23] op_sel:[0,0,1]
	v_perm_b32 v80, v62, v60, 0x5040100
	v_perm_b32 v84, v119, v117, 0x5040100
	s_waitcnt lgkmcnt(5)
	v_perm_b32 v78, v42, v38, 0x5040100
	s_waitcnt lgkmcnt(4)
	;; [unrolled: 2-line block ×6, first 2 shown]
	v_perm_b32 v85, v123, v121, 0x5040100
	v_perm_b32 v51, v57, v55, 0x7060302
	;; [unrolled: 1-line block ×3, first 2 shown]
	s_delay_alu instid0(VALU_DEP_3)
	v_wmma_f16_16x16x16_f16 v[8:15], v[78:85], v[97:104], v[8:15]
	v_perm_b32 v78, v42, v38, 0x7060302
	ds_load_2addr_b32 v[37:38], v124 offset0:172 offset1:192
	v_perm_b32 v80, v62, v60, 0x7060302
	v_perm_b32 v84, v119, v117, 0x7060302
	;; [unrolled: 1-line block ×9, first 2 shown]
	s_delay_alu instid0(VALU_DEP_3)
	v_wmma_f16_16x16x16_f16 v[8:15], v[78:85], v[97:104], v[8:15] op_sel:[0,0,1]
	v_perm_b32 v79, v57, v55, 0x5040100
	v_perm_b32 v78, v43, v41, 0x5040100
	;; [unrolled: 1-line block ×7, first 2 shown]
	s_waitcnt lgkmcnt(0)
	v_perm_b32 v85, v37, v122, 0x5040100
	v_perm_b32 v57, v37, v122, 0x7060302
	v_sub_f32_e32 v37, v77, v40
	v_perm_b32 v55, v116, v114, 0x7060302
	v_perm_b32 v52, v86, v52, 0x7060302
	v_wmma_f16_16x16x16_f16 v[0:7], v[78:85], v[97:104], v[0:7]
	v_perm_b32 v54, v112, v54, 0x7060302
	v_mul_f32_e32 v41, 0x3fb8aa3b, v37
	v_add_nc_u32_e32 v82, 0x2e00, v72
	v_add_nc_u32_e32 v83, 0x2400, v96
	v_add_nc_u32_e32 v96, 0x3000, v72
	v_wmma_f16_16x16x16_f16 v[0:7], v[50:57], v[97:104], v[0:7] op_sel:[0,0,1]
	v_fma_f32 v42, 0x3fb8aa3b, v37, -v41
	v_rndne_f32_e32 v43, v41
	v_add_nc_u32_e32 v98, 0x2c00, v72
	v_cmp_ngt_f32_e64 s3, 0xc2ce8ed0, v37
	v_add_nc_u32_e32 v81, 0x2400, v95
	s_delay_alu instid0(VALU_DEP_4) | instskip(SKIP_2) | instid1(VALU_DEP_3)
	v_dual_fmac_f32 v42, 0x32a5705f, v37 :: v_dual_sub_f32 v41, v41, v43
	v_cvt_i32_f32_e32 v43, v43
	v_add_nc_u32_e32 v97, 0x2800, v72
	v_dual_add_f32 v41, v41, v42 :: v_dual_sub_f32 v42, v71, v40
	s_delay_alu instid0(VALU_DEP_1) | instskip(NEXT) | instid1(VALU_DEP_1)
	v_exp_f32_e32 v41, v41
	v_mul_f32_e32 v45, 0x3fb8aa3b, v42
	v_cmp_ngt_f32_e64 s4, 0xc2ce8ed0, v42
	s_delay_alu instid0(VALU_DEP_2)
	v_fma_f32 v49, 0x3fb8aa3b, v42, -v45
	v_rndne_f32_e32 v50, v45
	s_waitcnt_depctr 0xfff
	v_ldexp_f32 v41, v41, v43
	v_fmac_f32_e32 v49, 0x32a5705f, v42
	v_sub_f32_e32 v45, v45, v50
	s_delay_alu instid0(VALU_DEP_3) | instskip(SKIP_1) | instid1(VALU_DEP_3)
	v_cndmask_b32_e64 v41, 0, v41, s3
	v_cmp_nlt_f32_e64 s3, 0x42b17218, v37
	v_add_f32_e32 v45, v45, v49
	s_delay_alu instid0(VALU_DEP_1) | instskip(SKIP_3) | instid1(VALU_DEP_1)
	v_exp_f32_e32 v43, v45
	v_cvt_i32_f32_e32 v45, v50
	s_waitcnt_depctr 0xfff
	v_ldexp_f32 v43, v43, v45
	v_cndmask_b32_e64 v37, 0, v43, s4
	v_cmp_nlt_f32_e64 s4, 0x42b17218, v42
	v_cndmask_b32_e64 v43, 0x7f800000, v41, s3
	s_delay_alu instid0(VALU_DEP_2)
	v_cndmask_b32_e64 v37, 0x7f800000, v37, s4
	ds_bpermute_b32 v45, v64, v43
	ds_bpermute_b32 v41, v64, v37
	s_waitcnt lgkmcnt(0)
	v_cndmask_b32_e64 v42, v37, v41, s0
	v_cndmask_b32_e32 v41, v37, v41, vcc_lo
	s_delay_alu instid0(VALU_DEP_2) | instskip(SKIP_1) | instid1(VALU_DEP_2)
	v_cndmask_b32_e64 v49, v42, v43, s1
	v_cvt_f16_f32_e32 v42, v42
	v_cndmask_b32_e64 v51, v49, v45, s0
	s_delay_alu instid0(VALU_DEP_4) | instskip(SKIP_1) | instid1(VALU_DEP_3)
	v_cndmask_b32_e64 v49, v41, v43, s2
	v_cvt_f16_f32_e32 v41, v41
	v_cvt_f16_f32_e32 v50, v51
	s_delay_alu instid0(VALU_DEP_3) | instskip(NEXT) | instid1(VALU_DEP_3)
	v_cndmask_b32_e32 v45, v49, v45, vcc_lo
	v_pack_b32_f16 v49, v42, v41
	v_sub_f32_e32 v41, v70, v40
	s_delay_alu instid0(VALU_DEP_3) | instskip(NEXT) | instid1(VALU_DEP_2)
	v_cvt_f16_f32_e32 v52, v45
	v_mul_f32_e32 v42, 0x3fb8aa3b, v41
	v_cmp_ngt_f32_e64 s3, 0xc2ce8ed0, v41
	s_delay_alu instid0(VALU_DEP_3) | instskip(NEXT) | instid1(VALU_DEP_3)
	v_pack_b32_f16 v50, v50, v52
	v_fma_f32 v52, 0x3fb8aa3b, v41, -v42
	v_rndne_f32_e32 v53, v42
	s_delay_alu instid0(VALU_DEP_2) | instskip(NEXT) | instid1(VALU_DEP_2)
	v_fmac_f32_e32 v52, 0x32a5705f, v41
	v_sub_f32_e32 v42, v42, v53
	s_delay_alu instid0(VALU_DEP_1) | instskip(SKIP_1) | instid1(VALU_DEP_2)
	v_add_f32_e32 v42, v42, v52
	v_cvt_i32_f32_e32 v52, v53
	v_exp_f32_e32 v42, v42
	s_waitcnt_depctr 0xfff
	v_ldexp_f32 v42, v42, v52
	s_delay_alu instid0(VALU_DEP_1) | instskip(SKIP_1) | instid1(VALU_DEP_1)
	v_cndmask_b32_e64 v42, 0, v42, s3
	v_cmp_nlt_f32_e64 s3, 0x42b17218, v41
	v_cndmask_b32_e64 v71, 0x7f800000, v42, s3
	s_delay_alu instid0(VALU_DEP_1) | instskip(SKIP_3) | instid1(VALU_DEP_1)
	v_cndmask_b32_e64 v42, v45, v71, s2
	ds_bpermute_b32 v45, v64, v71
	v_cndmask_b32_e64 v41, v51, v71, s1
	s_waitcnt lgkmcnt(0)
	v_cndmask_b32_e64 v41, v41, v45, s0
	v_cndmask_b32_e32 v42, v42, v45, vcc_lo
	s_delay_alu instid0(VALU_DEP_2) | instskip(NEXT) | instid1(VALU_DEP_2)
	v_cvt_f16_f32_e32 v45, v41
	v_cvt_f16_f32_e32 v51, v42
	s_delay_alu instid0(VALU_DEP_1) | instskip(SKIP_1) | instid1(VALU_DEP_1)
	v_pack_b32_f16 v51, v45, v51
	v_sub_f32_e32 v45, v69, v40
	v_mul_f32_e32 v52, 0x3fb8aa3b, v45
	v_cmp_ngt_f32_e64 s3, 0xc2ce8ed0, v45
	s_delay_alu instid0(VALU_DEP_2) | instskip(SKIP_1) | instid1(VALU_DEP_1)
	v_fma_f32 v53, 0x3fb8aa3b, v45, -v52
	v_rndne_f32_e32 v54, v52
	v_dual_fmac_f32 v53, 0x32a5705f, v45 :: v_dual_sub_f32 v52, v52, v54
	s_delay_alu instid0(VALU_DEP_1) | instskip(SKIP_1) | instid1(VALU_DEP_2)
	v_add_f32_e32 v52, v52, v53
	v_cvt_i32_f32_e32 v53, v54
	v_exp_f32_e32 v52, v52
	s_waitcnt_depctr 0xfff
	v_ldexp_f32 v52, v52, v53
	s_delay_alu instid0(VALU_DEP_1) | instskip(SKIP_1) | instid1(VALU_DEP_1)
	v_cndmask_b32_e64 v52, 0, v52, s3
	v_cmp_nlt_f32_e64 s3, 0x42b17218, v45
	v_cndmask_b32_e64 v45, 0x7f800000, v52, s3
	ds_bpermute_b32 v52, v64, v45
	v_cndmask_b32_e64 v41, v41, v45, s1
	v_cndmask_b32_e64 v42, v42, v45, s2
	s_waitcnt lgkmcnt(0)
	s_delay_alu instid0(VALU_DEP_2) | instskip(NEXT) | instid1(VALU_DEP_2)
	v_cndmask_b32_e64 v41, v41, v52, s0
	v_cndmask_b32_e32 v42, v42, v52, vcc_lo
	s_delay_alu instid0(VALU_DEP_2) | instskip(NEXT) | instid1(VALU_DEP_2)
	v_cvt_f16_f32_e32 v52, v41
	v_cvt_f16_f32_e32 v53, v42
	s_delay_alu instid0(VALU_DEP_1) | instskip(SKIP_1) | instid1(VALU_DEP_1)
	v_pack_b32_f16 v52, v52, v53
	v_sub_f32_e32 v53, v68, v40
	v_mul_f32_e32 v54, 0x3fb8aa3b, v53
	v_cmp_ngt_f32_e64 s3, 0xc2ce8ed0, v53
	s_delay_alu instid0(VALU_DEP_2) | instskip(SKIP_1) | instid1(VALU_DEP_1)
	v_fma_f32 v55, 0x3fb8aa3b, v53, -v54
	v_rndne_f32_e32 v56, v54
	v_dual_fmac_f32 v55, 0x32a5705f, v53 :: v_dual_sub_f32 v54, v54, v56
	s_delay_alu instid0(VALU_DEP_1) | instskip(SKIP_1) | instid1(VALU_DEP_2)
	v_add_f32_e32 v54, v54, v55
	v_cvt_i32_f32_e32 v55, v56
	v_exp_f32_e32 v54, v54
	s_waitcnt_depctr 0xfff
	v_ldexp_f32 v54, v54, v55
	s_delay_alu instid0(VALU_DEP_1) | instskip(SKIP_1) | instid1(VALU_DEP_1)
	v_cndmask_b32_e64 v54, 0, v54, s3
	v_cmp_nlt_f32_e64 s3, 0x42b17218, v53
	v_cndmask_b32_e64 v106, 0x7f800000, v54, s3
	ds_bpermute_b32 v53, v64, v106
	v_cndmask_b32_e64 v41, v41, v106, s1
	v_cndmask_b32_e64 v42, v42, v106, s2
	s_waitcnt lgkmcnt(0)
	s_delay_alu instid0(VALU_DEP_2) | instskip(NEXT) | instid1(VALU_DEP_2)
	v_cndmask_b32_e64 v41, v41, v53, s0
	v_cndmask_b32_e32 v42, v42, v53, vcc_lo
	s_delay_alu instid0(VALU_DEP_2) | instskip(NEXT) | instid1(VALU_DEP_2)
	v_cvt_f16_f32_e32 v53, v41
	v_cvt_f16_f32_e32 v54, v42
	s_delay_alu instid0(VALU_DEP_1) | instskip(SKIP_2) | instid1(VALU_DEP_2)
	v_pack_b32_f16 v53, v53, v54
	v_sub_f32_e32 v54, v67, v40
	v_add_nc_u32_e32 v67, 0x2a00, v72
	v_mul_f32_e32 v55, 0x3fb8aa3b, v54
	v_cmp_ngt_f32_e64 s3, 0xc2ce8ed0, v54
	s_delay_alu instid0(VALU_DEP_2) | instskip(SKIP_1) | instid1(VALU_DEP_1)
	v_fma_f32 v56, 0x3fb8aa3b, v54, -v55
	v_rndne_f32_e32 v57, v55
	v_dual_fmac_f32 v56, 0x32a5705f, v54 :: v_dual_sub_f32 v55, v55, v57
	s_delay_alu instid0(VALU_DEP_1) | instskip(SKIP_1) | instid1(VALU_DEP_2)
	v_add_f32_e32 v55, v55, v56
	v_cvt_i32_f32_e32 v56, v57
	v_exp_f32_e32 v55, v55
	s_waitcnt_depctr 0xfff
	v_ldexp_f32 v55, v55, v56
	s_delay_alu instid0(VALU_DEP_1) | instskip(SKIP_1) | instid1(VALU_DEP_1)
	v_cndmask_b32_e64 v55, 0, v55, s3
	v_cmp_nlt_f32_e64 s3, 0x42b17218, v54
	v_cndmask_b32_e64 v128, 0x7f800000, v55, s3
	ds_bpermute_b32 v54, v64, v128
	v_cndmask_b32_e64 v41, v41, v128, s1
	v_cndmask_b32_e64 v42, v42, v128, s2
	s_waitcnt lgkmcnt(0)
	s_delay_alu instid0(VALU_DEP_2) | instskip(NEXT) | instid1(VALU_DEP_2)
	v_cndmask_b32_e64 v41, v41, v54, s0
	v_cndmask_b32_e32 v42, v42, v54, vcc_lo
	s_delay_alu instid0(VALU_DEP_2) | instskip(NEXT) | instid1(VALU_DEP_2)
	v_cvt_f16_f32_e32 v54, v41
	v_cvt_f16_f32_e32 v55, v42
	s_delay_alu instid0(VALU_DEP_1) | instskip(SKIP_1) | instid1(VALU_DEP_1)
	v_pack_b32_f16 v54, v54, v55
	v_sub_f32_e32 v55, v66, v40
	v_mul_f32_e32 v56, 0x3fb8aa3b, v55
	v_cmp_ngt_f32_e64 s3, 0xc2ce8ed0, v55
	s_delay_alu instid0(VALU_DEP_2) | instskip(SKIP_1) | instid1(VALU_DEP_1)
	v_fma_f32 v57, 0x3fb8aa3b, v55, -v56
	v_rndne_f32_e32 v58, v56
	v_dual_fmac_f32 v57, 0x32a5705f, v55 :: v_dual_sub_f32 v56, v56, v58
	s_delay_alu instid0(VALU_DEP_1) | instskip(SKIP_1) | instid1(VALU_DEP_2)
	v_add_f32_e32 v56, v56, v57
	v_cvt_i32_f32_e32 v57, v58
	v_exp_f32_e32 v56, v56
	s_waitcnt_depctr 0xfff
	v_ldexp_f32 v56, v56, v57
	s_delay_alu instid0(VALU_DEP_1) | instskip(SKIP_1) | instid1(VALU_DEP_1)
	v_cndmask_b32_e64 v56, 0, v56, s3
	v_cmp_nlt_f32_e64 s3, 0x42b17218, v55
	v_cndmask_b32_e64 v129, 0x7f800000, v56, s3
	ds_bpermute_b32 v55, v64, v129
	v_cndmask_b32_e64 v41, v41, v129, s1
	v_cndmask_b32_e64 v42, v42, v129, s2
	s_waitcnt lgkmcnt(0)
	s_delay_alu instid0(VALU_DEP_2) | instskip(NEXT) | instid1(VALU_DEP_2)
	v_cndmask_b32_e64 v41, v41, v55, s0
	v_cndmask_b32_e32 v42, v42, v55, vcc_lo
	s_delay_alu instid0(VALU_DEP_2) | instskip(NEXT) | instid1(VALU_DEP_2)
	v_cvt_f16_f32_e32 v55, v41
	v_cvt_f16_f32_e32 v56, v42
	s_delay_alu instid0(VALU_DEP_1) | instskip(SKIP_1) | instid1(VALU_DEP_1)
	v_pack_b32_f16 v55, v55, v56
	v_sub_f32_e32 v56, v65, v40
	v_mul_f32_e32 v57, 0x3fb8aa3b, v56
	v_cmp_ngt_f32_e64 s3, 0xc2ce8ed0, v56
	s_delay_alu instid0(VALU_DEP_2) | instskip(SKIP_1) | instid1(VALU_DEP_1)
	v_fma_f32 v58, 0x3fb8aa3b, v56, -v57
	v_rndne_f32_e32 v59, v57
	v_dual_fmac_f32 v58, 0x32a5705f, v56 :: v_dual_sub_f32 v57, v57, v59
	s_delay_alu instid0(VALU_DEP_1) | instskip(SKIP_1) | instid1(VALU_DEP_2)
	v_add_f32_e32 v57, v57, v58
	v_cvt_i32_f32_e32 v58, v59
	v_exp_f32_e32 v57, v57
	s_waitcnt_depctr 0xfff
	v_ldexp_f32 v57, v57, v58
	s_delay_alu instid0(VALU_DEP_1) | instskip(SKIP_1) | instid1(VALU_DEP_1)
	v_cndmask_b32_e64 v57, 0, v57, s3
	v_cmp_nlt_f32_e64 s3, 0x42b17218, v56
	v_cndmask_b32_e64 v130, 0x7f800000, v57, s3
	ds_bpermute_b32 v56, v64, v130
	v_cndmask_b32_e64 v41, v41, v130, s1
	v_cndmask_b32_e64 v42, v42, v130, s2
	s_waitcnt lgkmcnt(0)
	s_delay_alu instid0(VALU_DEP_2) | instskip(NEXT) | instid1(VALU_DEP_2)
	v_cndmask_b32_e64 v41, v41, v56, s0
	v_cndmask_b32_e32 v42, v42, v56, vcc_lo
	s_mov_b32 s0, exec_lo
	s_delay_alu instid0(VALU_DEP_2) | instskip(NEXT) | instid1(VALU_DEP_2)
	v_cvt_f16_f32_e32 v41, v41
	v_cvt_f16_f32_e32 v42, v42
	s_delay_alu instid0(VALU_DEP_1)
	v_pack_b32_f16 v56, v41, v42
	v_add_nc_u32_e32 v41, 0x2600, v72
	ds_load_2addr_b32 v[41:42], v41 offset0:116 offset1:132
	ds_load_2addr_b32 v[57:58], v97 offset0:20 offset1:40
	;; [unrolled: 1-line block ×22, first 2 shown]
	s_waitcnt lgkmcnt(0)
	s_barrier
	buffer_gl0_inv
	s_barrier
	v_perm_b32 v77, v41, v38, 0x5040100
	buffer_gl0_inv
	v_perm_b32 v78, v59, v58, 0x5040100
	v_perm_b32 v79, v66, v61, 0x5040100
	;; [unrolled: 1-line block ×11, first 2 shown]
	v_wmma_f16_16x16x16_f16 v[16:23], v[77:84], v[49:56], v[16:23]
	v_perm_b32 v77, v42, v116, 0x5040100
	v_perm_b32 v78, v60, v118, 0x5040100
	;; [unrolled: 1-line block ×12, first 2 shown]
	v_wmma_f16_16x16x16_f16 v[8:15], v[77:84], v[49:56], v[8:15]
	v_perm_b32 v77, v57, v117, 0x5040100
	v_perm_b32 v78, v65, v119, 0x5040100
	v_perm_b32 v79, v121, v48, 0x5040100
	v_perm_b32 v80, v111, v69, 0x5040100
	v_perm_b32 v81, v102, v46, 0x5040100
	v_perm_b32 v82, v113, v123, 0x5040100
	v_perm_b32 v83, v125, v44, 0x5040100
	v_perm_b32 v84, v127, v108, 0x5040100
	v_perm_b32 v111, v111, v69, 0x7060302
	v_perm_b32 v108, v57, v117, 0x7060302
	v_perm_b32 v113, v113, v123, 0x7060302
	s_delay_alu instid0(VALU_DEP_4)
	v_wmma_f16_16x16x16_f16 v[0:7], v[77:84], v[49:56], v[0:7]
	v_perm_b32 v77, v41, v38, 0x7060302
	v_add_f32_e32 v38, v73, v74
	v_perm_b32 v80, v70, v67, 0x7060302
	v_perm_b32 v81, v87, v85, 0x7060302
	v_perm_b32 v84, v109, v94, 0x7060302
	v_perm_b32 v94, v42, v116, 0x7060302
	v_add_f32_e32 v38, v75, v38
	v_perm_b32 v78, v59, v58, 0x7060302
	v_perm_b32 v109, v65, v119, 0x7060302
	v_perm_b32 v79, v66, v61, 0x7060302
	;; [unrolled: 5-line block ×3, first 2 shown]
	v_perm_b32 v114, v125, v44, 0x7060302
	v_add_f32_e32 v38, v90, v38
	s_delay_alu instid0(VALU_DEP_4) | instskip(NEXT) | instid1(VALU_DEP_4)
	v_wmma_f16_16x16x16_f16 v[16:23], v[77:84], v[49:56], v[16:23] op_sel:[0,0,1]
	v_wmma_f16_16x16x16_f16 v[8:15], v[94:101], v[49:56], v[8:15] op_sel:[0,0,1]
	s_delay_alu instid0(VALU_DEP_4) | instskip(NEXT) | instid1(VALU_DEP_4)
	v_wmma_f16_16x16x16_f16 v[0:7], v[108:115], v[49:56], v[0:7] op_sel:[0,0,1]
	v_add_f32_e32 v38, v91, v38
	s_delay_alu instid0(VALU_DEP_1) | instskip(NEXT) | instid1(VALU_DEP_1)
	v_add_f32_e32 v38, v92, v38
	v_add_f32_e32 v38, v93, v38
	s_delay_alu instid0(VALU_DEP_1) | instskip(NEXT) | instid1(VALU_DEP_1)
	v_add_f32_e32 v24, v24, v38
	;; [unrolled: 3-line block ×13, first 2 shown]
	v_add_f32_e32 v24, v130, v24
	s_delay_alu instid0(VALU_DEP_1)
	v_fmac_f32_e32 v24, v176, v107
	ds_bpermute_b32 v25, v64, v24
	v_cmpx_gt_u32_e32 16, v161
	s_cbranch_execz .LBB14_585
; %bb.584:
	v_readlane_b32 s1, v255, 9
	v_or_b32_e32 v26, v187, v161
	v_mov_b32_e32 v27, 0
	s_mov_b32 s3, s16
	s_waitcnt lgkmcnt(0)
	v_add_f32_e32 v41, v24, v25
	s_add_i32 s1, s1, s24
	v_lshlrev_b64 v[26:27], 3, v[26:27]
	s_lshl_b32 s2, s1, 6
	s_delay_alu instid0(SALU_CYCLE_1) | instskip(NEXT) | instid1(SALU_CYCLE_1)
	s_lshl_b64 s[2:3], s[2:3], 3
	s_add_u32 s1, s30, s2
	s_addc_u32 s2, s31, s3
	s_delay_alu instid0(VALU_DEP_1)
	v_add_co_u32 v26, vcc_lo, s1, v26
	v_add_co_ci_u32_e32 v27, vcc_lo, s2, v27, vcc_lo
	global_store_b64 v[26:27], v[40:41], off
.LBB14_585:
	s_or_b32 exec_lo, exec_lo, s0
	v_or_b32_e32 v24, v187, v170
	v_readlane_b32 s2, v255, 4
	v_readlane_b32 s3, v255, 5
	s_mov_b32 s1, s16
	s_delay_alu instid0(VALU_DEP_3)
	v_mad_i32_i24 v24, v24, 52, v174
	s_clause 0x1
	s_load_b32 s0, s[2:3], 0x10
	s_load_b32 s2, s[2:3], 0x0
	s_mov_b32 s3, s16
	s_waitcnt lgkmcnt(0)
	v_lshl_add_u32 v25, v24, 2, 0
	v_lshl_add_u32 v24, v186, 2, v76
	ds_store_2addr_b32 v25, v16, v17 offset1:2
	ds_store_2addr_b32 v25, v18, v19 offset0:4 offset1:6
	ds_store_2addr_b32 v25, v20, v21 offset0:8 offset1:10
	;; [unrolled: 1-line block ×11, first 2 shown]
	s_waitcnt lgkmcnt(0)
	s_waitcnt_vscnt null, 0x0
	s_barrier
	buffer_gl0_inv
	ds_load_2addr_b32 v[0:1], v24 offset1:208
	v_dual_mov_b32 v5, 0 :: v_dual_lshlrev_b32 v4, 2, v177
	v_mul_u32_u24_e32 v16, 48, v177
	s_delay_alu instid0(VALU_DEP_2) | instskip(SKIP_1) | instid1(VALU_DEP_2)
	v_sub_nc_u32_e32 v4, v171, v4
	s_lshr_b32 s0, s0, 16
	v_add_lshl_u32 v16, v16, v161, 3
	s_cmp_lg_u32 s0, 0
	s_delay_alu instid0(VALU_DEP_2) | instskip(SKIP_1) | instid1(SALU_CYCLE_1)
	v_lshlrev_b64 v[8:9], 3, v[4:5]
	s_cselect_b32 s0, -1, 0
	s_cmp_lg_u32 s0, 0
	s_addc_u32 s0, s2, 0
	s_mul_i32 s2, s24, 0xc00
	s_lshl_b32 s0, s0, 7
	s_waitcnt lgkmcnt(0)
	v_lshrrev_b32_e32 v6, 16, v0
	v_cvt_f32_f16_e32 v0, v0
	v_lshlrev_b32_e32 v11, 2, v185
	s_lshl_b64 s[0:1], s[0:1], 3
	s_delay_alu instid0(VALU_DEP_3) | instskip(NEXT) | instid1(VALU_DEP_3)
	v_cvt_f32_f16_e32 v7, v6
	v_add_f32_e32 v6, 0, v0
	v_add_nc_u32_e32 v2, 0x600, v24
	v_lshrrev_b32_e32 v0, 16, v1
	s_add_u32 s4, s30, s0
	v_add_f32_e32 v7, 0, v7
	s_addc_u32 s5, s31, s1
	ds_load_2addr_b32 v[2:3], v2 offset0:32 offset1:240
	v_cvt_f32_f16_e32 v12, v0
	v_add_nc_u32_e32 v10, 0xd0, v171
	s_lshl_b64 s[0:1], s[2:3], 3
	s_delay_alu instid0(SALU_CYCLE_1) | instskip(SKIP_1) | instid1(VALU_DEP_1)
	s_add_u32 s0, s4, s0
	s_addc_u32 s1, s5, s1
	v_sub_nc_u32_e32 v4, v10, v11
	v_add_co_u32 v8, vcc_lo, s0, v8
	v_add_co_ci_u32_e32 v9, vcc_lo, s1, v9, vcc_lo
	s_waitcnt lgkmcnt(0)
	v_lshrrev_b32_e32 v13, 16, v2
	v_cvt_f32_f16_e32 v2, v2
	v_lshlrev_b32_e32 v11, 2, v179
	s_delay_alu instid0(VALU_DEP_3) | instskip(NEXT) | instid1(VALU_DEP_3)
	v_cvt_f32_f16_e32 v15, v13
	v_add_f32_e32 v14, 0, v2
	s_delay_alu instid0(VALU_DEP_3)
	v_sub_nc_u32_e32 v10, v10, v11
	v_cvt_f32_f16_e32 v11, v1
	v_lshlrev_b64 v[0:1], 3, v[4:5]
	v_add_f32_e32 v15, 0, v15
	v_cvt_f32_f16_e32 v2, v3
	v_add_nc_u32_e32 v4, 0xd0, v10
	v_dual_add_f32 v10, 0, v11 :: v_dual_add_f32 v11, 0, v12
	v_add_co_u32 v0, vcc_lo, s0, v0
	s_delay_alu instid0(VALU_DEP_3) | instskip(SKIP_2) | instid1(VALU_DEP_3)
	v_lshlrev_b64 v[12:13], 3, v[4:5]
	v_add_co_ci_u32_e32 v1, vcc_lo, s1, v1, vcc_lo
	v_add_f32_e32 v2, 0, v2
	v_add_co_u32 v12, vcc_lo, s0, v12
	s_delay_alu instid0(VALU_DEP_4)
	v_add_co_ci_u32_e32 v13, vcc_lo, s1, v13, vcc_lo
	s_clause 0x2
	global_store_b64 v[8:9], v[6:7], off
	global_store_b64 v[0:1], v[10:11], off
	;; [unrolled: 1-line block ×3, first 2 shown]
	v_and_or_b32 v0, 0x7f0, v168, v165
	v_and_b32_e32 v7, 15, v169
	v_lshrrev_b32_e32 v1, 16, v3
	v_and_or_b32 v3, 0x7f0, v167, v165
	v_and_or_b32 v9, 0x7f0, v164, v165
	v_mul_u32_u24_e32 v0, 52, v0
	v_and_or_b32 v12, 0x1ff0, v173, v7
	v_mul_u32_u24_e32 v13, 52, v169
	v_mul_u32_u24_e32 v3, 52, v3
	;; [unrolled: 1-line block ×3, first 2 shown]
	v_lshl_add_u32 v6, v0, 2, v76
	v_mul_u32_u24_e32 v12, 52, v12
	v_cvt_f32_f16_e32 v8, v1
	v_add_nc_u32_e32 v1, 0x1000, v24
	v_lshl_add_u32 v3, v3, 2, v76
	ds_load_b32 v11, v6
	v_and_or_b32 v6, 0x1ff0, v172, v7
	v_and_or_b32 v7, 0x1ff0, v178, v7
	v_lshl_add_u32 v9, v9, 2, v76
	v_lshl_add_u32 v17, v13, 2, v72
	;; [unrolled: 1-line block ×3, first 2 shown]
	v_mul_u32_u24_e32 v6, 52, v6
	v_mul_u32_u24_e32 v7, 52, v7
	ds_load_2addr_b32 v[0:1], v1 offset0:16 offset1:224
	v_add_nc_u32_e32 v10, 0x270, v171
	v_add_nc_u32_e32 v13, 0x1d00, v24
	v_lshl_add_u32 v6, v6, 2, v72
	v_lshl_add_u32 v7, v7, 2, v72
	ds_load_b32 v18, v3
	ds_load_b32 v19, v9
	ds_load_b32 v20, v17 offset:128
	ds_load_b32 v21, v6 offset:128
	ds_load_b32 v22, v12 offset:128
	ds_load_b32 v23, v7 offset:128
	v_add_f32_e32 v3, 0, v8
	s_waitcnt lgkmcnt(7)
	v_lshrrev_b32_e32 v9, 16, v11
	s_delay_alu instid0(VALU_DEP_1)
	v_cvt_f32_f16_e32 v9, v9
	v_lshlrev_b32_e32 v4, 2, v166
	s_waitcnt lgkmcnt(6)
	v_lshrrev_b32_e32 v12, 16, v0
	v_cvt_f32_f16_e32 v0, v0
	v_add_f32_e32 v9, 0, v9
	v_sub_nc_u32_e32 v4, v10, v4
	s_delay_alu instid0(VALU_DEP_1) | instskip(SKIP_1) | instid1(VALU_DEP_1)
	v_lshlrev_b64 v[6:7], 3, v[4:5]
	v_cvt_f32_f16_e32 v4, v11
	v_dual_add_f32 v8, 0, v4 :: v_dual_lshlrev_b32 v11, 2, v163
	s_delay_alu instid0(VALU_DEP_3) | instskip(NEXT) | instid1(VALU_DEP_4)
	v_add_co_u32 v6, vcc_lo, s0, v6
	v_add_co_ci_u32_e32 v7, vcc_lo, s1, v7, vcc_lo
	s_delay_alu instid0(VALU_DEP_3)
	v_sub_nc_u32_e32 v10, v10, v11
	v_lshrrev_b32_e32 v11, 16, v1
	global_store_b64 v[6:7], v[2:3], off
	v_cvt_f32_f16_e32 v3, v12
	v_add_nc_u32_e32 v4, 0x1800, v16
	v_add_f32_e32 v2, 0, v0
	v_lshlrev_b32_e32 v0, 2, v160
	s_delay_alu instid0(VALU_DEP_4)
	v_dual_add_f32 v3, 0, v3 :: v_dual_lshlrev_b32 v12, 2, v162
	global_store_b64 v4, v[8:9], s[0:1]
	v_add_nc_u32_e32 v4, 0x1a0, v10
	ds_load_b32 v10, v24 offset:5824
	v_add_nc_u32_e32 v8, 0x4e0, v171
	v_cvt_f32_f16_e32 v9, v1
	ds_load_b32 v25, v24 offset:9152
	ds_load_b32 v26, v24 offset:12480
	v_lshlrev_b64 v[6:7], 3, v[4:5]
	v_sub_nc_u32_e32 v4, v8, v0
	s_delay_alu instid0(VALU_DEP_2) | instskip(NEXT) | instid1(VALU_DEP_3)
	v_add_co_u32 v0, vcc_lo, s0, v6
	v_add_co_ci_u32_e32 v1, vcc_lo, s1, v7, vcc_lo
	v_cvt_f32_f16_e32 v7, v11
	v_sub_nc_u32_e32 v11, v8, v12
	v_add_f32_e32 v6, 0, v9
	v_lshlrev_b64 v[8:9], 3, v[4:5]
	s_delay_alu instid0(VALU_DEP_4)
	v_add_f32_e32 v7, 0, v7
	s_waitcnt lgkmcnt(2)
	v_lshrrev_b32_e32 v12, 16, v10
	v_add_nc_u32_e32 v4, 0xd0, v11
	v_cvt_f32_f16_e32 v14, v10
	v_add_co_u32 v8, vcc_lo, s0, v8
	s_delay_alu instid0(VALU_DEP_4)
	v_cvt_f32_f16_e32 v15, v12
	ds_load_2addr_b32 v[12:13], v13 offset0:16 offset1:224
	v_lshlrev_b64 v[10:11], 3, v[4:5]
	v_lshrrev_b32_e32 v4, 16, v18
	v_add_co_ci_u32_e32 v9, vcc_lo, s1, v9, vcc_lo
	v_cvt_f32_f16_e32 v18, v18
	v_add_f32_e32 v14, 0, v14
	v_add_co_u32 v10, vcc_lo, s0, v10
	v_cvt_f32_f16_e32 v4, v4
	v_add_f32_e32 v15, 0, v15
	v_add_co_ci_u32_e32 v11, vcc_lo, s1, v11, vcc_lo
	s_clause 0x2
	global_store_b64 v[0:1], v[2:3], off
	global_store_b64 v[8:9], v[6:7], off
	;; [unrolled: 1-line block ×3, first 2 shown]
	v_dual_add_f32 v0, 0, v18 :: v_dual_add_nc_u32 v3, 0x750, v171
	v_add_f32_e32 v1, 0, v4
	v_add_nc_u32_e32 v2, 0x3000, v16
	v_lshlrev_b32_e32 v4, 2, v159
	s_waitcnt lgkmcnt(0)
	v_cvt_f32_f16_e32 v7, v12
	v_lshrrev_b32_e32 v6, 16, v12
	v_add_nc_u32_e32 v10, 0x2a00, v24
	global_store_b64 v2, v[0:1], s[0:1]
	v_dual_add_f32 v0, 0, v7 :: v_dual_lshlrev_b32 v1, 2, v158
	v_sub_nc_u32_e32 v4, v3, v4
	v_cvt_f32_f16_e32 v6, v6
	v_lshrrev_b32_e32 v7, 16, v13
	s_delay_alu instid0(VALU_DEP_4)
	v_sub_nc_u32_e32 v8, v3, v1
	v_add_nc_u32_e32 v12, 0x8f0, v171
	v_lshlrev_b64 v[2:3], 3, v[4:5]
	v_add_f32_e32 v1, 0, v6
	v_cvt_f32_f16_e32 v6, v13
	v_add_nc_u32_e32 v4, 0xd0, v8
	v_cvt_f32_f16_e32 v7, v7
	ds_load_2addr_b32 v[10:11], v10 offset0:16 offset1:224
	v_add_co_u32 v2, vcc_lo, s0, v2
	v_lshlrev_b64 v[8:9], 3, v[4:5]
	v_add_co_ci_u32_e32 v3, vcc_lo, s1, v3, vcc_lo
	v_dual_add_f32 v6, 0, v6 :: v_dual_add_f32 v7, 0, v7
	v_lshlrev_b32_e32 v4, 2, v157
	s_delay_alu instid0(VALU_DEP_4)
	v_add_co_u32 v8, vcc_lo, s0, v8
	v_add_co_ci_u32_e32 v9, vcc_lo, s1, v9, vcc_lo
	global_store_b64 v[2:3], v[0:1], off
	v_sub_nc_u32_e32 v4, v12, v4
	v_lshrrev_b32_e32 v13, 16, v25
	global_store_b64 v[8:9], v[6:7], off
	v_lshrrev_b32_e32 v6, 16, v19
	v_cvt_f32_f16_e32 v0, v25
	v_lshlrev_b64 v[2:3], 3, v[4:5]
	v_cvt_f32_f16_e32 v1, v13
	v_cvt_f32_f16_e32 v4, v19
	;; [unrolled: 1-line block ×3, first 2 shown]
	v_lshlrev_b32_e32 v6, 2, v156
	v_lshrrev_b32_e32 v14, 16, v23
	v_add_co_u32 v2, vcc_lo, s0, v2
	v_add_f32_e32 v0, 0, v0
	s_delay_alu instid0(VALU_DEP_4) | instskip(SKIP_3) | instid1(VALU_DEP_4)
	v_sub_nc_u32_e32 v8, v12, v6
	v_add_f32_e32 v1, 0, v1
	v_add_co_ci_u32_e32 v3, vcc_lo, s1, v3, vcc_lo
	v_add_f32_e32 v6, 0, v4
	v_dual_add_f32 v7, 0, v7 :: v_dual_add_nc_u32 v4, 0x1a0, v8
	v_cvt_f32_f16_e32 v14, v14
	v_add_nc_u32_e32 v12, 0x4800, v16
	s_waitcnt lgkmcnt(0)
	v_lshrrev_b32_e32 v9, 16, v10
	s_clause 0x1
	global_store_b64 v[2:3], v[0:1], off
	global_store_b64 v12, v[6:7], s[0:1]
	v_lshlrev_b64 v[0:1], 3, v[4:5]
	v_cvt_f32_f16_e32 v8, v10
	v_cvt_f32_f16_e32 v9, v9
	v_add_nc_u32_e32 v6, 0xb60, v171
	v_lshlrev_b32_e32 v4, 2, v155
	v_lshlrev_b32_e32 v7, 2, v154
	v_add_co_u32 v0, vcc_lo, s0, v0
	v_dual_add_f32 v2, 0, v8 :: v_dual_add_f32 v3, 0, v9
	v_add_co_ci_u32_e32 v1, vcc_lo, s1, v1, vcc_lo
	v_sub_nc_u32_e32 v4, v6, v4
	v_lshrrev_b32_e32 v8, 16, v11
	v_cvt_f32_f16_e32 v9, v11
	global_store_b64 v[0:1], v[2:3], off
	v_sub_nc_u32_e32 v1, v6, v7
	v_lshlrev_b64 v[2:3], 3, v[4:5]
	v_cvt_f32_f16_e32 v6, v8
	v_add_f32_e32 v0, 0, v9
	v_lshrrev_b32_e32 v8, 16, v26
	v_add_nc_u32_e32 v4, 0xd0, v1
	v_cvt_f32_f16_e32 v9, v26
	v_add_co_u32 v2, vcc_lo, s0, v2
	v_add_f32_e32 v1, 0, v6
	v_add_co_ci_u32_e32 v3, vcc_lo, s1, v3, vcc_lo
	ds_load_2addr_stride64_b32 v[6:7], v17 offset0:7 offset1:20
	v_lshlrev_b64 v[4:5], 3, v[4:5]
	v_cvt_f32_f16_e32 v10, v8
	global_store_b64 v[2:3], v[0:1], off
	ds_load_2addr_stride64_b32 v[2:3], v17 offset0:33 offset1:46
	v_add_f32_e32 v8, 0, v9
	v_mul_u32_u24_e32 v1, 48, v169
	v_add_co_u32 v4, vcc_lo, s0, v4
	v_add_f32_e32 v9, 0, v10
	v_add_co_ci_u32_e32 v5, vcc_lo, s1, v5, vcc_lo
	v_lshrrev_b32_e32 v10, 16, v20
	v_cvt_f32_f16_e32 v11, v20
	v_cvt_f32_f16_e32 v15, v23
	global_store_b64 v[4:5], v[8:9], off
	v_or_b32_e32 v8, v1, v170
	v_lshrrev_b32_e32 v9, 16, v21
	v_cvt_f32_f16_e32 v4, v10
	s_waitcnt lgkmcnt(1)
	v_lshrrev_b32_e32 v5, 16, v6
	v_cvt_f32_f16_e32 v6, v6
	v_lshlrev_b32_e32 v16, 3, v8
	v_cvt_f32_f16_e32 v8, v9
	s_waitcnt lgkmcnt(0)
	v_lshrrev_b32_e32 v12, 16, v2
	v_cvt_f32_f16_e32 v2, v2
	v_lshrrev_b32_e32 v9, 16, v7
	v_dual_add_f32 v0, 0, v11 :: v_dual_add_nc_u32 v19, 0x2400, v16
	v_cvt_f32_f16_e32 v10, v7
	v_lshrrev_b32_e32 v11, 16, v22
	v_cvt_f32_f16_e32 v13, v12
	v_add_f32_e32 v12, 0, v2
	v_lshrrev_b32_e32 v2, 16, v3
	v_cvt_f32_f16_e32 v5, v5
	v_dual_add_f32 v1, 0, v4 :: v_dual_add_f32 v4, 0, v6
	v_cvt_f32_f16_e32 v6, v21
	v_add_nc_u32_e32 v21, 0x3c00, v16
	v_cvt_f32_f16_e32 v9, v9
	v_dual_add_f32 v7, 0, v8 :: v_dual_add_f32 v8, 0, v10
	v_cvt_f32_f16_e32 v10, v22
	v_cvt_f32_f16_e32 v11, v11
	;; [unrolled: 1-line block ×4, first 2 shown]
	v_add_f32_e32 v5, 0, v5
	v_dual_add_f32 v6, 0, v6 :: v_dual_add_nc_u32 v17, 0xc00, v16
	v_dual_add_f32 v9, 0, v9 :: v_dual_add_nc_u32 v18, 0x1800, v16
	v_dual_add_f32 v10, 0, v10 :: v_dual_add_f32 v11, 0, v11
	v_dual_add_f32 v13, 0, v13 :: v_dual_add_nc_u32 v20, 0x3000, v16
	v_dual_add_f32 v2, 0, v15 :: v_dual_add_f32 v3, 0, v14
	v_add_nc_u32_e32 v24, 0x4800, v16
	v_dual_add_f32 v14, 0, v22 :: v_dual_add_f32 v15, 0, v23
	v_add_nc_u32_e32 v22, 0x5400, v16
	s_clause 0x7
	global_store_b64 v16, v[0:1], s[0:1] offset:256
	global_store_b64 v17, v[4:5], s[0:1] offset:256
	;; [unrolled: 1-line block ×8, first 2 shown]
.LBB14_586:
	s_endpgm
	.section	.rodata,"a",@progbits
	.p2align	6, 0x0
	.amdhsa_kernel _ZL18flash_attn_ext_f16ILi96ELi96ELi16ELi4ELb0ELb0EEvPKcS1_S1_S1_S1_PKiPfP15HIP_vector_typeIfLj2EEffffjfiS5_IjLj3EEiiiiiiiiiiiliiliiiiil
		.amdhsa_group_segment_fixed_size 0
		.amdhsa_private_segment_fixed_size 560
		.amdhsa_kernarg_size 464
		.amdhsa_user_sgpr_count 15
		.amdhsa_user_sgpr_dispatch_ptr 0
		.amdhsa_user_sgpr_queue_ptr 0
		.amdhsa_user_sgpr_kernarg_segment_ptr 1
		.amdhsa_user_sgpr_dispatch_id 0
		.amdhsa_user_sgpr_private_segment_size 0
		.amdhsa_wavefront_size32 1
		.amdhsa_uses_dynamic_stack 0
		.amdhsa_enable_private_segment 1
		.amdhsa_system_sgpr_workgroup_id_x 1
		.amdhsa_system_sgpr_workgroup_id_y 0
		.amdhsa_system_sgpr_workgroup_id_z 0
		.amdhsa_system_sgpr_workgroup_info 0
		.amdhsa_system_vgpr_workitem_id 1
		.amdhsa_next_free_vgpr 256
		.amdhsa_next_free_sgpr 105
		.amdhsa_reserve_vcc 1
		.amdhsa_float_round_mode_32 0
		.amdhsa_float_round_mode_16_64 0
		.amdhsa_float_denorm_mode_32 3
		.amdhsa_float_denorm_mode_16_64 3
		.amdhsa_dx10_clamp 1
		.amdhsa_ieee_mode 1
		.amdhsa_fp16_overflow 0
		.amdhsa_workgroup_processor_mode 1
		.amdhsa_memory_ordered 1
		.amdhsa_forward_progress 0
		.amdhsa_shared_vgpr_count 0
		.amdhsa_exception_fp_ieee_invalid_op 0
		.amdhsa_exception_fp_denorm_src 0
		.amdhsa_exception_fp_ieee_div_zero 0
		.amdhsa_exception_fp_ieee_overflow 0
		.amdhsa_exception_fp_ieee_underflow 0
		.amdhsa_exception_fp_ieee_inexact 0
		.amdhsa_exception_int_div_zero 0
	.end_amdhsa_kernel
	.section	.text._ZL18flash_attn_ext_f16ILi96ELi96ELi16ELi4ELb0ELb0EEvPKcS1_S1_S1_S1_PKiPfP15HIP_vector_typeIfLj2EEffffjfiS5_IjLj3EEiiiiiiiiiiiliiliiiiil,"axG",@progbits,_ZL18flash_attn_ext_f16ILi96ELi96ELi16ELi4ELb0ELb0EEvPKcS1_S1_S1_S1_PKiPfP15HIP_vector_typeIfLj2EEffffjfiS5_IjLj3EEiiiiiiiiiiiliiliiiiil,comdat
.Lfunc_end14:
	.size	_ZL18flash_attn_ext_f16ILi96ELi96ELi16ELi4ELb0ELb0EEvPKcS1_S1_S1_S1_PKiPfP15HIP_vector_typeIfLj2EEffffjfiS5_IjLj3EEiiiiiiiiiiiliiliiiiil, .Lfunc_end14-_ZL18flash_attn_ext_f16ILi96ELi96ELi16ELi4ELb0ELb0EEvPKcS1_S1_S1_S1_PKiPfP15HIP_vector_typeIfLj2EEffffjfiS5_IjLj3EEiiiiiiiiiiiliiliiiiil
                                        ; -- End function
	.section	.AMDGPU.csdata,"",@progbits
; Kernel info:
; codeLenInByte = 119336
; NumSgprs: 107
; NumVgprs: 256
; ScratchSize: 560
; MemoryBound: 0
; FloatMode: 240
; IeeeMode: 1
; LDSByteSize: 0 bytes/workgroup (compile time only)
; SGPRBlocks: 13
; VGPRBlocks: 31
; NumSGPRsForWavesPerEU: 107
; NumVGPRsForWavesPerEU: 256
; Occupancy: 5
; WaveLimiterHint : 0
; COMPUTE_PGM_RSRC2:SCRATCH_EN: 1
; COMPUTE_PGM_RSRC2:USER_SGPR: 15
; COMPUTE_PGM_RSRC2:TRAP_HANDLER: 0
; COMPUTE_PGM_RSRC2:TGID_X_EN: 1
; COMPUTE_PGM_RSRC2:TGID_Y_EN: 0
; COMPUTE_PGM_RSRC2:TGID_Z_EN: 0
; COMPUTE_PGM_RSRC2:TIDIG_COMP_CNT: 1
	.section	.text._ZL18flash_attn_ext_f16ILi96ELi96ELi16ELi4ELb1ELb0EEvPKcS1_S1_S1_S1_PKiPfP15HIP_vector_typeIfLj2EEffffjfiS5_IjLj3EEiiiiiiiiiiiliiliiiiil,"axG",@progbits,_ZL18flash_attn_ext_f16ILi96ELi96ELi16ELi4ELb1ELb0EEvPKcS1_S1_S1_S1_PKiPfP15HIP_vector_typeIfLj2EEffffjfiS5_IjLj3EEiiiiiiiiiiiliiliiiiil,comdat
	.globl	_ZL18flash_attn_ext_f16ILi96ELi96ELi16ELi4ELb1ELb0EEvPKcS1_S1_S1_S1_PKiPfP15HIP_vector_typeIfLj2EEffffjfiS5_IjLj3EEiiiiiiiiiiiliiliiiiil ; -- Begin function _ZL18flash_attn_ext_f16ILi96ELi96ELi16ELi4ELb1ELb0EEvPKcS1_S1_S1_S1_PKiPfP15HIP_vector_typeIfLj2EEffffjfiS5_IjLj3EEiiiiiiiiiiiliiliiiiil
	.p2align	8
	.type	_ZL18flash_attn_ext_f16ILi96ELi96ELi16ELi4ELb1ELb0EEvPKcS1_S1_S1_S1_PKiPfP15HIP_vector_typeIfLj2EEffffjfiS5_IjLj3EEiiiiiiiiiiiliiliiiiil,@function
_ZL18flash_attn_ext_f16ILi96ELi96ELi16ELi4ELb1ELb0EEvPKcS1_S1_S1_S1_PKiPfP15HIP_vector_typeIfLj2EEffffjfiS5_IjLj3EEiiiiiiiiiiiliiliiiiil: ; @_ZL18flash_attn_ext_f16ILi96ELi96ELi16ELi4ELb1ELb0EEvPKcS1_S1_S1_S1_PKiPfP15HIP_vector_typeIfLj2EEffffjfiS5_IjLj3EEiiiiiiiiiiiliiliiiiil
; %bb.0:
	v_mov_b32_e32 v0, 0x6cc
	s_add_u32 s8, s0, 0xd0
	s_addc_u32 s9, s1, 0
	s_mov_b32 s32, 0
	s_getpc_b64 s[0:1]
	s_add_u32 s0, s0, _ZL14no_device_codePKciS0_iS0_@rel32@lo+4
	s_addc_u32 s1, s1, _ZL14no_device_codePKciS0_iS0_@rel32@hi+12
	s_delay_alu instid0(SALU_CYCLE_1)
	s_swappc_b64 s[30:31], s[0:1]
	.section	.rodata,"a",@progbits
	.p2align	6, 0x0
	.amdhsa_kernel _ZL18flash_attn_ext_f16ILi96ELi96ELi16ELi4ELb1ELb0EEvPKcS1_S1_S1_S1_PKiPfP15HIP_vector_typeIfLj2EEffffjfiS5_IjLj3EEiiiiiiiiiiiliiliiiiil
		.amdhsa_group_segment_fixed_size 0
		.amdhsa_private_segment_fixed_size 16
		.amdhsa_kernarg_size 464
		.amdhsa_user_sgpr_count 15
		.amdhsa_user_sgpr_dispatch_ptr 0
		.amdhsa_user_sgpr_queue_ptr 0
		.amdhsa_user_sgpr_kernarg_segment_ptr 1
		.amdhsa_user_sgpr_dispatch_id 0
		.amdhsa_user_sgpr_private_segment_size 0
		.amdhsa_wavefront_size32 1
		.amdhsa_uses_dynamic_stack 0
		.amdhsa_enable_private_segment 1
		.amdhsa_system_sgpr_workgroup_id_x 1
		.amdhsa_system_sgpr_workgroup_id_y 0
		.amdhsa_system_sgpr_workgroup_id_z 0
		.amdhsa_system_sgpr_workgroup_info 0
		.amdhsa_system_vgpr_workitem_id 0
		.amdhsa_next_free_vgpr 37
		.amdhsa_next_free_sgpr 34
		.amdhsa_reserve_vcc 1
		.amdhsa_float_round_mode_32 0
		.amdhsa_float_round_mode_16_64 0
		.amdhsa_float_denorm_mode_32 3
		.amdhsa_float_denorm_mode_16_64 3
		.amdhsa_dx10_clamp 1
		.amdhsa_ieee_mode 1
		.amdhsa_fp16_overflow 0
		.amdhsa_workgroup_processor_mode 1
		.amdhsa_memory_ordered 1
		.amdhsa_forward_progress 0
		.amdhsa_shared_vgpr_count 0
		.amdhsa_exception_fp_ieee_invalid_op 0
		.amdhsa_exception_fp_denorm_src 0
		.amdhsa_exception_fp_ieee_div_zero 0
		.amdhsa_exception_fp_ieee_overflow 0
		.amdhsa_exception_fp_ieee_underflow 0
		.amdhsa_exception_fp_ieee_inexact 0
		.amdhsa_exception_int_div_zero 0
	.end_amdhsa_kernel
	.section	.text._ZL18flash_attn_ext_f16ILi96ELi96ELi16ELi4ELb1ELb0EEvPKcS1_S1_S1_S1_PKiPfP15HIP_vector_typeIfLj2EEffffjfiS5_IjLj3EEiiiiiiiiiiiliiliiiiil,"axG",@progbits,_ZL18flash_attn_ext_f16ILi96ELi96ELi16ELi4ELb1ELb0EEvPKcS1_S1_S1_S1_PKiPfP15HIP_vector_typeIfLj2EEffffjfiS5_IjLj3EEiiiiiiiiiiiliiliiiiil,comdat
.Lfunc_end15:
	.size	_ZL18flash_attn_ext_f16ILi96ELi96ELi16ELi4ELb1ELb0EEvPKcS1_S1_S1_S1_PKiPfP15HIP_vector_typeIfLj2EEffffjfiS5_IjLj3EEiiiiiiiiiiiliiliiiiil, .Lfunc_end15-_ZL18flash_attn_ext_f16ILi96ELi96ELi16ELi4ELb1ELb0EEvPKcS1_S1_S1_S1_PKiPfP15HIP_vector_typeIfLj2EEffffjfiS5_IjLj3EEiiiiiiiiiiiliiliiiiil
                                        ; -- End function
	.section	.AMDGPU.csdata,"",@progbits
; Kernel info:
; codeLenInByte = 52
; NumSgprs: 36
; NumVgprs: 37
; ScratchSize: 16
; MemoryBound: 0
; FloatMode: 240
; IeeeMode: 1
; LDSByteSize: 0 bytes/workgroup (compile time only)
; SGPRBlocks: 4
; VGPRBlocks: 4
; NumSGPRsForWavesPerEU: 36
; NumVGPRsForWavesPerEU: 37
; Occupancy: 16
; WaveLimiterHint : 1
; COMPUTE_PGM_RSRC2:SCRATCH_EN: 1
; COMPUTE_PGM_RSRC2:USER_SGPR: 15
; COMPUTE_PGM_RSRC2:TRAP_HANDLER: 0
; COMPUTE_PGM_RSRC2:TGID_X_EN: 1
; COMPUTE_PGM_RSRC2:TGID_Y_EN: 0
; COMPUTE_PGM_RSRC2:TGID_Z_EN: 0
; COMPUTE_PGM_RSRC2:TIDIG_COMP_CNT: 0
	.section	.text._ZL33flash_attn_stream_k_fixup_uniformILi96ELi16ELi4EEvPfPK15HIP_vector_typeIfLj2EEiiiiiiS1_IjLj3EES5_S5_,"axG",@progbits,_ZL33flash_attn_stream_k_fixup_uniformILi96ELi16ELi4EEvPfPK15HIP_vector_typeIfLj2EEiiiiiiS1_IjLj3EES5_S5_,comdat
	.globl	_ZL33flash_attn_stream_k_fixup_uniformILi96ELi16ELi4EEvPfPK15HIP_vector_typeIfLj2EEiiiiiiS1_IjLj3EES5_S5_ ; -- Begin function _ZL33flash_attn_stream_k_fixup_uniformILi96ELi16ELi4EEvPfPK15HIP_vector_typeIfLj2EEiiiiiiS1_IjLj3EES5_S5_
	.p2align	8
	.type	_ZL33flash_attn_stream_k_fixup_uniformILi96ELi16ELi4EEvPfPK15HIP_vector_typeIfLj2EEiiiiiiS1_IjLj3EES5_S5_,@function
_ZL33flash_attn_stream_k_fixup_uniformILi96ELi16ELi4EEvPfPK15HIP_vector_typeIfLj2EEiiiiiiS1_IjLj3EES5_S5_: ; @_ZL33flash_attn_stream_k_fixup_uniformILi96ELi16ELi4EEvPfPK15HIP_vector_typeIfLj2EEiiiiiiS1_IjLj3EES5_S5_
; %bb.0:
	s_clause 0x1
	s_load_b256 s[4:11], s[0:1], 0x1c
	s_load_b128 s[16:19], s[0:1], 0x3c
	s_waitcnt lgkmcnt(0)
	s_mul_hi_u32 s2, s7, s13
	s_delay_alu instid0(SALU_CYCLE_1) | instskip(NEXT) | instid1(SALU_CYCLE_1)
	s_add_i32 s2, s13, s2
	s_lshr_b32 s2, s2, s8
	s_delay_alu instid0(SALU_CYCLE_1) | instskip(SKIP_2) | instid1(SALU_CYCLE_1)
	s_mul_i32 s3, s2, s9
	s_load_b64 s[8:9], s[0:1], 0x10
	s_sub_i32 s3, s13, s3
	s_mul_hi_u32 s7, s3, s10
	s_delay_alu instid0(SALU_CYCLE_1) | instskip(NEXT) | instid1(SALU_CYCLE_1)
	s_add_i32 s7, s3, s7
	s_lshr_b32 s7, s7, s11
	s_delay_alu instid0(SALU_CYCLE_1) | instskip(NEXT) | instid1(SALU_CYCLE_1)
	s_mul_i32 s10, s7, s16
	s_sub_i32 s3, s3, s10
	s_delay_alu instid0(SALU_CYCLE_1) | instskip(NEXT) | instid1(SALU_CYCLE_1)
	s_mul_hi_u32 s10, s3, s17
	s_add_i32 s10, s3, s10
	s_delay_alu instid0(SALU_CYCLE_1) | instskip(NEXT) | instid1(SALU_CYCLE_1)
	s_lshr_b32 s11, s10, s18
	s_mul_i32 s10, s11, s19
	s_lshl_b32 s11, s11, 2
	s_sub_i32 s10, s3, s10
	s_delay_alu instid0(SALU_CYCLE_1) | instskip(NEXT) | instid1(SALU_CYCLE_1)
	s_lshl_b32 s3, s10, 4
	s_add_i32 s3, s3, s14
	s_waitcnt lgkmcnt(0)
	s_cmp_lt_i32 s3, s8
	s_cselect_b32 s3, -1, 0
	s_add_i32 s11, s11, s15
	s_delay_alu instid0(SALU_CYCLE_1) | instskip(SKIP_1) | instid1(SALU_CYCLE_1)
	s_cmp_lt_i32 s11, s5
	s_cselect_b32 s12, -1, 0
	s_and_b32 s3, s3, s12
	s_delay_alu instid0(SALU_CYCLE_1)
	s_and_not1_b32 vcc_lo, exec_lo, s3
	s_cbranch_vccnz .LBB16_6
; %bb.1:
	s_mul_i32 s8, s2, s8
	s_mul_i32 s7, s7, s5
	s_add_i32 s8, s8, s14
	s_add_i32 s5, s11, s7
	s_mul_i32 s8, s8, s9
	s_load_b128 s[0:3], s[0:1], 0x0
	s_mul_i32 s7, s9, s10
	s_add_i32 s5, s5, s8
	s_mulk_i32 s7, 0x600
	s_mulk_i32 s5, 0x60
	s_lshl_b32 s9, s14, 2
	v_add3_u32 v1, s5, s7, v0
	s_mul_i32 s5, s13, s6
	s_delay_alu instid0(SALU_CYCLE_1) | instskip(NEXT) | instid1(VALU_DEP_1)
	s_add_i32 s10, s5, s6
	v_ashrrev_i32_e32 v2, 31, v1
	s_delay_alu instid0(VALU_DEP_1) | instskip(SKIP_1) | instid1(VALU_DEP_1)
	v_lshlrev_b64 v[1:2], 2, v[1:2]
	s_waitcnt lgkmcnt(0)
	v_add_co_u32 v1, vcc_lo, s0, v1
	s_delay_alu instid0(VALU_DEP_2) | instskip(SKIP_4) | instid1(SALU_CYCLE_1)
	v_add_co_ci_u32_e32 v2, vcc_lo, s1, v2, vcc_lo
	s_add_i32 s0, s9, s15
	s_lshl_b32 s1, s10, 6
	global_load_b32 v5, v[1:2], off
	s_add_i32 s0, s0, s1
	s_sub_i32 s0, s0, 64
	s_delay_alu instid0(SALU_CYCLE_1) | instskip(NEXT) | instid1(SALU_CYCLE_1)
	s_ashr_i32 s1, s0, 31
	s_lshl_b64 s[0:1], s[0:1], 3
	s_delay_alu instid0(SALU_CYCLE_1)
	s_add_u32 s0, s2, s0
	s_addc_u32 s1, s3, s1
	s_add_i32 s7, s10, -2
	s_load_b32 s11, s[0:1], 0x4
	s_cmp_lt_i32 s7, s5
	s_cbranch_scc1 .LBB16_4
; %bb.2:
	s_load_b32 s12, s[0:1], 0x0
	s_lshl_b32 s16, s4, 8
	s_mulk_i32 s14, 0x180
	s_ashr_i32 s17, s16, 31
	s_waitcnt lgkmcnt(0)
	v_mov_b32_e32 v6, s11
	s_lshl_b64 s[0:1], s[16:17], 2
	s_delay_alu instid0(SALU_CYCLE_1)
	s_add_u32 s7, s2, s0
	s_addc_u32 s8, s3, s1
	s_add_i32 s13, s13, 1
	s_lshl_b32 s4, s4, 6
	s_mul_i32 s0, s6, s13
	s_mul_i32 s6, s15, 0x60
	s_lshl_b32 s1, s0, 6
	s_mulk_i32 s0, 0x1800
	s_add_i32 s6, s6, s14
	s_add_i32 s1, s15, s1
	;; [unrolled: 1-line block ×4, first 2 shown]
	v_add3_u32 v3, s6, v0, 0xffffd000
	v_mov_b32_e32 v0, s12
	s_add_i32 s0, s0, s9
	s_add_i32 s4, s10, -1
	s_addk_i32 s0, 0xff80
.LBB16_3:                               ; =>This Inner Loop Header: Depth=1
	s_delay_alu instid0(VALU_DEP_2) | instskip(SKIP_1) | instid1(SALU_CYCLE_1)
	v_ashrrev_i32_e32 v4, 31, v3
	s_ashr_i32 s1, s0, 31
	s_lshl_b64 s[10:11], s[0:1], 3
	s_delay_alu instid0(SALU_CYCLE_1) | instskip(NEXT) | instid1(VALU_DEP_1)
	s_add_u32 s10, s2, s10
	v_lshlrev_b64 v[7:8], 2, v[3:4]
	s_addc_u32 s11, s3, s11
	s_add_i32 s4, s4, -1
	s_sub_i32 s0, s0, 64
	s_cmp_le_i32 s4, s5
	s_load_b64 s[10:11], s[10:11], 0x0
	v_add_co_u32 v7, vcc_lo, s7, v7
	v_add_co_ci_u32_e32 v8, vcc_lo, s8, v8, vcc_lo
	global_load_b32 v4, v[7:8], off
	v_max_f32_e32 v7, v0, v0
	s_waitcnt lgkmcnt(0)
	v_max_f32_e64 v8, s10, s10
	s_delay_alu instid0(VALU_DEP_1) | instskip(NEXT) | instid1(VALU_DEP_1)
	v_max_f32_e32 v7, v7, v8
	v_sub_f32_e32 v8, s10, v7
	s_delay_alu instid0(VALU_DEP_1) | instskip(NEXT) | instid1(VALU_DEP_1)
	v_dual_sub_f32 v0, v0, v7 :: v_dual_mul_f32 v9, 0x3fb8aa3b, v8
	v_fma_f32 v10, 0x3fb8aa3b, v8, -v9
	v_rndne_f32_e32 v11, v9
	s_delay_alu instid0(VALU_DEP_3) | instskip(NEXT) | instid1(VALU_DEP_2)
	v_mul_f32_e32 v12, 0x3fb8aa3b, v0
	v_dual_fmac_f32 v10, 0x32a5705f, v8 :: v_dual_sub_f32 v9, v9, v11
	v_cvt_i32_f32_e32 v11, v11
	s_delay_alu instid0(VALU_DEP_3) | instskip(SKIP_1) | instid1(VALU_DEP_4)
	v_fma_f32 v13, 0x3fb8aa3b, v0, -v12
	v_rndne_f32_e32 v14, v12
	v_add_f32_e32 v9, v9, v10
	v_cmp_ngt_f32_e32 vcc_lo, 0xc2ce8ed0, v8
	s_delay_alu instid0(VALU_DEP_3) | instskip(NEXT) | instid1(VALU_DEP_3)
	v_sub_f32_e32 v10, v12, v14
	v_exp_f32_e32 v9, v9
	s_waitcnt_depctr 0xfff
	v_ldexp_f32 v9, v9, v11
	v_cvt_i32_f32_e32 v11, v14
	s_delay_alu instid0(VALU_DEP_2) | instskip(SKIP_1) | instid1(VALU_DEP_2)
	v_cndmask_b32_e32 v9, 0, v9, vcc_lo
	v_cmp_nlt_f32_e32 vcc_lo, 0x42b17218, v8
	v_cndmask_b32_e32 v9, 0x7f800000, v9, vcc_lo
	v_cmp_ngt_f32_e32 vcc_lo, 0xc2ce8ed0, v0
	v_fmac_f32_e32 v13, 0x32a5705f, v0
	s_delay_alu instid0(VALU_DEP_1) | instskip(NEXT) | instid1(VALU_DEP_1)
	v_add_f32_e32 v10, v10, v13
	v_exp_f32_e32 v10, v10
	s_waitcnt_depctr 0xfff
	v_ldexp_f32 v10, v10, v11
	s_delay_alu instid0(VALU_DEP_1)
	v_dual_mov_b32 v11, v6 :: v_dual_cndmask_b32 v10, 0, v10
	v_cmp_le_f32_e32 vcc_lo, 0xc1a00000, v8
	s_waitcnt vmcnt(1)
	v_dual_cndmask_b32 v8, 0, v9 :: v_dual_mov_b32 v9, v5
	v_cmp_nlt_f32_e32 vcc_lo, 0x42b17218, v0
	v_cndmask_b32_e32 v5, 0x7f800000, v10, vcc_lo
	s_delay_alu instid0(VALU_DEP_3) | instskip(SKIP_2) | instid1(VALU_DEP_3)
	v_mul_f32_e32 v10, s11, v8
	v_cmp_le_f32_e32 vcc_lo, 0xc1a00000, v0
	v_mov_b32_e32 v0, v7
	v_mov_b32_e32 v6, v10
	s_waitcnt vmcnt(0)
	v_dual_cndmask_b32 v12, 0, v5 :: v_dual_mul_f32 v5, v4, v8
	s_delay_alu instid0(VALU_DEP_1) | instskip(NEXT) | instid1(VALU_DEP_2)
	v_dual_fmac_f32 v6, v11, v12 :: v_dual_add_nc_u32 v3, 0xffffe800, v3
	v_fmac_f32_e32 v5, v9, v12
	s_cbranch_scc0 .LBB16_3
	s_branch .LBB16_5
.LBB16_4:
	s_waitcnt lgkmcnt(0)
	v_mov_b32_e32 v6, s11
.LBB16_5:
	s_waitcnt vmcnt(0)
	s_delay_alu instid0(VALU_DEP_1) | instskip(NEXT) | instid1(VALU_DEP_1)
	v_div_scale_f32 v0, null, v6, v6, v5
	v_rcp_f32_e32 v3, v0
	s_waitcnt_depctr 0xfff
	v_fma_f32 v4, -v0, v3, 1.0
	s_delay_alu instid0(VALU_DEP_1) | instskip(SKIP_1) | instid1(VALU_DEP_1)
	v_fmac_f32_e32 v3, v4, v3
	v_div_scale_f32 v4, vcc_lo, v5, v6, v5
	v_mul_f32_e32 v7, v4, v3
	s_delay_alu instid0(VALU_DEP_1) | instskip(NEXT) | instid1(VALU_DEP_1)
	v_fma_f32 v8, -v0, v7, v4
	v_fmac_f32_e32 v7, v8, v3
	s_delay_alu instid0(VALU_DEP_1) | instskip(NEXT) | instid1(VALU_DEP_1)
	v_fma_f32 v0, -v0, v7, v4
	v_div_fmas_f32 v0, v0, v3, v7
	s_delay_alu instid0(VALU_DEP_1)
	v_div_fixup_f32 v0, v0, v6, v5
	global_store_b32 v[1:2], v0, off
.LBB16_6:
	s_nop 0
	s_sendmsg sendmsg(MSG_DEALLOC_VGPRS)
	s_endpgm
	.section	.rodata,"a",@progbits
	.p2align	6, 0x0
	.amdhsa_kernel _ZL33flash_attn_stream_k_fixup_uniformILi96ELi16ELi4EEvPfPK15HIP_vector_typeIfLj2EEiiiiiiS1_IjLj3EES5_S5_
		.amdhsa_group_segment_fixed_size 0
		.amdhsa_private_segment_fixed_size 0
		.amdhsa_kernarg_size 76
		.amdhsa_user_sgpr_count 13
		.amdhsa_user_sgpr_dispatch_ptr 0
		.amdhsa_user_sgpr_queue_ptr 0
		.amdhsa_user_sgpr_kernarg_segment_ptr 1
		.amdhsa_user_sgpr_dispatch_id 0
		.amdhsa_user_sgpr_private_segment_size 0
		.amdhsa_wavefront_size32 1
		.amdhsa_uses_dynamic_stack 0
		.amdhsa_enable_private_segment 0
		.amdhsa_system_sgpr_workgroup_id_x 1
		.amdhsa_system_sgpr_workgroup_id_y 1
		.amdhsa_system_sgpr_workgroup_id_z 1
		.amdhsa_system_sgpr_workgroup_info 0
		.amdhsa_system_vgpr_workitem_id 0
		.amdhsa_next_free_vgpr 15
		.amdhsa_next_free_sgpr 20
		.amdhsa_reserve_vcc 1
		.amdhsa_float_round_mode_32 0
		.amdhsa_float_round_mode_16_64 0
		.amdhsa_float_denorm_mode_32 3
		.amdhsa_float_denorm_mode_16_64 3
		.amdhsa_dx10_clamp 1
		.amdhsa_ieee_mode 1
		.amdhsa_fp16_overflow 0
		.amdhsa_workgroup_processor_mode 1
		.amdhsa_memory_ordered 1
		.amdhsa_forward_progress 0
		.amdhsa_shared_vgpr_count 0
		.amdhsa_exception_fp_ieee_invalid_op 0
		.amdhsa_exception_fp_denorm_src 0
		.amdhsa_exception_fp_ieee_div_zero 0
		.amdhsa_exception_fp_ieee_overflow 0
		.amdhsa_exception_fp_ieee_underflow 0
		.amdhsa_exception_fp_ieee_inexact 0
		.amdhsa_exception_int_div_zero 0
	.end_amdhsa_kernel
	.section	.text._ZL33flash_attn_stream_k_fixup_uniformILi96ELi16ELi4EEvPfPK15HIP_vector_typeIfLj2EEiiiiiiS1_IjLj3EES5_S5_,"axG",@progbits,_ZL33flash_attn_stream_k_fixup_uniformILi96ELi16ELi4EEvPfPK15HIP_vector_typeIfLj2EEiiiiiiS1_IjLj3EES5_S5_,comdat
.Lfunc_end16:
	.size	_ZL33flash_attn_stream_k_fixup_uniformILi96ELi16ELi4EEvPfPK15HIP_vector_typeIfLj2EEiiiiiiS1_IjLj3EES5_S5_, .Lfunc_end16-_ZL33flash_attn_stream_k_fixup_uniformILi96ELi16ELi4EEvPfPK15HIP_vector_typeIfLj2EEiiiiiiS1_IjLj3EES5_S5_
                                        ; -- End function
	.section	.AMDGPU.csdata,"",@progbits
; Kernel info:
; codeLenInByte = 992
; NumSgprs: 22
; NumVgprs: 15
; ScratchSize: 0
; MemoryBound: 0
; FloatMode: 240
; IeeeMode: 1
; LDSByteSize: 0 bytes/workgroup (compile time only)
; SGPRBlocks: 2
; VGPRBlocks: 1
; NumSGPRsForWavesPerEU: 22
; NumVGPRsForWavesPerEU: 15
; Occupancy: 16
; WaveLimiterHint : 0
; COMPUTE_PGM_RSRC2:SCRATCH_EN: 0
; COMPUTE_PGM_RSRC2:USER_SGPR: 13
; COMPUTE_PGM_RSRC2:TRAP_HANDLER: 0
; COMPUTE_PGM_RSRC2:TGID_X_EN: 1
; COMPUTE_PGM_RSRC2:TGID_Y_EN: 1
; COMPUTE_PGM_RSRC2:TGID_Z_EN: 1
; COMPUTE_PGM_RSRC2:TIDIG_COMP_CNT: 0
	.section	.text._ZL33flash_attn_stream_k_fixup_generalILi96ELi16ELi4EEvPfPK15HIP_vector_typeIfLj2EEiiiiS1_IjLj3EES5_S5_S5_,"axG",@progbits,_ZL33flash_attn_stream_k_fixup_generalILi96ELi16ELi4EEvPfPK15HIP_vector_typeIfLj2EEiiiiS1_IjLj3EES5_S5_S5_,comdat
	.globl	_ZL33flash_attn_stream_k_fixup_generalILi96ELi16ELi4EEvPfPK15HIP_vector_typeIfLj2EEiiiiS1_IjLj3EES5_S5_S5_ ; -- Begin function _ZL33flash_attn_stream_k_fixup_generalILi96ELi16ELi4EEvPfPK15HIP_vector_typeIfLj2EEiiiiS1_IjLj3EES5_S5_S5_
	.p2align	8
	.type	_ZL33flash_attn_stream_k_fixup_generalILi96ELi16ELi4EEvPfPK15HIP_vector_typeIfLj2EEiiiiS1_IjLj3EES5_S5_S5_,@function
_ZL33flash_attn_stream_k_fixup_generalILi96ELi16ELi4EEvPfPK15HIP_vector_typeIfLj2EEiiiiS1_IjLj3EES5_S5_S5_: ; @_ZL33flash_attn_stream_k_fixup_generalILi96ELi16ELi4EEvPfPK15HIP_vector_typeIfLj2EEiiiiS1_IjLj3EES5_S5_S5_
; %bb.0:
	s_clause 0x1
	s_load_b128 s[4:7], s[0:1], 0x10
	s_load_b32 s20, s[0:1], 0x50
	s_mov_b32 s2, 0
	s_waitcnt lgkmcnt(0)
	s_mul_hi_i32 s3, s7, s13
	s_mul_i32 s12, s7, s13
	s_cmp_lg_u64 s[2:3], 0
	s_cbranch_scc0 .LBB17_21
; %bb.1:
	v_cvt_f32_ubyte0_e32 v1, 0
	v_cvt_f32_u32_e32 v2, s20
	s_sub_u32 s10, 0, s20
	s_subb_u32 s11, 0, 0
	s_delay_alu instid0(VALU_DEP_1) | instskip(NEXT) | instid1(VALU_DEP_1)
	v_fmamk_f32 v1, v1, 0x4f800000, v2
	v_rcp_f32_e32 v1, v1
	s_waitcnt_depctr 0xfff
	v_mul_f32_e32 v1, 0x5f7ffffc, v1
	s_delay_alu instid0(VALU_DEP_1) | instskip(NEXT) | instid1(VALU_DEP_1)
	v_mul_f32_e32 v2, 0x2f800000, v1
	v_trunc_f32_e32 v2, v2
	s_delay_alu instid0(VALU_DEP_1) | instskip(SKIP_1) | instid1(VALU_DEP_2)
	v_fmamk_f32 v1, v2, 0xcf800000, v1
	v_cvt_u32_f32_e32 v2, v2
	v_cvt_u32_f32_e32 v1, v1
	s_delay_alu instid0(VALU_DEP_2) | instskip(NEXT) | instid1(VALU_DEP_2)
	v_readfirstlane_b32 s8, v2
	v_readfirstlane_b32 s9, v1
	s_delay_alu instid0(VALU_DEP_2) | instskip(NEXT) | instid1(VALU_DEP_1)
	s_mul_i32 s16, s10, s8
	s_mul_hi_u32 s18, s10, s9
	s_mul_i32 s17, s11, s9
	s_add_i32 s16, s18, s16
	s_mul_i32 s19, s10, s9
	s_add_i32 s16, s16, s17
	s_mul_hi_u32 s18, s9, s19
	s_mul_hi_u32 s21, s8, s19
	s_mul_i32 s17, s8, s19
	s_mul_hi_u32 s19, s9, s16
	s_mul_i32 s9, s9, s16
	s_mul_hi_u32 s22, s8, s16
	s_add_u32 s9, s18, s9
	s_addc_u32 s18, 0, s19
	s_add_u32 s9, s9, s17
	s_mul_i32 s16, s8, s16
	s_addc_u32 s9, s18, s21
	s_addc_u32 s17, s22, 0
	s_add_u32 s9, s9, s16
	s_addc_u32 s16, 0, s17
	v_add_co_u32 v1, s9, v1, s9
	s_delay_alu instid0(VALU_DEP_1) | instskip(SKIP_1) | instid1(VALU_DEP_1)
	s_cmp_lg_u32 s9, 0
	s_addc_u32 s8, s8, s16
	v_readfirstlane_b32 s9, v1
	s_mul_i32 s16, s10, s8
	s_delay_alu instid0(VALU_DEP_1)
	s_mul_hi_u32 s17, s10, s9
	s_mul_i32 s11, s11, s9
	s_add_i32 s16, s17, s16
	s_mul_i32 s10, s10, s9
	s_add_i32 s16, s16, s11
	s_mul_hi_u32 s17, s8, s10
	s_mul_i32 s18, s8, s10
	s_mul_hi_u32 s10, s9, s10
	s_mul_hi_u32 s19, s9, s16
	s_mul_i32 s9, s9, s16
	s_mul_hi_u32 s11, s8, s16
	s_add_u32 s9, s10, s9
	s_addc_u32 s10, 0, s19
	s_add_u32 s9, s9, s18
	s_mul_i32 s16, s8, s16
	s_addc_u32 s9, s10, s17
	s_addc_u32 s10, s11, 0
	s_add_u32 s9, s9, s16
	s_addc_u32 s10, 0, s10
	v_add_co_u32 v1, s9, v1, s9
	s_delay_alu instid0(VALU_DEP_1) | instskip(SKIP_2) | instid1(SALU_CYCLE_1)
	s_cmp_lg_u32 s9, 0
	s_addc_u32 s16, s8, s10
	s_ashr_i32 s8, s3, 31
	s_add_u32 s10, s12, s8
	s_addc_u32 s11, s3, s8
	v_readfirstlane_b32 s3, v1
	s_mov_b32 s9, s8
	s_delay_alu instid0(SALU_CYCLE_1) | instskip(NEXT) | instid1(SALU_CYCLE_1)
	s_xor_b64 s[10:11], s[10:11], s[8:9]
	s_mul_i32 s18, s10, s16
	s_delay_alu instid0(VALU_DEP_1)
	s_mul_hi_u32 s19, s10, s3
	s_mul_hi_u32 s17, s10, s16
	;; [unrolled: 1-line block ×3, first 2 shown]
	s_mul_i32 s3, s11, s3
	s_add_u32 s18, s19, s18
	s_addc_u32 s17, 0, s17
	s_mul_hi_u32 s21, s11, s16
	s_add_u32 s3, s18, s3
	s_mul_i32 s16, s11, s16
	s_addc_u32 s3, s17, s22
	s_addc_u32 s17, s21, 0
	s_add_u32 s3, s3, s16
	s_addc_u32 s16, 0, s17
	s_mul_i32 s18, s20, s3
	s_add_u32 s17, s3, 1
	v_sub_co_u32 v1, s10, s10, s18
	s_mul_hi_u32 s18, s20, s3
	s_addc_u32 s19, s16, 0
	s_mul_i32 s21, s20, s16
	s_delay_alu instid0(VALU_DEP_1)
	v_sub_co_u32 v2, s22, v1, s20
	s_add_u32 s23, s3, 2
	s_addc_u32 s24, s16, 0
	s_add_i32 s18, s18, s21
	s_cmp_lg_u32 s10, 0
	v_readfirstlane_b32 s10, v2
	s_subb_u32 s11, s11, s18
	s_cmp_lg_u32 s22, 0
	s_subb_u32 s18, s11, 0
	s_delay_alu instid0(VALU_DEP_1) | instskip(SKIP_4) | instid1(SALU_CYCLE_1)
	s_cmp_ge_u32 s10, s20
	s_cselect_b32 s10, -1, 0
	s_cmp_eq_u32 s18, 0
	v_readfirstlane_b32 s18, v1
	s_cselect_b32 s10, s10, -1
	s_cmp_lg_u32 s10, 0
	s_cselect_b32 s10, s23, s17
	s_cselect_b32 s17, s24, s19
	s_cmp_ge_u32 s18, s20
	s_cselect_b32 s18, -1, 0
	s_cmp_eq_u32 s11, 0
	s_cselect_b32 s11, s18, -1
	s_delay_alu instid0(SALU_CYCLE_1) | instskip(SKIP_2) | instid1(SALU_CYCLE_1)
	s_cmp_lg_u32 s11, 0
	s_cselect_b32 s11, s17, s16
	s_cselect_b32 s10, s10, s3
	s_xor_b64 s[10:11], s[10:11], s[8:9]
	s_delay_alu instid0(SALU_CYCLE_1)
	s_sub_u32 s16, s10, s8
	s_load_b128 s[8:11], s[0:1], 0x44
	s_and_not1_b32 vcc_lo, exec_lo, s2
	s_cbranch_vccnz .LBB17_3
.LBB17_2:
	v_cvt_f32_u32_e32 v1, s20
	s_sub_i32 s3, 0, s20
	s_delay_alu instid0(VALU_DEP_1) | instskip(SKIP_2) | instid1(VALU_DEP_1)
	v_rcp_iflag_f32_e32 v1, v1
	s_waitcnt_depctr 0xfff
	v_mul_f32_e32 v1, 0x4f7ffffe, v1
	v_cvt_u32_f32_e32 v1, v1
	s_delay_alu instid0(VALU_DEP_1) | instskip(NEXT) | instid1(VALU_DEP_1)
	v_readfirstlane_b32 s2, v1
	s_mul_i32 s3, s3, s2
	s_delay_alu instid0(SALU_CYCLE_1) | instskip(NEXT) | instid1(SALU_CYCLE_1)
	s_mul_hi_u32 s3, s2, s3
	s_add_i32 s2, s2, s3
	s_delay_alu instid0(SALU_CYCLE_1) | instskip(NEXT) | instid1(SALU_CYCLE_1)
	s_mul_hi_u32 s2, s12, s2
	s_mul_i32 s3, s2, s20
	s_waitcnt lgkmcnt(0)
	s_add_i32 s11, s2, 1
	s_sub_i32 s3, s12, s3
	s_delay_alu instid0(SALU_CYCLE_1)
	s_sub_i32 s12, s3, s20
	s_cmp_ge_u32 s3, s20
	s_cselect_b32 s2, s11, s2
	s_cselect_b32 s3, s12, s3
	s_add_i32 s11, s2, 1
	s_cmp_ge_u32 s3, s20
	s_cselect_b32 s16, s11, s2
.LBB17_3:
	s_waitcnt lgkmcnt(0)
	s_add_i32 s11, s13, 1
	s_mov_b32 s2, 0
	s_mul_hi_i32 s3, s7, s11
	s_mul_i32 s11, s7, s11
	s_cmp_lg_u64 s[2:3], 0
	s_cbranch_scc0 .LBB17_22
; %bb.4:
	v_cvt_f32_ubyte0_e32 v1, 0
	v_cvt_f32_u32_e32 v2, s20
	s_sub_u32 s18, 0, s20
	s_subb_u32 s19, 0, 0
	s_delay_alu instid0(VALU_DEP_1) | instskip(NEXT) | instid1(VALU_DEP_1)
	v_fmamk_f32 v1, v1, 0x4f800000, v2
	v_rcp_f32_e32 v1, v1
	s_waitcnt_depctr 0xfff
	v_mul_f32_e32 v1, 0x5f7ffffc, v1
	s_delay_alu instid0(VALU_DEP_1) | instskip(NEXT) | instid1(VALU_DEP_1)
	v_mul_f32_e32 v2, 0x2f800000, v1
	v_trunc_f32_e32 v2, v2
	s_delay_alu instid0(VALU_DEP_1) | instskip(SKIP_1) | instid1(VALU_DEP_2)
	v_fmamk_f32 v1, v2, 0xcf800000, v1
	v_cvt_u32_f32_e32 v2, v2
	v_cvt_u32_f32_e32 v1, v1
	s_delay_alu instid0(VALU_DEP_2) | instskip(NEXT) | instid1(VALU_DEP_2)
	v_readfirstlane_b32 s12, v2
	v_readfirstlane_b32 s17, v1
	s_delay_alu instid0(VALU_DEP_2) | instskip(NEXT) | instid1(VALU_DEP_1)
	s_mul_i32 s21, s18, s12
	s_mul_hi_u32 s23, s18, s17
	s_mul_i32 s22, s19, s17
	s_add_i32 s21, s23, s21
	s_mul_i32 s24, s18, s17
	s_add_i32 s21, s21, s22
	s_mul_hi_u32 s23, s17, s24
	s_mul_hi_u32 s25, s12, s24
	s_mul_i32 s22, s12, s24
	s_mul_hi_u32 s24, s17, s21
	s_mul_i32 s17, s17, s21
	s_mul_hi_u32 s26, s12, s21
	s_add_u32 s17, s23, s17
	s_addc_u32 s23, 0, s24
	s_add_u32 s17, s17, s22
	s_mul_i32 s21, s12, s21
	s_addc_u32 s17, s23, s25
	s_addc_u32 s22, s26, 0
	s_add_u32 s17, s17, s21
	s_addc_u32 s21, 0, s22
	v_add_co_u32 v1, s17, v1, s17
	s_delay_alu instid0(VALU_DEP_1) | instskip(SKIP_1) | instid1(VALU_DEP_1)
	s_cmp_lg_u32 s17, 0
	s_addc_u32 s12, s12, s21
	v_readfirstlane_b32 s17, v1
	s_mul_i32 s21, s18, s12
	s_delay_alu instid0(VALU_DEP_1)
	s_mul_hi_u32 s22, s18, s17
	s_mul_i32 s19, s19, s17
	s_add_i32 s21, s22, s21
	s_mul_i32 s18, s18, s17
	s_add_i32 s21, s21, s19
	s_mul_hi_u32 s22, s12, s18
	s_mul_i32 s23, s12, s18
	s_mul_hi_u32 s18, s17, s18
	s_mul_hi_u32 s24, s17, s21
	s_mul_i32 s17, s17, s21
	s_mul_hi_u32 s19, s12, s21
	s_add_u32 s17, s18, s17
	s_addc_u32 s18, 0, s24
	s_add_u32 s17, s17, s23
	s_mul_i32 s21, s12, s21
	s_addc_u32 s17, s18, s22
	s_addc_u32 s18, s19, 0
	s_add_u32 s17, s17, s21
	s_addc_u32 s18, 0, s18
	v_add_co_u32 v1, s17, v1, s17
	s_delay_alu instid0(VALU_DEP_1) | instskip(SKIP_2) | instid1(SALU_CYCLE_1)
	s_cmp_lg_u32 s17, 0
	s_addc_u32 s12, s12, s18
	s_ashr_i32 s18, s3, 31
	s_add_u32 s22, s11, s18
	s_addc_u32 s23, s3, s18
	v_readfirstlane_b32 s3, v1
	s_mov_b32 s19, s18
	s_delay_alu instid0(SALU_CYCLE_1) | instskip(NEXT) | instid1(SALU_CYCLE_1)
	s_xor_b64 s[22:23], s[22:23], s[18:19]
	s_mul_i32 s21, s22, s12
	s_delay_alu instid0(VALU_DEP_1)
	s_mul_hi_u32 s24, s22, s3
	s_mul_hi_u32 s17, s22, s12
	;; [unrolled: 1-line block ×3, first 2 shown]
	s_mul_i32 s3, s23, s3
	s_add_u32 s21, s24, s21
	s_addc_u32 s17, 0, s17
	s_mul_hi_u32 s25, s23, s12
	s_add_u32 s3, s21, s3
	s_mul_i32 s12, s23, s12
	s_addc_u32 s3, s17, s26
	s_addc_u32 s17, s25, 0
	s_add_u32 s3, s3, s12
	s_addc_u32 s12, 0, s17
	s_mul_i32 s21, s20, s3
	s_add_u32 s17, s3, 1
	v_sub_co_u32 v1, s21, s22, s21
	s_mul_hi_u32 s22, s20, s3
	s_addc_u32 s24, s12, 0
	s_mul_i32 s25, s20, s12
	s_delay_alu instid0(VALU_DEP_1)
	v_sub_co_u32 v2, s26, v1, s20
	s_add_u32 s27, s3, 2
	s_addc_u32 s28, s12, 0
	s_add_i32 s22, s22, s25
	s_cmp_lg_u32 s21, 0
	v_readfirstlane_b32 s21, v2
	s_subb_u32 s22, s23, s22
	s_cmp_lg_u32 s26, 0
	s_subb_u32 s23, s22, 0
	s_delay_alu instid0(VALU_DEP_1) | instskip(SKIP_4) | instid1(SALU_CYCLE_1)
	s_cmp_ge_u32 s21, s20
	s_cselect_b32 s21, -1, 0
	s_cmp_eq_u32 s23, 0
	v_readfirstlane_b32 s23, v1
	s_cselect_b32 s21, s21, -1
	s_cmp_lg_u32 s21, 0
	s_cselect_b32 s17, s27, s17
	s_cselect_b32 s21, s28, s24
	s_cmp_ge_u32 s23, s20
	s_cselect_b32 s23, -1, 0
	s_cmp_eq_u32 s22, 0
	s_cselect_b32 s22, s23, -1
	s_delay_alu instid0(SALU_CYCLE_1) | instskip(SKIP_2) | instid1(SALU_CYCLE_1)
	s_cmp_lg_u32 s22, 0
	s_cselect_b32 s23, s21, s12
	s_cselect_b32 s22, s17, s3
	s_xor_b64 s[22:23], s[22:23], s[18:19]
	s_delay_alu instid0(SALU_CYCLE_1)
	s_sub_u32 s18, s22, s18
	s_and_not1_b32 vcc_lo, exec_lo, s2
	s_cbranch_vccnz .LBB17_6
.LBB17_5:
	v_cvt_f32_u32_e32 v1, s20
	s_sub_i32 s3, 0, s20
	s_delay_alu instid0(VALU_DEP_1) | instskip(SKIP_2) | instid1(VALU_DEP_1)
	v_rcp_iflag_f32_e32 v1, v1
	s_waitcnt_depctr 0xfff
	v_mul_f32_e32 v1, 0x4f7ffffe, v1
	v_cvt_u32_f32_e32 v1, v1
	s_delay_alu instid0(VALU_DEP_1) | instskip(NEXT) | instid1(VALU_DEP_1)
	v_readfirstlane_b32 s2, v1
	s_mul_i32 s3, s3, s2
	s_delay_alu instid0(SALU_CYCLE_1) | instskip(NEXT) | instid1(SALU_CYCLE_1)
	s_mul_hi_u32 s3, s2, s3
	s_add_i32 s2, s2, s3
	s_delay_alu instid0(SALU_CYCLE_1) | instskip(NEXT) | instid1(SALU_CYCLE_1)
	s_mul_hi_u32 s2, s11, s2
	s_mul_i32 s3, s2, s20
	s_delay_alu instid0(SALU_CYCLE_1)
	s_sub_i32 s3, s11, s3
	s_add_i32 s11, s2, 1
	s_sub_i32 s12, s3, s20
	s_cmp_ge_u32 s3, s20
	s_cselect_b32 s2, s11, s2
	s_cselect_b32 s3, s12, s3
	s_add_i32 s11, s2, 1
	s_cmp_ge_u32 s3, s20
	s_cselect_b32 s18, s11, s2
.LBB17_6:
	s_delay_alu instid0(SALU_CYCLE_1) | instskip(SKIP_3) | instid1(SALU_CYCLE_1)
	s_cmp_eq_u32 s16, s18
	s_mul_hi_u32 s2, s16, s8
	s_cselect_b32 s3, -1, 0
	s_add_i32 s2, s2, s16
	s_lshr_b32 s11, s2, s9
	s_delay_alu instid0(SALU_CYCLE_1) | instskip(NEXT) | instid1(SALU_CYCLE_1)
	s_mul_i32 s2, s11, s10
	s_cmp_eq_u32 s2, s16
	s_mul_hi_u32 s2, s18, s8
	s_cselect_b32 s12, -1, 0
	s_add_i32 s2, s2, s18
	s_delay_alu instid0(SALU_CYCLE_1) | instskip(NEXT) | instid1(SALU_CYCLE_1)
	s_lshr_b32 s2, s2, s9
	s_cmp_eq_u32 s11, s2
	s_mul_i32 s2, s2, s10
	s_cselect_b32 s17, -1, 0
	s_cmp_lg_u32 s2, s18
	s_cselect_b32 s2, -1, 0
	s_or_b32 s3, s3, s12
	s_and_b32 s2, s17, s2
	s_delay_alu instid0(SALU_CYCLE_1) | instskip(NEXT) | instid1(SALU_CYCLE_1)
	s_or_b32 s2, s3, s2
	s_and_b32 vcc_lo, exec_lo, s2
	s_cbranch_vccnz .LBB17_24
; %bb.7:
	s_load_b256 s[24:31], s[0:1], 0x20
	s_waitcnt lgkmcnt(0)
	s_mul_hi_u32 s2, s16, s24
	s_delay_alu instid0(SALU_CYCLE_1) | instskip(NEXT) | instid1(SALU_CYCLE_1)
	s_add_i32 s2, s2, s16
	s_lshr_b32 s17, s2, s25
	s_load_b32 s2, s[0:1], 0x40
	s_mul_i32 s3, s17, s26
	s_delay_alu instid0(SALU_CYCLE_1) | instskip(NEXT) | instid1(SALU_CYCLE_1)
	s_sub_i32 s3, s16, s3
	s_mul_hi_u32 s12, s3, s27
	s_delay_alu instid0(SALU_CYCLE_1) | instskip(NEXT) | instid1(SALU_CYCLE_1)
	s_add_i32 s12, s3, s12
	s_lshr_b32 s19, s12, s28
	s_delay_alu instid0(SALU_CYCLE_1) | instskip(NEXT) | instid1(SALU_CYCLE_1)
	s_mul_i32 s12, s19, s29
	s_sub_i32 s3, s3, s12
	s_delay_alu instid0(SALU_CYCLE_1) | instskip(NEXT) | instid1(SALU_CYCLE_1)
	s_mul_hi_u32 s12, s3, s30
	s_add_i32 s12, s3, s12
	s_delay_alu instid0(SALU_CYCLE_1)
	s_lshr_b32 s12, s12, s31
	s_waitcnt lgkmcnt(0)
	s_mul_i32 s2, s12, s2
	s_lshl_b32 s21, s12, 2
	s_sub_i32 s2, s3, s2
	s_mov_b32 s12, 0
	s_mul_hi_u32 s3, s2, s8
	s_delay_alu instid0(SALU_CYCLE_1) | instskip(NEXT) | instid1(SALU_CYCLE_1)
	s_add_i32 s2, s2, s3
	s_lshr_b32 s18, s2, s9
	s_delay_alu instid0(SALU_CYCLE_1) | instskip(NEXT) | instid1(SALU_CYCLE_1)
	s_lshl_b32 s2, s18, 4
	s_add_i32 s2, s2, s14
	s_delay_alu instid0(SALU_CYCLE_1) | instskip(SKIP_2) | instid1(SALU_CYCLE_1)
	s_cmp_lt_i32 s2, s4
	s_cselect_b32 s2, -1, 0
	s_add_i32 s21, s21, s15
	s_cmp_lt_i32 s21, s6
	s_cselect_b32 s3, -1, 0
	s_delay_alu instid0(SALU_CYCLE_1) | instskip(NEXT) | instid1(SALU_CYCLE_1)
	s_and_b32 s2, s2, s3
	s_and_not1_b32 vcc_lo, exec_lo, s2
	s_cbranch_vccnz .LBB17_24
; %bb.8:
	s_load_b128 s[0:3], s[0:1], 0x0
	s_lshl_b32 s22, s20, 8
	s_mov_b32 s23, s12
	s_lshl_b32 s24, s14, 2
	s_lshl_b64 s[22:23], s[22:23], 2
	s_mul_i32 s19, s19, s6
	s_mul_i32 s4, s17, s4
	s_add_i32 s6, s24, s15
	v_cvt_f32_ubyte0_e32 v3, 0
	v_cvt_f32_u32_e32 v4, s20
	s_waitcnt lgkmcnt(0)
	s_add_u32 s15, s2, s22
	s_addc_u32 s17, s3, s23
	s_add_i32 s4, s4, s14
	s_add_i32 s14, s21, s19
	s_mul_i32 s4, s4, s5
	s_mul_i32 s5, s5, s18
	s_add_i32 s4, s14, s4
	s_mulk_i32 s5, 0x600
	s_mulk_i32 s4, 0x60
	s_delay_alu instid0(SALU_CYCLE_1) | instskip(NEXT) | instid1(VALU_DEP_1)
	v_add3_u32 v1, s5, s4, v0
	v_ashrrev_i32_e32 v2, 31, v1
	s_delay_alu instid0(VALU_DEP_1) | instskip(NEXT) | instid1(VALU_DEP_1)
	v_lshlrev_b64 v[1:2], 2, v[1:2]
	v_add_co_u32 v1, vcc_lo, s0, v1
	s_delay_alu instid0(VALU_DEP_2) | instskip(SKIP_1) | instid1(SALU_CYCLE_1)
	v_add_co_ci_u32_e32 v2, vcc_lo, s1, v2, vcc_lo
	s_lshl_b32 s0, s13, 6
	s_add_i32 s0, s6, s0
	global_load_b32 v5, v[1:2], off
	s_ashr_i32 s1, s0, 31
	s_delay_alu instid0(SALU_CYCLE_1) | instskip(NEXT) | instid1(SALU_CYCLE_1)
	s_lshl_b64 s[0:1], s[0:1], 3
	s_add_u32 s0, s2, s0
	s_addc_u32 s1, s3, s1
	s_add_i32 s18, s13, -1
	s_load_b64 s[0:1], s[0:1], 0x0
	v_fmac_f32_e32 v4, 0x4f800000, v3
	s_sub_i32 s14, 0, s20
	s_delay_alu instid0(VALU_DEP_1)
	v_rcp_f32_e32 v3, v4
	s_waitcnt_depctr 0xfff
	v_mul_f32_e32 v6, 0x5f7ffffc, v3
	v_cvt_f32_u32_e32 v3, s20
	s_waitcnt lgkmcnt(0)
	v_mov_b32_e32 v8, s0
	s_delay_alu instid0(VALU_DEP_3) | instskip(NEXT) | instid1(VALU_DEP_3)
	v_mul_f32_e32 v4, 0x2f800000, v6
	v_rcp_iflag_f32_e32 v7, v3
	s_delay_alu instid0(VALU_DEP_1) | instskip(SKIP_1) | instid1(VALU_DEP_2)
	v_trunc_f32_e32 v9, v4
	v_mad_u64_u32 v[3:4], null, 0x60, s6, v[0:1]
	v_fmac_f32_e32 v6, 0xcf800000, v9
	s_waitcnt_depctr 0xfff
	v_dual_mul_f32 v10, 0x4f7ffffe, v7 :: v_dual_mov_b32 v7, s1
	v_cvt_u32_f32_e32 v4, v9
	v_cvt_u32_f32_e32 v0, v6
	s_delay_alu instid0(VALU_DEP_3)
	v_cvt_u32_f32_e32 v6, v10
.LBB17_9:                               ; =>This Inner Loop Header: Depth=1
	s_mul_hi_i32 s13, s18, s7
	s_mul_i32 s4, s18, s7
	s_cmp_lg_u64 s[12:13], 0
	s_mov_b32 s5, -1
                                        ; implicit-def: $sgpr0_sgpr1
	s_cbranch_scc0 .LBB17_11
; %bb.10:                               ;   in Loop: Header=BB17_9 Depth=1
	v_readfirstlane_b32 s0, v0
	v_readfirstlane_b32 s1, v4
	s_sub_u32 s5, 0, s20
	s_subb_u32 s19, 0, 0
	s_delay_alu instid0(VALU_DEP_2) | instskip(NEXT) | instid1(VALU_DEP_1)
	s_mul_hi_u32 s21, s5, s0
	s_mul_i32 s22, s5, s1
	s_mul_i32 s23, s19, s0
	s_add_i32 s21, s21, s22
	s_mul_i32 s22, s5, s0
	s_add_i32 s21, s21, s23
	s_mul_hi_u32 s23, s0, s22
	s_mul_i32 s24, s0, s21
	s_mul_hi_u32 s0, s0, s21
	s_add_u32 s23, s23, s24
	s_mul_i32 s25, s1, s22
	s_addc_u32 s0, 0, s0
	s_mul_hi_u32 s22, s1, s22
	s_mul_hi_u32 s24, s1, s21
	s_add_u32 s23, s23, s25
	s_addc_u32 s0, s0, s22
	s_mul_i32 s21, s1, s21
	s_addc_u32 s22, s24, 0
	s_add_u32 s0, s0, s21
	s_addc_u32 s21, 0, s22
	v_add_co_u32 v9, s0, v0, s0
	s_delay_alu instid0(VALU_DEP_1) | instskip(SKIP_1) | instid1(VALU_DEP_1)
	s_cmp_lg_u32 s0, 0
	s_addc_u32 s1, s1, s21
	v_readfirstlane_b32 s0, v9
	s_mul_i32 s21, s5, s1
	s_delay_alu instid0(VALU_DEP_1)
	s_mul_hi_u32 s22, s5, s0
	s_mul_i32 s19, s19, s0
	s_add_i32 s21, s22, s21
	s_mul_i32 s5, s5, s0
	s_add_i32 s21, s21, s19
	s_mul_hi_u32 s19, s1, s5
	s_mul_i32 s23, s1, s5
	s_mul_i32 s24, s0, s21
	s_mul_hi_u32 s5, s0, s5
	s_mul_hi_u32 s0, s0, s21
	s_add_u32 s5, s5, s24
	s_addc_u32 s0, 0, s0
	s_mul_hi_u32 s22, s1, s21
	s_add_u32 s5, s5, s23
	s_addc_u32 s0, s0, s19
	s_mul_i32 s5, s1, s21
	s_addc_u32 s19, s22, 0
	s_add_u32 s0, s0, s5
	s_addc_u32 s5, 0, s19
	v_add_co_u32 v9, s0, v9, s0
	s_delay_alu instid0(VALU_DEP_1) | instskip(SKIP_2) | instid1(SALU_CYCLE_1)
	s_cmp_lg_u32 s0, 0
	s_addc_u32 s5, s1, s5
	s_ashr_i32 s0, s13, 31
	s_add_u32 s22, s4, s0
	s_addc_u32 s23, s13, s0
	v_readfirstlane_b32 s13, v9
	s_mov_b32 s1, s0
	s_delay_alu instid0(SALU_CYCLE_1) | instskip(NEXT) | instid1(SALU_CYCLE_1)
	s_xor_b64 s[22:23], s[22:23], s[0:1]
	s_mul_i32 s19, s22, s5
	s_delay_alu instid0(VALU_DEP_1)
	s_mul_hi_u32 s21, s22, s13
	s_mul_hi_u32 s24, s22, s5
	s_add_u32 s19, s21, s19
	s_mul_i32 s25, s23, s13
	s_addc_u32 s21, 0, s24
	s_mul_hi_u32 s13, s23, s13
	s_mul_hi_u32 s24, s23, s5
	s_add_u32 s19, s19, s25
	s_addc_u32 s13, s21, s13
	s_mul_i32 s5, s23, s5
	s_addc_u32 s19, s24, 0
	s_add_u32 s5, s13, s5
	s_addc_u32 s13, 0, s19
	s_mul_i32 s21, s20, s5
	s_add_u32 s19, s5, 1
	v_sub_co_u32 v9, s21, s22, s21
	s_addc_u32 s22, s13, 0
	s_mul_i32 s25, s20, s13
	s_mul_hi_u32 s27, s20, s5
	s_delay_alu instid0(VALU_DEP_1)
	v_sub_co_u32 v10, s26, v9, s20
	s_add_u32 s24, s5, 2
	s_addc_u32 s28, s13, 0
	s_add_i32 s27, s27, s25
	s_cmp_lg_u32 s21, 0
	v_readfirstlane_b32 s21, v10
	s_subb_u32 s23, s23, s27
	s_cmp_lg_u32 s26, 0
	s_subb_u32 s25, s23, 0
	s_delay_alu instid0(VALU_DEP_1) | instskip(SKIP_4) | instid1(SALU_CYCLE_1)
	s_cmp_ge_u32 s21, s20
	s_cselect_b32 s21, -1, 0
	s_cmp_eq_u32 s25, 0
	v_readfirstlane_b32 s25, v9
	s_cselect_b32 s21, s21, -1
	s_cmp_lg_u32 s21, 0
	s_cselect_b32 s19, s24, s19
	s_cselect_b32 s21, s28, s22
	s_cmp_ge_u32 s25, s20
	s_cselect_b32 s22, -1, 0
	s_cmp_eq_u32 s23, 0
	s_cselect_b32 s22, s22, -1
	s_delay_alu instid0(SALU_CYCLE_1) | instskip(SKIP_4) | instid1(SALU_CYCLE_1)
	s_cmp_lg_u32 s22, 0
	s_cselect_b32 s23, s21, s13
	s_cselect_b32 s22, s19, s5
	s_mov_b32 s5, 0
	s_xor_b64 s[22:23], s[22:23], s[0:1]
	s_sub_u32 s0, s22, s0
.LBB17_11:                              ;   in Loop: Header=BB17_9 Depth=1
	s_and_not1_b32 vcc_lo, exec_lo, s5
	s_cbranch_vccnz .LBB17_13
; %bb.12:                               ;   in Loop: Header=BB17_9 Depth=1
	v_readfirstlane_b32 s0, v6
	s_delay_alu instid0(VALU_DEP_1) | instskip(NEXT) | instid1(SALU_CYCLE_1)
	s_mul_i32 s1, s14, s0
	s_mul_hi_u32 s1, s0, s1
	s_delay_alu instid0(SALU_CYCLE_1) | instskip(NEXT) | instid1(SALU_CYCLE_1)
	s_add_i32 s0, s0, s1
	s_mul_hi_u32 s0, s4, s0
	s_delay_alu instid0(SALU_CYCLE_1) | instskip(NEXT) | instid1(SALU_CYCLE_1)
	s_mul_i32 s1, s0, s20
	s_sub_i32 s1, s4, s1
	s_add_i32 s4, s0, 1
	s_sub_i32 s5, s1, s20
	s_cmp_ge_u32 s1, s20
	s_cselect_b32 s0, s4, s0
	s_cselect_b32 s1, s5, s1
	s_add_i32 s4, s0, 1
	s_cmp_ge_u32 s1, s20
	s_cselect_b32 s0, s4, s0
.LBB17_13:                              ;   in Loop: Header=BB17_9 Depth=1
	s_delay_alu instid0(SALU_CYCLE_1)
	s_cmp_lg_u32 s16, s0
	s_cbranch_scc0 .LBB17_17
; %bb.14:                               ;   in Loop: Header=BB17_9 Depth=1
	s_add_i32 s1, s18, s20
	s_mov_b32 s5, s12
	s_lshl_b32 s1, s1, 6
	s_mov_b32 s19, s16
	s_add_i32 s4, s1, s6
	s_mul_hi_u32 s1, s0, s8
	s_lshl_b64 s[4:5], s[4:5], 3
	s_delay_alu instid0(SALU_CYCLE_1) | instskip(SKIP_2) | instid1(SALU_CYCLE_1)
	s_add_u32 s4, s2, s4
	s_addc_u32 s5, s3, s5
	s_add_i32 s1, s1, s0
	s_lshr_b32 s1, s1, s9
	s_delay_alu instid0(SALU_CYCLE_1) | instskip(NEXT) | instid1(SALU_CYCLE_1)
	s_mul_i32 s13, s1, s10
	s_cmp_eq_u32 s13, s0
	s_cselect_b32 s13, -1, 0
	s_cmp_lt_u32 s1, s11
	s_cselect_b32 s1, -1, 0
	s_delay_alu instid0(SALU_CYCLE_1)
	s_or_b32 s1, s1, s13
	s_mov_b32 s13, -1
	s_and_b32 vcc_lo, exec_lo, s1
	s_mov_b32 s1, s18
	s_cbranch_vccnz .LBB17_16
; %bb.15:                               ;   in Loop: Header=BB17_9 Depth=1
	s_add_i32 s1, s18, -1
	s_mov_b32 s13, 0
	s_mov_b32 s19, s0
.LBB17_16:                              ;   in Loop: Header=BB17_9 Depth=1
	v_mad_u64_u32 v[9:10], null, 0x1800, s18, v[3:4]
	s_load_b64 s[4:5], s[4:5], 0x0
	s_delay_alu instid0(VALU_DEP_1) | instskip(NEXT) | instid1(VALU_DEP_1)
	v_ashrrev_i32_e32 v10, 31, v9
	v_lshlrev_b64 v[9:10], 2, v[9:10]
	s_delay_alu instid0(VALU_DEP_1) | instskip(NEXT) | instid1(VALU_DEP_2)
	v_add_co_u32 v9, vcc_lo, s15, v9
	v_add_co_ci_u32_e32 v10, vcc_lo, s17, v10, vcc_lo
	s_waitcnt lgkmcnt(0)
	v_max_f32_e64 v11, s4, s4
	global_load_b32 v10, v[9:10], off
	v_max_f32_e32 v9, v8, v8
	s_delay_alu instid0(VALU_DEP_1) | instskip(NEXT) | instid1(VALU_DEP_1)
	v_max_f32_e32 v9, v9, v11
	v_sub_f32_e32 v12, v8, v9
	s_delay_alu instid0(VALU_DEP_1) | instskip(NEXT) | instid1(VALU_DEP_1)
	v_dual_mul_f32 v14, 0x3fb8aa3b, v12 :: v_dual_sub_f32 v11, s4, v9
	v_rndne_f32_e32 v18, v14
	s_delay_alu instid0(VALU_DEP_2) | instskip(SKIP_2) | instid1(VALU_DEP_4)
	v_mul_f32_e32 v13, 0x3fb8aa3b, v11
	v_fma_f32 v17, 0x3fb8aa3b, v12, -v14
	v_cmp_ngt_f32_e32 vcc_lo, 0xc2ce8ed0, v11
	v_sub_f32_e32 v14, v14, v18
	s_delay_alu instid0(VALU_DEP_4) | instskip(SKIP_2) | instid1(VALU_DEP_3)
	v_fma_f32 v15, 0x3fb8aa3b, v11, -v13
	v_rndne_f32_e32 v16, v13
	v_fmac_f32_e32 v17, 0x32a5705f, v12
	v_fmac_f32_e32 v15, 0x32a5705f, v11
	s_delay_alu instid0(VALU_DEP_2) | instskip(NEXT) | instid1(VALU_DEP_1)
	v_dual_sub_f32 v13, v13, v16 :: v_dual_add_f32 v14, v14, v17
	v_add_f32_e32 v13, v13, v15
	s_delay_alu instid0(VALU_DEP_2) | instskip(SKIP_2) | instid1(VALU_DEP_3)
	v_exp_f32_e32 v14, v14
	v_cvt_i32_f32_e32 v15, v16
	v_cvt_i32_f32_e32 v16, v18
	v_exp_f32_e32 v13, v13
	s_waitcnt_depctr 0xfff
	v_ldexp_f32 v14, v14, v16
	v_ldexp_f32 v13, v13, v15
	s_delay_alu instid0(VALU_DEP_1) | instskip(SKIP_1) | instid1(VALU_DEP_4)
	v_cndmask_b32_e32 v13, 0, v13, vcc_lo
	v_cmp_ngt_f32_e32 vcc_lo, 0xc2ce8ed0, v12
	v_cndmask_b32_e32 v14, 0, v14, vcc_lo
	v_cmp_nlt_f32_e32 vcc_lo, 0x42b17218, v11
	s_delay_alu instid0(VALU_DEP_4) | instskip(SKIP_1) | instid1(VALU_DEP_4)
	v_cndmask_b32_e32 v13, 0x7f800000, v13, vcc_lo
	v_cmp_nlt_f32_e32 vcc_lo, 0x42b17218, v12
	v_cndmask_b32_e32 v14, 0x7f800000, v14, vcc_lo
	v_cmp_le_f32_e32 vcc_lo, 0xc1a00000, v11
	s_delay_alu instid0(VALU_DEP_4) | instskip(SKIP_1) | instid1(VALU_DEP_4)
	v_cndmask_b32_e32 v11, 0, v13, vcc_lo
	v_cmp_le_f32_e32 vcc_lo, 0xc1a00000, v12
	v_cndmask_b32_e32 v12, 0, v14, vcc_lo
	s_waitcnt vmcnt(0)
	s_delay_alu instid0(VALU_DEP_3) | instskip(NEXT) | instid1(VALU_DEP_1)
	v_mul_f32_e32 v10, v10, v11
	v_dual_mul_f32 v11, s5, v11 :: v_dual_fmac_f32 v10, v5, v12
	s_delay_alu instid0(VALU_DEP_1)
	v_fmac_f32_e32 v11, v7, v12
	s_cbranch_execz .LBB17_18
	s_branch .LBB17_19
.LBB17_17:                              ;   in Loop: Header=BB17_9 Depth=1
                                        ; implicit-def: $sgpr13
                                        ; implicit-def: $vgpr10
                                        ; implicit-def: $vgpr9
                                        ; implicit-def: $vgpr11
                                        ; implicit-def: $sgpr1
                                        ; implicit-def: $sgpr19
.LBB17_18:                              ;   in Loop: Header=BB17_9 Depth=1
	s_waitcnt vmcnt(0)
	v_dual_mov_b32 v11, v7 :: v_dual_mov_b32 v10, v5
	v_mov_b32_e32 v9, v8
	s_add_i32 s1, s18, -1
	s_mov_b32 s13, 0
	s_mov_b32 s19, s16
.LBB17_19:                              ;   in Loop: Header=BB17_9 Depth=1
	s_and_not1_b32 vcc_lo, exec_lo, s13
	s_cbranch_vccz .LBB17_23
; %bb.20:                               ;   in Loop: Header=BB17_9 Depth=1
	v_dual_mov_b32 v7, v11 :: v_dual_mov_b32 v8, v9
	s_waitcnt vmcnt(0)
	v_mov_b32_e32 v5, v10
	s_mov_b32 s16, s19
	s_mov_b32 s18, s1
	s_branch .LBB17_9
.LBB17_21:
                                        ; implicit-def: $sgpr16_sgpr17
	s_load_b128 s[8:11], s[0:1], 0x44
	s_branch .LBB17_2
.LBB17_22:
                                        ; implicit-def: $sgpr18_sgpr19
	s_branch .LBB17_5
.LBB17_23:
	v_div_scale_f32 v0, null, v11, v11, v10
	s_delay_alu instid0(VALU_DEP_1) | instskip(SKIP_2) | instid1(VALU_DEP_1)
	v_rcp_f32_e32 v3, v0
	s_waitcnt_depctr 0xfff
	v_fma_f32 v4, -v0, v3, 1.0
	v_fmac_f32_e32 v3, v4, v3
	v_div_scale_f32 v4, vcc_lo, v10, v11, v10
	s_waitcnt vmcnt(0)
	s_delay_alu instid0(VALU_DEP_1) | instskip(NEXT) | instid1(VALU_DEP_1)
	v_mul_f32_e32 v5, v4, v3
	v_fma_f32 v6, -v0, v5, v4
	s_delay_alu instid0(VALU_DEP_1) | instskip(NEXT) | instid1(VALU_DEP_1)
	v_fmac_f32_e32 v5, v6, v3
	v_fma_f32 v0, -v0, v5, v4
	s_delay_alu instid0(VALU_DEP_1) | instskip(NEXT) | instid1(VALU_DEP_1)
	v_div_fmas_f32 v0, v0, v3, v5
	v_div_fixup_f32 v0, v0, v11, v10
	global_store_b32 v[1:2], v0, off
.LBB17_24:
	s_nop 0
	s_sendmsg sendmsg(MSG_DEALLOC_VGPRS)
	s_endpgm
	.section	.rodata,"a",@progbits
	.p2align	6, 0x0
	.amdhsa_kernel _ZL33flash_attn_stream_k_fixup_generalILi96ELi16ELi4EEvPfPK15HIP_vector_typeIfLj2EEiiiiS1_IjLj3EES5_S5_S5_
		.amdhsa_group_segment_fixed_size 0
		.amdhsa_private_segment_fixed_size 0
		.amdhsa_kernarg_size 336
		.amdhsa_user_sgpr_count 13
		.amdhsa_user_sgpr_dispatch_ptr 0
		.amdhsa_user_sgpr_queue_ptr 0
		.amdhsa_user_sgpr_kernarg_segment_ptr 1
		.amdhsa_user_sgpr_dispatch_id 0
		.amdhsa_user_sgpr_private_segment_size 0
		.amdhsa_wavefront_size32 1
		.amdhsa_uses_dynamic_stack 0
		.amdhsa_enable_private_segment 0
		.amdhsa_system_sgpr_workgroup_id_x 1
		.amdhsa_system_sgpr_workgroup_id_y 1
		.amdhsa_system_sgpr_workgroup_id_z 1
		.amdhsa_system_sgpr_workgroup_info 0
		.amdhsa_system_vgpr_workitem_id 0
		.amdhsa_next_free_vgpr 19
		.amdhsa_next_free_sgpr 32
		.amdhsa_reserve_vcc 1
		.amdhsa_float_round_mode_32 0
		.amdhsa_float_round_mode_16_64 0
		.amdhsa_float_denorm_mode_32 3
		.amdhsa_float_denorm_mode_16_64 3
		.amdhsa_dx10_clamp 1
		.amdhsa_ieee_mode 1
		.amdhsa_fp16_overflow 0
		.amdhsa_workgroup_processor_mode 1
		.amdhsa_memory_ordered 1
		.amdhsa_forward_progress 0
		.amdhsa_shared_vgpr_count 0
		.amdhsa_exception_fp_ieee_invalid_op 0
		.amdhsa_exception_fp_denorm_src 0
		.amdhsa_exception_fp_ieee_div_zero 0
		.amdhsa_exception_fp_ieee_overflow 0
		.amdhsa_exception_fp_ieee_underflow 0
		.amdhsa_exception_fp_ieee_inexact 0
		.amdhsa_exception_int_div_zero 0
	.end_amdhsa_kernel
	.section	.text._ZL33flash_attn_stream_k_fixup_generalILi96ELi16ELi4EEvPfPK15HIP_vector_typeIfLj2EEiiiiS1_IjLj3EES5_S5_S5_,"axG",@progbits,_ZL33flash_attn_stream_k_fixup_generalILi96ELi16ELi4EEvPfPK15HIP_vector_typeIfLj2EEiiiiS1_IjLj3EES5_S5_S5_,comdat
.Lfunc_end17:
	.size	_ZL33flash_attn_stream_k_fixup_generalILi96ELi16ELi4EEvPfPK15HIP_vector_typeIfLj2EEiiiiS1_IjLj3EES5_S5_S5_, .Lfunc_end17-_ZL33flash_attn_stream_k_fixup_generalILi96ELi16ELi4EEvPfPK15HIP_vector_typeIfLj2EEiiiiS1_IjLj3EES5_S5_S5_
                                        ; -- End function
	.section	.AMDGPU.csdata,"",@progbits
; Kernel info:
; codeLenInByte = 3224
; NumSgprs: 34
; NumVgprs: 19
; ScratchSize: 0
; MemoryBound: 0
; FloatMode: 240
; IeeeMode: 1
; LDSByteSize: 0 bytes/workgroup (compile time only)
; SGPRBlocks: 4
; VGPRBlocks: 2
; NumSGPRsForWavesPerEU: 34
; NumVGPRsForWavesPerEU: 19
; Occupancy: 16
; WaveLimiterHint : 0
; COMPUTE_PGM_RSRC2:SCRATCH_EN: 0
; COMPUTE_PGM_RSRC2:USER_SGPR: 13
; COMPUTE_PGM_RSRC2:TRAP_HANDLER: 0
; COMPUTE_PGM_RSRC2:TGID_X_EN: 1
; COMPUTE_PGM_RSRC2:TGID_Y_EN: 1
; COMPUTE_PGM_RSRC2:TGID_Z_EN: 1
; COMPUTE_PGM_RSRC2:TIDIG_COMP_CNT: 0
	.section	.text._ZL26flash_attn_combine_resultsILi96EEvPKfPK15HIP_vector_typeIfLj2EEPfi,"axG",@progbits,_ZL26flash_attn_combine_resultsILi96EEvPKfPK15HIP_vector_typeIfLj2EEPfi,comdat
	.globl	_ZL26flash_attn_combine_resultsILi96EEvPKfPK15HIP_vector_typeIfLj2EEPfi ; -- Begin function _ZL26flash_attn_combine_resultsILi96EEvPKfPK15HIP_vector_typeIfLj2EEPfi
	.p2align	8
	.type	_ZL26flash_attn_combine_resultsILi96EEvPKfPK15HIP_vector_typeIfLj2EEPfi,@function
_ZL26flash_attn_combine_resultsILi96EEvPKfPK15HIP_vector_typeIfLj2EEPfi: ; @_ZL26flash_attn_combine_resultsILi96EEvPKfPK15HIP_vector_typeIfLj2EEPfi
; %bb.0:
	s_clause 0x3
	s_load_b64 s[2:3], s[0:1], 0x20
	s_load_b32 s12, s[0:1], 0x18
	s_load_b128 s[8:11], s[0:1], 0x0
	s_load_b64 s[16:17], s[0:1], 0x10
	v_lshlrev_b32_e32 v7, 2, v0
	s_mov_b32 s4, exec_lo
	s_waitcnt lgkmcnt(0)
	s_mul_i32 s0, s2, s15
	s_lshl_b32 s1, s12, 1
	s_add_i32 s0, s0, s13
	s_delay_alu instid0(SALU_CYCLE_1) | instskip(NEXT) | instid1(SALU_CYCLE_1)
	s_mul_i32 s7, s0, s3
	s_add_i32 s7, s7, s14
	s_delay_alu instid0(SALU_CYCLE_1)
	s_mul_i32 s2, s7, s12
	v_cmpx_gt_i32_e64 s1, v0
	s_cbranch_execz .LBB18_3
; %bb.1:
	s_ashr_i32 s3, s2, 31
	v_dual_mov_b32 v4, v0 :: v_dual_add_nc_u32 v3, 0, v7
	s_lshl_b64 s[14:15], s[2:3], 3
	s_delay_alu instid0(SALU_CYCLE_1) | instskip(SKIP_2) | instid1(VALU_DEP_1)
	s_add_u32 s0, s10, s14
	s_addc_u32 s3, s11, s15
	v_add_co_u32 v1, s0, s0, v7
	v_add_co_ci_u32_e64 v2, null, s3, 0, s0
	s_mov_b32 s3, 0
	.p2align	6
.LBB18_2:                               ; =>This Inner Loop Header: Depth=1
	global_load_b32 v5, v[1:2], off
	v_add_nc_u32_e32 v4, 0x60, v4
	v_add_co_u32 v1, vcc_lo, 0x180, v1
	v_add_co_ci_u32_e32 v2, vcc_lo, 0, v2, vcc_lo
	s_delay_alu instid0(VALU_DEP_3) | instskip(NEXT) | instid1(VALU_DEP_1)
	v_cmp_le_i32_e64 s0, s1, v4
	s_or_b32 s3, s0, s3
	s_waitcnt vmcnt(0)
	ds_store_b32 v3, v5
	v_add_nc_u32_e32 v3, 0x180, v3
	s_and_not1_b32 exec_lo, exec_lo, s3
	s_cbranch_execnz .LBB18_2
.LBB18_3:
	s_or_b32 exec_lo, exec_lo, s4
	v_mov_b32_e32 v1, 0
	s_waitcnt lgkmcnt(0)
	s_barrier
	buffer_gl0_inv
	s_cmp_lt_i32 s12, 2
	ds_load_b32 v8, v1
	s_cbranch_scc1 .LBB18_11
; %bb.4:
	s_add_i32 s1, s12, -2
	s_add_i32 s0, s12, -1
	s_cmp_lt_u32 s1, 7
	s_cbranch_scc1 .LBB18_8
; %bb.5:
	s_mov_b32 s3, 0
	s_add_i32 s1, 0, 8
	s_and_b32 s4, s0, -8
	.p2align	6
.LBB18_6:                               ; =>This Inner Loop Header: Depth=1
	v_mov_b32_e32 v9, s1
	s_mov_b32 s5, s3
	s_add_i32 s3, s3, 8
	s_add_i32 s1, s1, 64
	s_cmp_eq_u32 s4, s3
	ds_load_2addr_b32 v[1:2], v9 offset1:2
	ds_load_2addr_b32 v[3:4], v9 offset0:4 offset1:6
	ds_load_2addr_b32 v[5:6], v9 offset0:8 offset1:10
	;; [unrolled: 1-line block ×3, first 2 shown]
	s_waitcnt lgkmcnt(3)
	v_max3_f32 v1, v8, v1, v2
	s_waitcnt lgkmcnt(2)
	s_delay_alu instid0(VALU_DEP_1) | instskip(SKIP_1) | instid1(VALU_DEP_1)
	v_max3_f32 v1, v1, v3, v4
	s_waitcnt lgkmcnt(1)
	v_max3_f32 v1, v1, v5, v6
	s_waitcnt lgkmcnt(0)
	s_delay_alu instid0(VALU_DEP_1)
	v_max3_f32 v8, v1, v9, v10
	s_cbranch_scc0 .LBB18_6
; %bb.7:
	s_add_i32 s1, s5, 9
	s_and_b32 s0, s0, 7
	s_delay_alu instid0(SALU_CYCLE_1)
	s_cmp_eq_u32 s0, 0
	s_cbranch_scc0 .LBB18_9
	s_branch .LBB18_11
.LBB18_8:
	s_mov_b32 s1, 1
	s_and_b32 s0, s0, 7
	s_delay_alu instid0(SALU_CYCLE_1)
	s_cmp_eq_u32 s0, 0
	s_cbranch_scc1 .LBB18_11
.LBB18_9:
	s_lshl_b32 s1, s1, 3
	s_delay_alu instid0(SALU_CYCLE_1)
	s_add_i32 s1, s1, 0
.LBB18_10:                              ; =>This Inner Loop Header: Depth=1
	s_waitcnt lgkmcnt(0)
	s_delay_alu instid0(VALU_DEP_1)
	v_dual_mov_b32 v1, s1 :: v_dual_max_f32 v2, v8, v8
	s_add_i32 s0, s0, -1
	s_add_i32 s1, s1, 8
	s_cmp_lg_u32 s0, 0
	ds_load_b32 v1, v1
	s_waitcnt lgkmcnt(0)
	v_max_f32_e32 v1, v1, v1
	s_delay_alu instid0(VALU_DEP_1)
	v_max_f32_e32 v8, v2, v1
	s_cbranch_scc1 .LBB18_10
.LBB18_11:
	s_cmp_lt_i32 s12, 1
	s_cbranch_scc1 .LBB18_16
; %bb.12:
	s_mul_i32 s10, s2, 0x60
	v_mov_b32_e32 v9, 0
	s_ashr_i32 s11, s10, 31
	s_cmp_lt_u32 s12, 8
	s_mov_b32 s14, 0
	s_cbranch_scc1 .LBB18_17
; %bb.13:
	s_lshl_b64 s[0:1], s[10:11], 2
	v_or_b32_e32 v3, 0x180, v0
	s_add_u32 s15, s8, s0
	s_addc_u32 s18, s9, s1
	v_add_co_u32 v1, s0, s15, v7
	s_delay_alu instid0(VALU_DEP_1) | instskip(SKIP_1) | instid1(VALU_DEP_3)
	v_add_co_ci_u32_e64 v2, null, s18, 0, s0
	v_dual_mov_b32 v6, 0 :: v_dual_mov_b32 v9, 0
	v_add_co_u32 v1, vcc_lo, 0x180, v1
	s_delay_alu instid0(VALU_DEP_3)
	v_add_co_ci_u32_e32 v2, vcc_lo, 0, v2, vcc_lo
	v_mov_b32_e32 v10, 0
	s_and_b32 s13, s12, 0x7ffffff8
	s_mov_b32 s19, 0
.LBB18_14:                              ; =>This Inner Loop Header: Depth=1
	v_dual_mov_b32 v4, v6 :: v_dual_add_nc_u32 v5, 0xfffffe80, v3
	global_load_b32 v27, v[1:2], off
	s_add_i32 s19, s19, 8
	v_lshlrev_b64 v[11:12], 2, v[5:6]
	v_lshlrev_b64 v[13:14], 2, v[3:4]
	v_add_nc_u32_e32 v5, 0xffffff40, v3
	s_delay_alu instid0(VALU_DEP_3) | instskip(NEXT) | instid1(VALU_DEP_4)
	v_add_co_u32 v11, vcc_lo, s15, v11
	v_add_co_ci_u32_e32 v12, vcc_lo, s18, v12, vcc_lo
	s_delay_alu instid0(VALU_DEP_4) | instskip(NEXT) | instid1(VALU_DEP_4)
	v_add_co_u32 v13, vcc_lo, s15, v13
	v_lshlrev_b64 v[15:16], 2, v[5:6]
	global_load_b32 v28, v[11:12], off
	v_add_co_ci_u32_e32 v14, vcc_lo, s18, v14, vcc_lo
	v_add_nc_u32_e32 v5, 0xffffffa0, v3
	global_load_b32 v31, v[13:14], off
	v_add_co_u32 v11, vcc_lo, s15, v15
	v_add_co_ci_u32_e32 v12, vcc_lo, s18, v16, vcc_lo
	v_lshlrev_b64 v[17:18], 2, v[5:6]
	v_add_nc_u32_e32 v5, 0x60, v3
	global_load_b32 v29, v[11:12], off
	v_lshlrev_b64 v[15:16], 2, v[5:6]
	v_add_co_u32 v17, vcc_lo, s15, v17
	v_add_co_ci_u32_e32 v18, vcc_lo, s18, v18, vcc_lo
	v_add_nc_u32_e32 v5, 0xc0, v3
	s_delay_alu instid0(VALU_DEP_4)
	v_add_co_u32 v15, vcc_lo, s15, v15
	v_add_co_ci_u32_e32 v16, vcc_lo, s18, v16, vcc_lo
	s_clause 0x1
	global_load_b32 v30, v[17:18], off
	global_load_b32 v32, v[15:16], off
	v_lshlrev_b64 v[11:12], 2, v[5:6]
	v_add_nc_u32_e32 v5, 0x120, v3
	v_add_nc_u32_e32 v3, 0x300, v3
	s_delay_alu instid0(VALU_DEP_2) | instskip(NEXT) | instid1(VALU_DEP_4)
	v_lshlrev_b64 v[4:5], 2, v[5:6]
	v_add_co_u32 v11, vcc_lo, s15, v11
	v_add_co_ci_u32_e32 v12, vcc_lo, s18, v12, vcc_lo
	s_delay_alu instid0(VALU_DEP_3) | instskip(NEXT) | instid1(VALU_DEP_4)
	v_add_co_u32 v4, vcc_lo, s15, v4
	v_add_co_ci_u32_e32 v5, vcc_lo, s18, v5, vcc_lo
	s_clause 0x1
	global_load_b32 v33, v[11:12], off
	global_load_b32 v4, v[4:5], off
	v_mov_b32_e32 v5, s14
	ds_load_2addr_b64 v[11:14], v5 offset1:1
	ds_load_2addr_b64 v[15:18], v5 offset0:2 offset1:3
	ds_load_2addr_b64 v[19:22], v5 offset0:4 offset1:5
	;; [unrolled: 1-line block ×3, first 2 shown]
	s_add_i32 s14, s14, 64
	s_cmp_eq_u32 s13, s19
	s_waitcnt lgkmcnt(3)
	v_sub_f32_e32 v5, v11, v8
	v_sub_f32_e32 v11, v13, v8
	s_waitcnt lgkmcnt(2)
	v_sub_f32_e32 v13, v15, v8
	v_sub_f32_e32 v15, v17, v8
	;; [unrolled: 3-line block ×3, first 2 shown]
	s_waitcnt lgkmcnt(0)
	v_sub_f32_e32 v21, v23, v8
	s_delay_alu instid0(VALU_DEP_2) | instskip(SKIP_2) | instid1(VALU_DEP_3)
	v_dual_sub_f32 v23, v25, v8 :: v_dual_mul_f32 v38, 0x3fb8aa3b, v19
	v_mul_f32_e32 v34, 0x3fb8aa3b, v11
	v_cmp_ngt_f32_e32 vcc_lo, 0xc2ce8ed0, v11
	v_fma_f32 v51, 0x3fb8aa3b, v19, -v38
	s_delay_alu instid0(VALU_DEP_3) | instskip(SKIP_2) | instid1(VALU_DEP_4)
	v_fma_f32 v43, 0x3fb8aa3b, v11, -v34
	v_rndne_f32_e32 v44, v34
	v_rndne_f32_e32 v52, v38
	v_fmac_f32_e32 v51, 0x32a5705f, v19
	s_delay_alu instid0(VALU_DEP_3) | instskip(SKIP_1) | instid1(VALU_DEP_4)
	v_dual_fmac_f32 v43, 0x32a5705f, v11 :: v_dual_sub_f32 v34, v34, v44
	v_cvt_i32_f32_e32 v44, v44
	v_sub_f32_e32 v38, v38, v52
	v_cvt_i32_f32_e32 v52, v52
	s_delay_alu instid0(VALU_DEP_4) | instskip(SKIP_3) | instid1(VALU_DEP_4)
	v_add_f32_e32 v34, v34, v43
	v_dual_mul_f32 v36, 0x3fb8aa3b, v15 :: v_dual_mul_f32 v25, 0x3fb8aa3b, v5
	v_cmp_ngt_f32_e64 s6, 0xc2ce8ed0, v5
	v_cmp_ngt_f32_e64 s1, 0xc2ce8ed0, v15
	v_exp_f32_e32 v34, v34
	s_delay_alu instid0(VALU_DEP_3)
	v_fma_f32 v47, 0x3fb8aa3b, v15, -v36
	v_fma_f32 v41, 0x3fb8aa3b, v5, -v25
	v_rndne_f32_e32 v42, v25
	v_rndne_f32_e32 v48, v36
	v_add_f32_e32 v38, v38, v51
	v_fmac_f32_e32 v47, 0x32a5705f, v15
	v_fmac_f32_e32 v41, 0x32a5705f, v5
	v_sub_f32_e32 v25, v25, v42
	v_cvt_i32_f32_e32 v42, v42
	v_ldexp_f32 v34, v34, v44
	v_sub_f32_e32 v36, v36, v48
	v_cvt_i32_f32_e32 v48, v48
	v_add_f32_e32 v25, v25, v41
	v_exp_f32_e32 v38, v38
	v_cndmask_b32_e32 v34, 0, v34, vcc_lo
	v_cmp_nlt_f32_e32 vcc_lo, 0x42b17218, v5
	v_add_f32_e32 v36, v36, v47
	v_exp_f32_e32 v25, v25
	v_cmp_ngt_f32_e64 s2, 0xc2ce8ed0, v17
	v_cmp_ngt_f32_e64 s3, 0xc2ce8ed0, v19
	s_delay_alu instid0(VALU_DEP_3) | instskip(NEXT) | instid1(TRANS32_DEP_3)
	v_exp_f32_e32 v36, v36
	v_ldexp_f32 v38, v38, v52
	s_waitcnt_depctr 0xfff
	v_ldexp_f32 v25, v25, v42
	v_cndmask_b32_e64 v38, 0, v38, s3
	v_ldexp_f32 v36, v36, v48
	s_delay_alu instid0(VALU_DEP_3) | instskip(NEXT) | instid1(VALU_DEP_2)
	v_cndmask_b32_e64 v25, 0, v25, s6
	v_cndmask_b32_e64 v36, 0, v36, s1
	s_delay_alu instid0(VALU_DEP_2) | instskip(SKIP_1) | instid1(VALU_DEP_2)
	v_cndmask_b32_e32 v5, 0x7f800000, v25, vcc_lo
	v_cmp_nlt_f32_e32 vcc_lo, 0x42b17218, v11
	v_dual_fmac_f32 v10, v5, v12 :: v_dual_cndmask_b32 v11, 0x7f800000, v34
	s_delay_alu instid0(VALU_DEP_1) | instskip(SKIP_4) | instid1(VALU_DEP_4)
	v_fmac_f32_e32 v10, v11, v14
	v_dual_mul_f32 v40, 0x3fb8aa3b, v23 :: v_dual_mul_f32 v35, 0x3fb8aa3b, v13
	v_cmp_ngt_f32_e64 s0, 0xc2ce8ed0, v13
	v_cmp_nlt_f32_e32 vcc_lo, 0x42b17218, v13
	v_cmp_ngt_f32_e64 s5, 0xc2ce8ed0, v23
	v_fma_f32 v55, 0x3fb8aa3b, v23, -v40
	v_fma_f32 v45, 0x3fb8aa3b, v13, -v35
	v_rndne_f32_e32 v46, v35
	v_rndne_f32_e32 v56, v40
	s_delay_alu instid0(VALU_DEP_4) | instskip(NEXT) | instid1(VALU_DEP_4)
	v_fmac_f32_e32 v55, 0x32a5705f, v23
	v_fmac_f32_e32 v45, 0x32a5705f, v13
	s_delay_alu instid0(VALU_DEP_4) | instskip(SKIP_3) | instid1(VALU_DEP_2)
	v_sub_f32_e32 v35, v35, v46
	v_cvt_i32_f32_e32 v46, v46
	v_sub_f32_e32 v40, v40, v56
	v_cvt_i32_f32_e32 v56, v56
	v_dual_add_f32 v35, v35, v45 :: v_dual_add_f32 v40, v40, v55
	v_cmp_ngt_f32_e64 s4, 0xc2ce8ed0, v21
	s_delay_alu instid0(VALU_DEP_2) | instskip(NEXT) | instid1(VALU_DEP_2)
	v_exp_f32_e32 v35, v35
	v_exp_f32_e32 v40, v40
	s_waitcnt_depctr 0xfff
	v_ldexp_f32 v35, v35, v46
	v_ldexp_f32 v40, v40, v56
	s_delay_alu instid0(VALU_DEP_2) | instskip(SKIP_1) | instid1(VALU_DEP_3)
	v_cndmask_b32_e64 v35, 0, v35, s0
	v_cmp_nlt_f32_e64 s0, 0x42b17218, v23
	v_cndmask_b32_e64 v40, 0, v40, s5
	s_waitcnt vmcnt(6)
	v_fmac_f32_e32 v9, v28, v5
	v_cndmask_b32_e32 v5, 0x7f800000, v35, vcc_lo
	v_cmp_nlt_f32_e32 vcc_lo, 0x42b17218, v15
	s_delay_alu instid0(VALU_DEP_2) | instskip(SKIP_3) | instid1(VALU_DEP_3)
	v_dual_fmac_f32 v9, v27, v11 :: v_dual_fmac_f32 v10, v5, v16
	v_cndmask_b32_e32 v11, 0x7f800000, v36, vcc_lo
	v_mul_f32_e32 v37, 0x3fb8aa3b, v17
	v_cmp_nlt_f32_e32 vcc_lo, 0x42b17218, v17
	v_fmac_f32_e32 v10, v11, v18
	s_delay_alu instid0(VALU_DEP_3) | instskip(SKIP_3) | instid1(VALU_DEP_3)
	v_fma_f32 v49, 0x3fb8aa3b, v17, -v37
	v_rndne_f32_e32 v50, v37
	s_waitcnt vmcnt(4)
	v_fmac_f32_e32 v9, v29, v5
	v_fmac_f32_e32 v49, 0x32a5705f, v17
	s_delay_alu instid0(VALU_DEP_3) | instskip(SKIP_1) | instid1(VALU_DEP_2)
	v_sub_f32_e32 v37, v37, v50
	v_cvt_i32_f32_e32 v50, v50
	v_add_f32_e32 v37, v37, v49
	s_waitcnt vmcnt(3)
	v_fmac_f32_e32 v9, v30, v11
	s_delay_alu instid0(VALU_DEP_2) | instskip(SKIP_2) | instid1(VALU_DEP_1)
	v_exp_f32_e32 v37, v37
	s_waitcnt_depctr 0xfff
	v_ldexp_f32 v37, v37, v50
	v_cndmask_b32_e64 v37, 0, v37, s2
	s_delay_alu instid0(VALU_DEP_1) | instskip(SKIP_2) | instid1(VALU_DEP_3)
	v_cndmask_b32_e32 v5, 0x7f800000, v37, vcc_lo
	v_mul_f32_e32 v39, 0x3fb8aa3b, v21
	v_cmp_nlt_f32_e32 vcc_lo, 0x42b17218, v19
	v_fmac_f32_e32 v10, v5, v20
	s_delay_alu instid0(VALU_DEP_3)
	v_fma_f32 v53, 0x3fb8aa3b, v21, -v39
	v_rndne_f32_e32 v54, v39
	v_cndmask_b32_e32 v11, 0x7f800000, v38, vcc_lo
	v_fmac_f32_e32 v9, v31, v5
	v_cmp_nlt_f32_e32 vcc_lo, 0x42b17218, v21
	v_fmac_f32_e32 v53, 0x32a5705f, v21
	v_sub_f32_e32 v39, v39, v54
	v_cvt_i32_f32_e32 v54, v54
	s_waitcnt vmcnt(2)
	v_dual_fmac_f32 v10, v11, v22 :: v_dual_fmac_f32 v9, v32, v11
	v_cndmask_b32_e64 v11, 0x7f800000, v40, s0
	v_add_f32_e32 v39, v39, v53
	s_delay_alu instid0(VALU_DEP_1) | instskip(SKIP_2) | instid1(VALU_DEP_1)
	v_exp_f32_e32 v39, v39
	s_waitcnt_depctr 0xfff
	v_ldexp_f32 v39, v39, v54
	v_cndmask_b32_e64 v39, 0, v39, s4
	s_delay_alu instid0(VALU_DEP_1) | instskip(SKIP_2) | instid1(VALU_DEP_3)
	v_cndmask_b32_e32 v5, 0x7f800000, v39, vcc_lo
	v_add_co_u32 v1, vcc_lo, 0xc00, v1
	v_add_co_ci_u32_e32 v2, vcc_lo, 0, v2, vcc_lo
	v_fmac_f32_e32 v10, v5, v24
	s_waitcnt vmcnt(1)
	s_delay_alu instid0(VALU_DEP_1) | instskip(SKIP_1) | instid1(VALU_DEP_1)
	v_dual_fmac_f32 v9, v33, v5 :: v_dual_fmac_f32 v10, v11, v26
	s_waitcnt vmcnt(0)
	v_fmac_f32_e32 v9, v4, v11
	s_cbranch_scc0 .LBB18_14
; %bb.15:
	s_and_b32 s1, s12, 7
	s_delay_alu instid0(SALU_CYCLE_1)
	s_cmp_eq_u32 s1, 0
	s_cbranch_scc0 .LBB18_18
	s_branch .LBB18_20
.LBB18_16:
	v_mov_b32_e32 v0, 0x7fc00000
	s_branch .LBB18_21
.LBB18_17:
	v_mov_b32_e32 v10, 0
	s_mov_b32 s13, 0
	s_and_b32 s1, s12, 7
	s_delay_alu instid0(SALU_CYCLE_1)
	s_cmp_eq_u32 s1, 0
	s_cbranch_scc1 .LBB18_20
.LBB18_18:
	v_mad_u64_u32 v[1:2], null, 0x60, s13, v[0:1]
	v_mov_b32_e32 v2, 0
	s_lshl_b64 s[2:3], s[10:11], 2
	s_delay_alu instid0(SALU_CYCLE_1) | instskip(SKIP_1) | instid1(VALU_DEP_1)
	s_add_u32 s0, s8, s2
	s_addc_u32 s2, s9, s3
	v_lshlrev_b64 v[0:1], 2, v[1:2]
	s_delay_alu instid0(VALU_DEP_1) | instskip(NEXT) | instid1(VALU_DEP_2)
	v_add_co_u32 v0, vcc_lo, s0, v0
	v_add_co_ci_u32_e32 v1, vcc_lo, s2, v1, vcc_lo
	s_lshl_b32 s0, s13, 3
	s_delay_alu instid0(SALU_CYCLE_1)
	s_add_i32 s2, s0, 0
	s_set_inst_prefetch_distance 0x1
	.p2align	6
.LBB18_19:                              ; =>This Inner Loop Header: Depth=1
	global_load_b32 v4, v[0:1], off
	v_mov_b32_e32 v2, s2
	s_add_i32 s1, s1, -1
	s_add_i32 s2, s2, 8
	s_cmp_lg_u32 s1, 0
	ds_load_b64 v[2:3], v2
	s_waitcnt lgkmcnt(0)
	v_sub_f32_e32 v2, v2, v8
	s_delay_alu instid0(VALU_DEP_1) | instskip(NEXT) | instid1(VALU_DEP_1)
	v_mul_f32_e32 v5, 0x3fb8aa3b, v2
	v_fma_f32 v6, 0x3fb8aa3b, v2, -v5
	v_rndne_f32_e32 v11, v5
	s_delay_alu instid0(VALU_DEP_1) | instskip(NEXT) | instid1(VALU_DEP_1)
	v_dual_fmac_f32 v6, 0x32a5705f, v2 :: v_dual_sub_f32 v5, v5, v11
	v_add_f32_e32 v5, v5, v6
	v_cvt_i32_f32_e32 v6, v11
	v_cmp_ngt_f32_e32 vcc_lo, 0xc2ce8ed0, v2
	v_cmp_nlt_f32_e64 s0, 0x42b17218, v2
	s_delay_alu instid0(VALU_DEP_4) | instskip(SKIP_2) | instid1(VALU_DEP_1)
	v_exp_f32_e32 v5, v5
	s_waitcnt_depctr 0xfff
	v_ldexp_f32 v5, v5, v6
	v_cndmask_b32_e32 v5, 0, v5, vcc_lo
	v_add_co_u32 v0, vcc_lo, 0x180, v0
	v_add_co_ci_u32_e32 v1, vcc_lo, 0, v1, vcc_lo
	s_delay_alu instid0(VALU_DEP_3) | instskip(SKIP_1) | instid1(VALU_DEP_1)
	v_cndmask_b32_e64 v2, 0x7f800000, v5, s0
	s_waitcnt vmcnt(0)
	v_dual_fmac_f32 v10, v2, v3 :: v_dual_fmac_f32 v9, v4, v2
	s_cbranch_scc1 .LBB18_19
.LBB18_20:
	s_set_inst_prefetch_distance 0x2
	s_delay_alu instid0(VALU_DEP_1) | instskip(NEXT) | instid1(VALU_DEP_1)
	v_div_scale_f32 v0, null, v10, v10, v9
	v_rcp_f32_e32 v1, v0
	s_waitcnt_depctr 0xfff
	v_fma_f32 v2, -v0, v1, 1.0
	s_delay_alu instid0(VALU_DEP_1) | instskip(SKIP_1) | instid1(VALU_DEP_1)
	v_fmac_f32_e32 v1, v2, v1
	v_div_scale_f32 v2, vcc_lo, v9, v10, v9
	v_mul_f32_e32 v3, v2, v1
	s_delay_alu instid0(VALU_DEP_1) | instskip(NEXT) | instid1(VALU_DEP_1)
	v_fma_f32 v4, -v0, v3, v2
	v_fmac_f32_e32 v3, v4, v1
	s_delay_alu instid0(VALU_DEP_1) | instskip(NEXT) | instid1(VALU_DEP_1)
	v_fma_f32 v0, -v0, v3, v2
	v_div_fmas_f32 v0, v0, v1, v3
	s_delay_alu instid0(VALU_DEP_1)
	v_div_fixup_f32 v0, v0, v10, v9
.LBB18_21:
	s_mul_i32 s0, s7, 0x60
	s_delay_alu instid0(SALU_CYCLE_1) | instskip(NEXT) | instid1(SALU_CYCLE_1)
	s_ashr_i32 s1, s0, 31
	s_lshl_b64 s[0:1], s[0:1], 2
	s_delay_alu instid0(SALU_CYCLE_1)
	s_add_u32 s0, s16, s0
	s_addc_u32 s1, s17, s1
	global_store_b32 v7, v0, s[0:1]
	s_nop 0
	s_sendmsg sendmsg(MSG_DEALLOC_VGPRS)
	s_endpgm
	.section	.rodata,"a",@progbits
	.p2align	6, 0x0
	.amdhsa_kernel _ZL26flash_attn_combine_resultsILi96EEvPKfPK15HIP_vector_typeIfLj2EEPfi
		.amdhsa_group_segment_fixed_size 0
		.amdhsa_private_segment_fixed_size 0
		.amdhsa_kernarg_size 288
		.amdhsa_user_sgpr_count 13
		.amdhsa_user_sgpr_dispatch_ptr 0
		.amdhsa_user_sgpr_queue_ptr 0
		.amdhsa_user_sgpr_kernarg_segment_ptr 1
		.amdhsa_user_sgpr_dispatch_id 0
		.amdhsa_user_sgpr_private_segment_size 0
		.amdhsa_wavefront_size32 1
		.amdhsa_uses_dynamic_stack 0
		.amdhsa_enable_private_segment 0
		.amdhsa_system_sgpr_workgroup_id_x 1
		.amdhsa_system_sgpr_workgroup_id_y 1
		.amdhsa_system_sgpr_workgroup_id_z 1
		.amdhsa_system_sgpr_workgroup_info 0
		.amdhsa_system_vgpr_workitem_id 0
		.amdhsa_next_free_vgpr 57
		.amdhsa_next_free_sgpr 20
		.amdhsa_reserve_vcc 1
		.amdhsa_float_round_mode_32 0
		.amdhsa_float_round_mode_16_64 0
		.amdhsa_float_denorm_mode_32 3
		.amdhsa_float_denorm_mode_16_64 3
		.amdhsa_dx10_clamp 1
		.amdhsa_ieee_mode 1
		.amdhsa_fp16_overflow 0
		.amdhsa_workgroup_processor_mode 1
		.amdhsa_memory_ordered 1
		.amdhsa_forward_progress 0
		.amdhsa_shared_vgpr_count 0
		.amdhsa_exception_fp_ieee_invalid_op 0
		.amdhsa_exception_fp_denorm_src 0
		.amdhsa_exception_fp_ieee_div_zero 0
		.amdhsa_exception_fp_ieee_overflow 0
		.amdhsa_exception_fp_ieee_underflow 0
		.amdhsa_exception_fp_ieee_inexact 0
		.amdhsa_exception_int_div_zero 0
	.end_amdhsa_kernel
	.section	.text._ZL26flash_attn_combine_resultsILi96EEvPKfPK15HIP_vector_typeIfLj2EEPfi,"axG",@progbits,_ZL26flash_attn_combine_resultsILi96EEvPKfPK15HIP_vector_typeIfLj2EEPfi,comdat
.Lfunc_end18:
	.size	_ZL26flash_attn_combine_resultsILi96EEvPKfPK15HIP_vector_typeIfLj2EEPfi, .Lfunc_end18-_ZL26flash_attn_combine_resultsILi96EEvPKfPK15HIP_vector_typeIfLj2EEPfi
                                        ; -- End function
	.section	.AMDGPU.csdata,"",@progbits
; Kernel info:
; codeLenInByte = 2420
; NumSgprs: 22
; NumVgprs: 57
; ScratchSize: 0
; MemoryBound: 0
; FloatMode: 240
; IeeeMode: 1
; LDSByteSize: 0 bytes/workgroup (compile time only)
; SGPRBlocks: 2
; VGPRBlocks: 7
; NumSGPRsForWavesPerEU: 22
; NumVGPRsForWavesPerEU: 57
; Occupancy: 16
; WaveLimiterHint : 0
; COMPUTE_PGM_RSRC2:SCRATCH_EN: 0
; COMPUTE_PGM_RSRC2:USER_SGPR: 13
; COMPUTE_PGM_RSRC2:TRAP_HANDLER: 0
; COMPUTE_PGM_RSRC2:TGID_X_EN: 1
; COMPUTE_PGM_RSRC2:TGID_Y_EN: 1
; COMPUTE_PGM_RSRC2:TGID_Z_EN: 1
; COMPUTE_PGM_RSRC2:TIDIG_COMP_CNT: 0
	.section	.text._ZL18flash_attn_ext_f16ILi112ELi112ELi16ELi4ELb0ELb0EEvPKcS1_S1_S1_S1_PKiPfP15HIP_vector_typeIfLj2EEffffjfiS5_IjLj3EEiiiiiiiiiiiliiliiiiil,"axG",@progbits,_ZL18flash_attn_ext_f16ILi112ELi112ELi16ELi4ELb0ELb0EEvPKcS1_S1_S1_S1_PKiPfP15HIP_vector_typeIfLj2EEffffjfiS5_IjLj3EEiiiiiiiiiiiliiliiiiil,comdat
	.globl	_ZL18flash_attn_ext_f16ILi112ELi112ELi16ELi4ELb0ELb0EEvPKcS1_S1_S1_S1_PKiPfP15HIP_vector_typeIfLj2EEffffjfiS5_IjLj3EEiiiiiiiiiiiliiliiiiil ; -- Begin function _ZL18flash_attn_ext_f16ILi112ELi112ELi16ELi4ELb0ELb0EEvPKcS1_S1_S1_S1_PKiPfP15HIP_vector_typeIfLj2EEffffjfiS5_IjLj3EEiiiiiiiiiiiliiliiiiil
	.p2align	8
	.type	_ZL18flash_attn_ext_f16ILi112ELi112ELi16ELi4ELb0ELb0EEvPKcS1_S1_S1_S1_PKiPfP15HIP_vector_typeIfLj2EEffffjfiS5_IjLj3EEiiiiiiiiiiiliiliiiiil,@function
_ZL18flash_attn_ext_f16ILi112ELi112ELi16ELi4ELb0ELb0EEvPKcS1_S1_S1_S1_PKiPfP15HIP_vector_typeIfLj2EEffffjfiS5_IjLj3EEiiiiiiiiiiiliiliiiiil: ; @_ZL18flash_attn_ext_f16ILi112ELi112ELi16ELi4ELb0ELb0EEvPKcS1_S1_S1_S1_PKiPfP15HIP_vector_typeIfLj2EEffffjfiS5_IjLj3EEiiiiiiiiiiiliiliiiiil
; %bb.0:
	s_clause 0x2
	s_load_b64 s[2:3], s[0:1], 0x80
	s_load_b128 s[8:11], s[0:1], 0x64
	; meta instruction
	s_load_b32 s23, s[0:1], 0xd0
	s_mov_b32 s22, s15
	s_waitcnt lgkmcnt(0)
	s_abs_i32 s4, s3
	s_abs_i32 s7, s9
	v_cvt_f32_u32_e32 v1, s4
	s_sub_i32 s6, 0, s4
	v_cvt_f32_u32_e32 v2, s23
	s_delay_alu instid0(VALU_DEP_2) | instskip(SKIP_2) | instid1(VALU_DEP_1)
	v_rcp_iflag_f32_e32 v1, v1
	s_waitcnt_depctr 0xfff
	v_mul_f32_e32 v1, 0x4f7ffffe, v1
	v_cvt_u32_f32_e32 v1, v1
	s_delay_alu instid0(VALU_DEP_1) | instskip(SKIP_1) | instid1(VALU_DEP_2)
	v_readfirstlane_b32 s5, v1
	v_cvt_f32_ubyte0_e32 v1, 0
	s_mul_i32 s6, s6, s5
	s_delay_alu instid0(SALU_CYCLE_1) | instskip(NEXT) | instid1(SALU_CYCLE_1)
	s_mul_hi_u32 s6, s5, s6
	s_add_i32 s5, s5, s6
	s_xor_b32 s6, s9, s3
	s_mul_hi_u32 s5, s7, s5
	s_ashr_i32 s6, s6, 31
	s_mul_i32 s12, s5, s4
	s_delay_alu instid0(SALU_CYCLE_1)
	s_sub_i32 s7, s7, s12
	s_add_i32 s12, s5, 1
	s_sub_i32 s13, s7, s4
	s_cmp_ge_u32 s7, s4
	s_cselect_b32 s5, s12, s5
	s_cselect_b32 s7, s13, s7
	s_add_i32 s12, s5, 1
	s_cmp_ge_u32 s7, s4
	s_cselect_b32 s4, s12, s5
	s_add_i32 s2, s2, 63
	s_xor_b32 s4, s4, s6
	s_add_i32 s5, s8, 15
	s_ashr_i32 s7, s2, 31
	s_sub_i32 s33, s4, s6
	s_lshr_b32 s12, s5, 4
	s_add_i32 s4, s33, 3
	s_lshr_b32 s5, s7, 26
	s_ashr_i32 s6, s4, 31
	s_add_i32 s2, s2, s5
	v_writelane_b32 v254, s12, 0
	s_lshr_b32 s5, s6, 30
	s_ashr_i32 s80, s2, 6
	s_add_i32 s4, s4, s5
	s_mul_i32 s5, s12, s80
	s_ashr_i32 s2, s4, 2
	v_writelane_b32 v254, s5, 1
	s_mul_i32 s2, s5, s2
	s_delay_alu instid0(SALU_CYCLE_1) | instskip(SKIP_1) | instid1(SALU_CYCLE_1)
	v_writelane_b32 v254, s2, 2
	s_mul_i32 s2, s2, s3
	s_mul_i32 s4, s2, s10
	s_delay_alu instid0(SALU_CYCLE_1)
	s_ashr_i32 s5, s4, 31
	v_writelane_b32 v254, s2, 3
	s_mul_hi_u32 s3, s4, s15
	s_mul_i32 s6, s5, s15
	s_mov_b32 s2, 0
	s_add_i32 s3, s3, s6
	s_add_u32 s6, s0, 0xd0
	s_addc_u32 s7, s1, 0
	v_writelane_b32 v254, s6, 4
	s_cmp_lg_u64 s[2:3], 0
	v_writelane_b32 v254, s7, 5
	s_mul_i32 s6, s4, s15
	s_cbranch_scc0 .LBB19_2
; %bb.1:
	v_fmamk_f32 v3, v1, 0x4f800000, v2
	s_sub_u32 s12, 0, s23
	s_subb_u32 s13, 0, 0
	s_delay_alu instid0(VALU_DEP_1) | instskip(SKIP_2) | instid1(VALU_DEP_1)
	v_rcp_f32_e32 v3, v3
	s_waitcnt_depctr 0xfff
	v_mul_f32_e32 v3, 0x5f7ffffc, v3
	v_mul_f32_e32 v4, 0x2f800000, v3
	s_delay_alu instid0(VALU_DEP_1) | instskip(NEXT) | instid1(VALU_DEP_1)
	v_trunc_f32_e32 v4, v4
	v_fmamk_f32 v3, v4, 0xcf800000, v3
	v_cvt_u32_f32_e32 v4, v4
	s_delay_alu instid0(VALU_DEP_2) | instskip(NEXT) | instid1(VALU_DEP_2)
	v_cvt_u32_f32_e32 v3, v3
	v_readfirstlane_b32 s7, v4
	s_delay_alu instid0(VALU_DEP_2) | instskip(NEXT) | instid1(VALU_DEP_2)
	v_readfirstlane_b32 s10, v3
	s_mul_i32 s14, s12, s7
	s_delay_alu instid0(VALU_DEP_1)
	s_mul_hi_u32 s16, s12, s10
	s_mul_i32 s15, s13, s10
	s_add_i32 s14, s16, s14
	s_mul_i32 s17, s12, s10
	s_add_i32 s14, s14, s15
	s_mul_hi_u32 s16, s10, s17
	s_mul_hi_u32 s18, s7, s17
	s_mul_i32 s15, s7, s17
	s_mul_hi_u32 s17, s10, s14
	s_mul_i32 s10, s10, s14
	s_mul_hi_u32 s19, s7, s14
	s_add_u32 s10, s16, s10
	s_addc_u32 s16, 0, s17
	s_add_u32 s10, s10, s15
	s_mul_i32 s14, s7, s14
	s_addc_u32 s10, s16, s18
	s_addc_u32 s15, s19, 0
	s_add_u32 s10, s10, s14
	s_addc_u32 s14, 0, s15
	v_add_co_u32 v3, s10, v3, s10
	s_delay_alu instid0(VALU_DEP_1) | instskip(SKIP_1) | instid1(VALU_DEP_1)
	s_cmp_lg_u32 s10, 0
	s_addc_u32 s7, s7, s14
	v_readfirstlane_b32 s10, v3
	s_mul_i32 s14, s12, s7
	s_delay_alu instid0(VALU_DEP_1)
	s_mul_hi_u32 s15, s12, s10
	s_mul_i32 s13, s13, s10
	s_add_i32 s14, s15, s14
	s_mul_i32 s12, s12, s10
	s_add_i32 s14, s14, s13
	s_mul_hi_u32 s15, s7, s12
	s_mul_i32 s16, s7, s12
	s_mul_hi_u32 s12, s10, s12
	s_mul_hi_u32 s17, s10, s14
	s_mul_i32 s10, s10, s14
	s_mul_hi_u32 s13, s7, s14
	s_add_u32 s10, s12, s10
	s_addc_u32 s12, 0, s17
	s_add_u32 s10, s10, s16
	s_mul_i32 s14, s7, s14
	s_addc_u32 s10, s12, s15
	s_addc_u32 s12, s13, 0
	s_add_u32 s10, s10, s14
	s_addc_u32 s12, 0, s12
	v_add_co_u32 v3, s10, v3, s10
	s_delay_alu instid0(VALU_DEP_1) | instskip(SKIP_2) | instid1(SALU_CYCLE_1)
	s_cmp_lg_u32 s10, 0
	s_addc_u32 s7, s7, s12
	s_ashr_i32 s12, s3, 31
	s_add_u32 s14, s6, s12
	s_addc_u32 s15, s3, s12
	v_readfirstlane_b32 s3, v3
	s_mov_b32 s13, s12
	s_delay_alu instid0(SALU_CYCLE_1) | instskip(NEXT) | instid1(SALU_CYCLE_1)
	s_xor_b64 s[14:15], s[14:15], s[12:13]
	s_mul_i32 s16, s14, s7
	s_delay_alu instid0(VALU_DEP_1)
	s_mul_hi_u32 s17, s14, s3
	s_mul_hi_u32 s10, s14, s7
	;; [unrolled: 1-line block ×3, first 2 shown]
	s_mul_i32 s3, s15, s3
	s_add_u32 s16, s17, s16
	s_addc_u32 s10, 0, s10
	s_mul_hi_u32 s18, s15, s7
	s_add_u32 s3, s16, s3
	s_mul_i32 s7, s15, s7
	s_addc_u32 s3, s10, s19
	s_addc_u32 s10, s18, 0
	s_add_u32 s3, s3, s7
	s_addc_u32 s7, 0, s10
	s_mul_i32 s16, s23, s3
	s_add_u32 s10, s3, 1
	v_sub_co_u32 v3, s14, s14, s16
	s_mul_hi_u32 s16, s23, s3
	s_addc_u32 s17, s7, 0
	s_mul_i32 s18, s23, s7
	s_delay_alu instid0(VALU_DEP_1)
	v_sub_co_u32 v4, s19, v3, s23
	s_add_u32 s20, s3, 2
	s_addc_u32 s21, s7, 0
	s_add_i32 s16, s16, s18
	s_cmp_lg_u32 s14, 0
	v_readfirstlane_b32 s14, v4
	s_subb_u32 s15, s15, s16
	s_cmp_lg_u32 s19, 0
	s_subb_u32 s16, s15, 0
	s_delay_alu instid0(VALU_DEP_1) | instskip(SKIP_4) | instid1(SALU_CYCLE_1)
	s_cmp_ge_u32 s14, s23
	s_cselect_b32 s14, -1, 0
	s_cmp_eq_u32 s16, 0
	v_readfirstlane_b32 s16, v3
	s_cselect_b32 s14, s14, -1
	s_cmp_lg_u32 s14, 0
	s_cselect_b32 s10, s20, s10
	s_cselect_b32 s14, s21, s17
	s_cmp_ge_u32 s16, s23
	s_cselect_b32 s16, -1, 0
	s_cmp_eq_u32 s15, 0
	s_cselect_b32 s15, s16, -1
	s_delay_alu instid0(SALU_CYCLE_1) | instskip(SKIP_2) | instid1(SALU_CYCLE_1)
	s_cmp_lg_u32 s15, 0
	s_cselect_b32 s15, s14, s7
	s_cselect_b32 s14, s10, s3
	s_xor_b64 s[14:15], s[14:15], s[12:13]
	s_delay_alu instid0(SALU_CYCLE_1)
	s_sub_u32 s58, s14, s12
	s_branch .LBB19_3
.LBB19_2:
	s_mov_b32 s2, -1
                                        ; implicit-def: $sgpr58_sgpr59
.LBB19_3:
	s_load_b64 s[12:13], s[0:1], 0x74
	v_cvt_f32_u32_e32 v3, s23
	s_and_not1_b32 vcc_lo, exec_lo, s2
	s_waitcnt lgkmcnt(0)
	v_writelane_b32 v254, s12, 6
	v_writelane_b32 v254, s13, 7
	s_cbranch_vccnz .LBB19_5
; %bb.4:
	v_rcp_iflag_f32_e32 v4, v3
	s_sub_i32 s3, 0, s23
	s_waitcnt_depctr 0xfff
	v_mul_f32_e32 v4, 0x4f7ffffe, v4
	s_delay_alu instid0(VALU_DEP_1) | instskip(NEXT) | instid1(VALU_DEP_1)
	v_cvt_u32_f32_e32 v4, v4
	v_readfirstlane_b32 s2, v4
	s_delay_alu instid0(VALU_DEP_1) | instskip(NEXT) | instid1(SALU_CYCLE_1)
	s_mul_i32 s3, s3, s2
	s_mul_hi_u32 s3, s2, s3
	s_delay_alu instid0(SALU_CYCLE_1) | instskip(NEXT) | instid1(SALU_CYCLE_1)
	s_add_i32 s2, s2, s3
	s_mul_hi_u32 s2, s6, s2
	s_delay_alu instid0(SALU_CYCLE_1) | instskip(NEXT) | instid1(SALU_CYCLE_1)
	s_mul_i32 s3, s2, s23
	s_sub_i32 s3, s6, s3
	s_add_i32 s6, s2, 1
	s_sub_i32 s7, s3, s23
	s_cmp_ge_u32 s3, s23
	s_cselect_b32 s2, s6, s2
	s_cselect_b32 s3, s7, s3
	s_add_i32 s6, s2, 1
	s_cmp_ge_u32 s3, s23
	s_cselect_b32 s58, s6, s2
.LBB19_5:
	s_add_i32 s6, s22, 1
	s_delay_alu instid0(SALU_CYCLE_1) | instskip(SKIP_4) | instid1(SALU_CYCLE_1)
	s_mul_i32 s2, s5, s6
	s_mul_hi_u32 s3, s4, s6
	s_mul_i32 s4, s4, s6
	s_add_i32 s3, s3, s2
	s_mov_b32 s2, 0
	s_cmp_lg_u64 s[2:3], 0
	s_cbranch_scc0 .LBB19_7
; %bb.6:
	v_fmamk_f32 v1, v1, 0x4f800000, v2
	s_sub_u32 s7, 0, s23
	s_subb_u32 s10, 0, 0
	s_delay_alu instid0(VALU_DEP_1) | instskip(SKIP_2) | instid1(VALU_DEP_1)
	v_rcp_f32_e32 v1, v1
	s_waitcnt_depctr 0xfff
	v_mul_f32_e32 v1, 0x5f7ffffc, v1
	v_mul_f32_e32 v2, 0x2f800000, v1
	s_delay_alu instid0(VALU_DEP_1) | instskip(NEXT) | instid1(VALU_DEP_1)
	v_trunc_f32_e32 v2, v2
	v_fmamk_f32 v1, v2, 0xcf800000, v1
	v_cvt_u32_f32_e32 v2, v2
	s_delay_alu instid0(VALU_DEP_2) | instskip(NEXT) | instid1(VALU_DEP_2)
	v_cvt_u32_f32_e32 v1, v1
	v_readfirstlane_b32 s5, v2
	s_delay_alu instid0(VALU_DEP_2) | instskip(NEXT) | instid1(VALU_DEP_2)
	v_readfirstlane_b32 s6, v1
	s_mul_i32 s12, s7, s5
	s_delay_alu instid0(VALU_DEP_1)
	s_mul_hi_u32 s14, s7, s6
	s_mul_i32 s13, s10, s6
	s_add_i32 s12, s14, s12
	s_mul_i32 s15, s7, s6
	s_add_i32 s12, s12, s13
	s_mul_hi_u32 s14, s6, s15
	s_mul_hi_u32 s16, s5, s15
	s_mul_i32 s13, s5, s15
	s_mul_hi_u32 s15, s6, s12
	s_mul_i32 s6, s6, s12
	s_mul_hi_u32 s17, s5, s12
	s_add_u32 s6, s14, s6
	s_addc_u32 s14, 0, s15
	s_add_u32 s6, s6, s13
	s_mul_i32 s12, s5, s12
	s_addc_u32 s6, s14, s16
	s_addc_u32 s13, s17, 0
	s_add_u32 s6, s6, s12
	s_addc_u32 s12, 0, s13
	v_add_co_u32 v1, s6, v1, s6
	s_delay_alu instid0(VALU_DEP_1) | instskip(SKIP_1) | instid1(VALU_DEP_1)
	s_cmp_lg_u32 s6, 0
	s_addc_u32 s5, s5, s12
	v_readfirstlane_b32 s6, v1
	s_mul_i32 s12, s7, s5
	s_delay_alu instid0(VALU_DEP_1)
	s_mul_hi_u32 s13, s7, s6
	s_mul_i32 s10, s10, s6
	s_add_i32 s12, s13, s12
	s_mul_i32 s7, s7, s6
	s_add_i32 s12, s12, s10
	s_mul_hi_u32 s13, s5, s7
	s_mul_i32 s14, s5, s7
	s_mul_hi_u32 s7, s6, s7
	s_mul_hi_u32 s15, s6, s12
	s_mul_i32 s6, s6, s12
	s_mul_hi_u32 s10, s5, s12
	s_add_u32 s6, s7, s6
	s_addc_u32 s7, 0, s15
	s_add_u32 s6, s6, s14
	s_mul_i32 s12, s5, s12
	s_addc_u32 s6, s7, s13
	s_addc_u32 s7, s10, 0
	s_add_u32 s6, s6, s12
	s_addc_u32 s7, 0, s7
	v_add_co_u32 v1, s6, v1, s6
	s_delay_alu instid0(VALU_DEP_1) | instskip(SKIP_2) | instid1(SALU_CYCLE_1)
	s_cmp_lg_u32 s6, 0
	s_addc_u32 s5, s5, s7
	s_ashr_i32 s6, s3, 31
	s_add_u32 s12, s4, s6
	s_addc_u32 s13, s3, s6
	v_readfirstlane_b32 s3, v1
	s_mov_b32 s7, s6
	s_delay_alu instid0(SALU_CYCLE_1) | instskip(NEXT) | instid1(SALU_CYCLE_1)
	s_xor_b64 s[12:13], s[12:13], s[6:7]
	s_mul_i32 s14, s12, s5
	s_delay_alu instid0(VALU_DEP_1)
	s_mul_hi_u32 s15, s12, s3
	s_mul_hi_u32 s10, s12, s5
	;; [unrolled: 1-line block ×3, first 2 shown]
	s_mul_i32 s3, s13, s3
	s_add_u32 s14, s15, s14
	s_addc_u32 s10, 0, s10
	s_mul_hi_u32 s16, s13, s5
	s_add_u32 s3, s14, s3
	s_mul_i32 s5, s13, s5
	s_addc_u32 s3, s10, s17
	s_addc_u32 s10, s16, 0
	s_add_u32 s3, s3, s5
	s_addc_u32 s5, 0, s10
	s_mul_i32 s14, s23, s3
	s_add_u32 s10, s3, 1
	v_sub_co_u32 v1, s12, s12, s14
	s_mul_hi_u32 s14, s23, s3
	s_addc_u32 s15, s5, 0
	s_mul_i32 s16, s23, s5
	s_delay_alu instid0(VALU_DEP_1)
	v_sub_co_u32 v2, s17, v1, s23
	s_add_u32 s18, s3, 2
	s_addc_u32 s19, s5, 0
	s_add_i32 s14, s14, s16
	s_cmp_lg_u32 s12, 0
	v_readfirstlane_b32 s12, v2
	s_subb_u32 s13, s13, s14
	s_cmp_lg_u32 s17, 0
	s_subb_u32 s14, s13, 0
	s_delay_alu instid0(VALU_DEP_1) | instskip(SKIP_4) | instid1(SALU_CYCLE_1)
	s_cmp_ge_u32 s12, s23
	s_cselect_b32 s12, -1, 0
	s_cmp_eq_u32 s14, 0
	v_readfirstlane_b32 s14, v1
	s_cselect_b32 s12, s12, -1
	s_cmp_lg_u32 s12, 0
	s_cselect_b32 s10, s18, s10
	s_cselect_b32 s12, s19, s15
	s_cmp_ge_u32 s14, s23
	s_cselect_b32 s14, -1, 0
	s_cmp_eq_u32 s13, 0
	s_cselect_b32 s13, s14, -1
	s_delay_alu instid0(SALU_CYCLE_1) | instskip(SKIP_2) | instid1(SALU_CYCLE_1)
	s_cmp_lg_u32 s13, 0
	s_cselect_b32 s13, s12, s5
	s_cselect_b32 s12, s10, s3
	s_xor_b64 s[12:13], s[12:13], s[6:7]
	s_delay_alu instid0(SALU_CYCLE_1)
	s_sub_u32 s62, s12, s6
	s_branch .LBB19_8
.LBB19_7:
	s_mov_b32 s2, -1
                                        ; implicit-def: $sgpr62_sgpr63
.LBB19_8:
	s_load_b64 s[48:49], s[0:1], 0x5c
	v_writelane_b32 v254, s22, 8
	s_and_not1_b32 vcc_lo, exec_lo, s2
	s_cbranch_vccnz .LBB19_10
; %bb.9:
	v_rcp_iflag_f32_e32 v1, v3
	s_sub_i32 s3, 0, s23
	s_waitcnt_depctr 0xfff
	v_mul_f32_e32 v1, 0x4f7ffffe, v1
	s_delay_alu instid0(VALU_DEP_1) | instskip(NEXT) | instid1(VALU_DEP_1)
	v_cvt_u32_f32_e32 v1, v1
	v_readfirstlane_b32 s2, v1
	s_delay_alu instid0(VALU_DEP_1) | instskip(NEXT) | instid1(SALU_CYCLE_1)
	s_mul_i32 s3, s3, s2
	s_mul_hi_u32 s3, s2, s3
	s_delay_alu instid0(SALU_CYCLE_1) | instskip(NEXT) | instid1(SALU_CYCLE_1)
	s_add_i32 s2, s2, s3
	s_mul_hi_u32 s2, s4, s2
	s_delay_alu instid0(SALU_CYCLE_1) | instskip(NEXT) | instid1(SALU_CYCLE_1)
	s_mul_i32 s3, s2, s23
	s_sub_i32 s3, s4, s3
	s_add_i32 s4, s2, 1
	s_sub_i32 s5, s3, s23
	s_cmp_ge_u32 s3, s23
	s_cselect_b32 s2, s4, s2
	s_cselect_b32 s3, s5, s3
	s_add_i32 s4, s2, 1
	s_cmp_ge_u32 s3, s23
	s_cselect_b32 s62, s4, s2
.LBB19_10:
	v_writelane_b32 v254, s23, 9
	s_clause 0x4
	s_load_b512 s[16:31], s[0:1], 0x0
	s_load_b32 s2, s[0:1], 0x40
	s_load_b64 s[6:7], s[0:1], 0x8c
	s_load_b128 s[44:47], s[0:1], 0x98
	s_load_b64 s[4:5], s[0:1], 0xa8
	s_abs_i32 s81, s80
	s_clause 0x1
	s_load_b64 s[50:51], s[0:1], 0xb8
	s_load_b64 s[0:1], s[0:1], 0xc8
	v_cvt_f32_u32_e32 v1, s81
	v_bfe_u32 v245, v0, 10, 10
	v_and_b32_e32 v236, 0x3ff, v0
	s_sub_i32 s3, 0, s81
	s_ashr_i32 s59, s11, 3
	v_rcp_iflag_f32_e32 v1, v1
	v_add_nc_u32_e32 v220, 4, v245
	v_add_nc_u32_e32 v219, 8, v245
	;; [unrolled: 1-line block ×3, first 2 shown]
	v_and_b32_e32 v86, 3, v245
	v_lshrrev_b32_e32 v243, 2, v245
	v_mul_u32_u24_e32 v221, 60, v245
	v_add_nc_u32_e32 v244, 16, v245
	v_add_nc_u32_e32 v238, 20, v245
	s_waitcnt lgkmcnt(0)
	v_cvt_f16_f32_e32 v0, s2
	v_mul_f32_e32 v1, 0x4f7ffffe, v1
	s_ashr_i32 s12, s6, 2
	v_writelane_b32 v254, s4, 10
	s_ashr_i32 s34, s51, 1
	v_pack_b32_f16 v228, v0, v0
	v_mov_b32_e32 v0, v236
	v_cvt_u32_f32_e32 v1, v1
	v_writelane_b32 v254, s5, 11
	s_ashr_i32 s10, s46, 2
	s_mov_b32 s5, s7
	v_add_nc_u32_e32 v217, 24, v245
	v_readfirstlane_b32 s4, v1
	v_writelane_b32 v254, s0, 12
	v_add_nc_u32_e32 v218, 28, v245
	v_add_nc_u32_e32 v241, 32, v245
	;; [unrolled: 1-line block ×3, first 2 shown]
	s_mul_i32 s3, s3, s4
	v_writelane_b32 v254, s1, 13
	s_mul_hi_u32 s3, s4, s3
	v_add_nc_u32_e32 v52, 40, v245
	s_add_i32 s55, s4, s3
	v_add_nc_u32_e32 v51, 44, v245
	v_readlane_b32 s0, v254, 6
	v_readlane_b32 s1, v254, 7
	s_ashr_i32 s1, s80, 31
	v_add_nc_u32_e32 v239, 48, v245
	v_writelane_b32 v254, s1, 14
	s_abs_i32 s1, s58
	s_ashr_i32 s14, s0, 3
	s_mul_hi_u32 s3, s1, s55
	s_ashr_i32 s0, s58, 31
	s_mul_i32 s3, s3, s81
	v_writelane_b32 v254, s4, 15
	s_sub_i32 s1, s1, s3
	v_add_nc_u32_e32 v50, 52, v245
	s_sub_i32 s3, s1, s81
	s_cmp_ge_u32 s1, s81
	v_writelane_b32 v254, s5, 16
	s_cselect_b32 s1, s3, s1
	v_add_nc_u32_e32 v49, 56, v245
	s_sub_i32 s3, s1, s81
	s_cmp_ge_u32 s1, s81
	v_add_nc_u32_e32 v46, 60, v245
	s_cselect_b32 s1, s3, s1
	s_sub_i32 s3, s62, s58
	s_xor_b32 s1, s1, s0
	v_and_b32_e32 v240, 15, v245
	s_sub_i32 s63, s1, s0
	v_writelane_b32 v254, s14, 17
	s_add_i32 s3, s3, s63
	s_mov_b32 s65, 0
	s_min_i32 s101, s80, s3
	s_cmp_gt_i32 s62, s58
	s_clause 0x9
	scratch_store_b64 off, v[0:1], off offset:912
	scratch_store_b32 off, v245, off offset:1212
	scratch_store_b32 off, v219, off offset:1216
	;; [unrolled: 1-line block ×9, first 2 shown]
	s_cselect_b32 s0, -1, 0
	s_cmp_le_i32 s62, s58
	s_cselect_b32 s1, -1, 0
	s_cmp_gt_i32 s80, s3
	s_cselect_b32 s2, -1, 0
	s_delay_alu instid0(SALU_CYCLE_1) | instskip(NEXT) | instid1(SALU_CYCLE_1)
	s_or_b32 s1, s2, s1
	s_and_b32 vcc_lo, exec_lo, s1
	s_cbranch_vccz .LBB19_13
; %bb.11:
	s_and_not1_b32 vcc_lo, exec_lo, s0
	s_cbranch_vccz .LBB19_538
.LBB19_12:
	s_endpgm
.LBB19_13:
	v_lshrrev_b32_e32 v2, 3, v236
	v_lshlrev_b32_e32 v31, 4, v245
	v_lshrrev_b32_e32 v0, 1, v236
	s_cmp_eq_u64 s[24:25], 0
	v_bfe_u32 v84, v236, 3, 2
	v_lshl_add_u32 v32, v245, 2, v2
	s_cselect_b32 s0, -1, 0
	v_add_nc_u32_e32 v28, v31, v0
	v_writelane_b32 v254, s0, 18
	s_cmp_lg_u64 s[26:27], 0
	v_mul_lo_u32 v0, s12, v32
	s_cselect_b32 s0, -1, 0
	v_mul_lo_u32 v14, s10, v32
	v_writelane_b32 v254, s0, 19
	s_lshl_b32 s0, s12, 4
	s_ashr_i32 s35, s34, 31
	s_ashr_i32 s13, s12, 31
	;; [unrolled: 1-line block ×3, first 2 shown]
	v_add_nc_u32_e32 v4, s0, v0
	v_lshrrev_b32_e32 v1, 2, v236
	v_readlane_b32 s7, v254, 2
	v_lshrrev_b32_e32 v253, 4, v236
	v_readlane_b32 s15, v254, 3
	v_add_nc_u32_e32 v6, s0, v4
	v_lshl_add_u32 v7, v245, 3, v1
	v_mad_u32_u24 v37, 0xf0, v32, 0
	v_lshl_add_u32 v45, v253, 1, 0
	v_readlane_b32 s6, v254, 1
	v_add_nc_u32_e32 v12, s0, v6
	s_lshl_b32 s0, s10, 4
	v_mul_u32_u24_e32 v30, 0xf0, v7
	v_add_nc_u32_e32 v23, s0, v14
	v_dual_mov_b32 v80, 0 :: v_dual_and_b32 v55, 7, v236
	v_lshrrev_b32_e32 v41, 2, v32
	v_ashrrev_i32_e32 v1, 31, v0
	s_delay_alu instid0(VALU_DEP_4) | instskip(NEXT) | instid1(VALU_DEP_4)
	v_add_nc_u32_e32 v27, s0, v23
	v_lshlrev_b32_e32 v40, 2, v55
	v_and_or_b32 v42, 0xf0, v241, v240
	v_and_or_b32 v43, 0xf0, v239, v240
	v_lshlrev_b64 v[72:73], 2, v[0:1]
	v_add_nc_u32_e32 v29, s0, v27
	v_readlane_b32 s0, v254, 8
	v_mul_u32_u24_e32 v42, 60, v42
	v_mul_lo_u32 v19, s10, v7
	v_mul_u32_u24_e32 v43, 60, v43
	v_mul_lo_u32 v2, s12, v7
	s_lshl_b32 s64, s0, 6
	v_lshlrev_b32_e32 v42, 2, v42
	s_lshl_b64 s[0:1], s[64:65], 3
	v_lshlrev_b32_e32 v43, 2, v43
	s_add_u32 s0, s30, s0
	s_addc_u32 s1, s31, s1
	s_abs_i32 s87, s50
	s_abs_i32 s85, s7
	v_cvt_f32_u32_e32 v39, s87
	s_abs_i32 s84, s15
	s_abs_i32 s86, s6
	v_ashrrev_i32_e32 v20, 31, v19
	v_lshl_add_u32 v25, s10, 5, v19
	v_rcp_iflag_f32_e32 v39, v39
	v_lshlrev_b32_e32 v53, 2, v236
	v_ashrrev_i32_e32 v3, 31, v2
	v_lshlrev_b64 v[182:183], 2, v[19:20]
	v_ashrrev_i32_e32 v26, 31, v25
	v_lshl_add_u32 v10, s12, 5, v2
	v_and_b32_e32 v17, 12, v53
	v_and_b32_e32 v16, 4, v53
	;; [unrolled: 1-line block ×3, first 2 shown]
	v_lshlrev_b64 v[184:185], 2, v[25:26]
	v_lshlrev_b64 v[68:69], 2, v[2:3]
	v_lshlrev_b32_e32 v34, 2, v17
	v_lshlrev_b32_e32 v36, 2, v16
	v_ashrrev_i32_e32 v11, 31, v10
	v_ashrrev_i32_e32 v24, 31, v23
	v_lshlrev_b32_e32 v175, 2, v16
	v_add3_u32 v34, 0, v30, v34
	v_ashrrev_i32_e32 v30, 31, v29
	v_lshlrev_b64 v[70:71], 2, v[10:11]
	v_lshlrev_b64 v[188:189], 2, v[23:24]
	v_ashrrev_i32_e32 v5, 31, v4
	v_add_nc_u32_e32 v168, 0x80, v34
	v_add_nc_u32_e32 v169, 0x1e80, v34
	v_cvt_f32_u32_e32 v34, s85
	v_lshlrev_b64 v[192:193], 2, v[29:30]
	v_lshlrev_b64 v[74:75], 2, v[4:5]
	v_ashrrev_i32_e32 v7, 31, v6
	v_cmp_gt_u32_e64 s36, 16, v236
	v_rcp_iflag_f32_e32 v34, v34
	v_mul_lo_u32 v1, v84, s14
	v_lshlrev_b32_e32 v194, 2, v18
	v_lshlrev_b64 v[76:77], 2, v[6:7]
	v_writelane_b32 v254, s36, 20
	v_mul_u32_u24_e32 v81, 0x90, v245
	v_xor_b32_e32 v195, 1, v253
	v_lshlrev_b32_e32 v96, 4, v55
                                        ; implicit-def: $vgpr255 : SGPR spill to VGPR lane
	s_lshl_b64 s[68:69], s[10:11], 8
	v_writelane_b32 v255, s55, 0
	v_mul_f32_e32 v34, 0x4f7ffffe, v34
	v_and_or_b32 v13, v236, 12, v31
	s_lshl_b64 s[70:71], s[12:13], 8
	s_mov_b32 s36, s65
	s_mov_b32 s37, s65
	v_cvt_u32_f32_e32 v34, v34
	v_lshrrev_b32_e32 v33, 2, v13
	v_ashrrev_i32_e32 v13, 31, v12
	s_mov_b32 s38, s65
	s_mov_b32 s39, s65
	v_readfirstlane_b32 s3, v34
	v_mul_u32_u24_e32 v15, 0x90, v33
	v_mad_u32_u24 v230, 0x90, v33, v45
	v_cvt_f32_u32_e32 v33, s84
	v_lshlrev_b64 v[78:79], 2, v[12:13]
	s_mov_b32 s40, s65
	s_mov_b32 s41, s65
	;; [unrolled: 1-line block ×3, first 2 shown]
	v_rcp_iflag_f32_e32 v33, v33
	s_mov_b32 s43, s65
	scratch_store_b32 off, v41, off offset:1024 ; 4-byte Folded Spill
	v_mul_f32_e32 v33, 0x4f7ffffe, v33
	v_mad_u32_u24 v35, 0xf0, v28, 0
	v_mul_lo_u32 v21, s10, v28
	v_mul_lo_u32 v8, s12, v28
	v_ashrrev_i32_e32 v28, 31, v27
	v_cvt_u32_f32_e32 v33, v33
	v_add3_u32 v231, v35, v36, 0xc0
	v_lshlrev_b32_e32 v35, 2, v18
	v_add_nc_u32_e32 v36, 0xf00, v37
	v_lshlrev_b64 v[190:191], 2, v[27:28]
	v_readfirstlane_b32 s2, v33
	v_ashrrev_i32_e32 v22, 31, v21
	v_add_nc_u32_e32 v172, v37, v35
	v_add_nc_u32_e32 v174, v36, v35
	v_cvt_f32_u32_e32 v35, s86
	v_add_nc_u32_e32 v64, v36, v40
	v_dual_mul_f32 v36, 0x4f7ffffe, v39 :: v_dual_add_nc_u32 v37, v37, v40
	v_add_nc_u32_e32 v40, 48, v32
	s_delay_alu instid0(VALU_DEP_4)
	v_rcp_iflag_f32_e32 v35, v35
	v_and_b32_e32 v54, 15, v236
	v_add_nc_u32_e32 v120, 0, v53
	v_lshlrev_b64 v[178:179], 2, v[21:22]
	v_ashrrev_i32_e32 v9, 31, v8
	v_add_nc_u32_e32 v196, 0xf00, v174
	v_add_nc_u32_e32 v197, 0x1e00, v174
	s_delay_alu instid0(VALU_DEP_3) | instskip(NEXT) | instid1(TRANS32_DEP_1)
	v_lshlrev_b64 v[66:67], 2, v[8:9]
	v_dual_mul_f32 v35, 0x4f7ffffe, v35 :: v_dual_lshlrev_b32 v38, 1, v54
	v_mad_u32_u24 v233, 0xf0, v54, 0
	s_delay_alu instid0(VALU_DEP_2) | instskip(NEXT) | instid1(VALU_DEP_3)
	v_cvt_u32_f32_e32 v33, v35
	v_add3_u32 v35, 0, 0x1e80, v38
	v_add3_u32 v34, 0, 0x2d80, v38
	v_add_nc_u32_e32 v235, 0, v38
	v_add3_u32 v247, 0, 0xf00, v38
	v_readfirstlane_b32 s4, v33
	s_clause 0x1
	scratch_store_b32 off, v35, off offset:244
	scratch_store_b32 off, v34, off offset:252
	v_cvt_u32_f32_e32 v35, v36
	v_lshl_add_u32 v33, v245, 1, v253
	scratch_store_b32 off, v37, off offset:928 ; 4-byte Folded Spill
	v_add3_u32 v144, 0, 0x1e00, v38
	v_add3_u32 v234, 0, 0x2d00, v38
	v_readfirstlane_b32 s5, v35
	v_add_nc_u32_e32 v35, 8, v33
	v_mad_u32_u24 v34, v33, 60, v54
	v_add_nc_u32_e32 v36, 24, v33
	v_add3_u32 v250, 0, 32, v38
	v_add3_u32 v237, 0, 0xf20, v38
	v_lshrrev_b32_e32 v35, 2, v35
	scratch_store_b32 off, v15, off offset:976 ; 4-byte Folded Spill
	v_lshl_add_u32 v65, v34, 2, 0
	v_add_nc_u32_e32 v34, 40, v33
	v_lshrrev_b32_e32 v36, 2, v36
	scratch_store_b32 off, v35, off offset:996 ; 4-byte Folded Spill
	v_add_nc_u32_e32 v35, 16, v33
	v_add3_u32 v249, 0, 0x1e20, v38
	v_lshrrev_b32_e32 v34, 2, v34
	scratch_store_b32 off, v36, off offset:1000 ; 4-byte Folded Spill
	v_and_b32_e32 v36, 15, v33
	v_lshrrev_b32_e32 v37, 2, v35
	v_add3_u32 v232, 0, 0x2d20, v38
	scratch_store_b32 off, v34, off offset:1004 ; 4-byte Folded Spill
	v_add_nc_u32_e32 v34, 32, v33
	v_add3_u32 v198, 0, 64, v38
	scratch_store_b32 off, v37, off offset:1008 ; 4-byte Folded Spill
	v_add_nc_u32_e32 v37, 48, v33
	v_add3_u32 v88, 0, 0xf40, v38
	v_add3_u32 v89, 0, 0x1e40, v38
	;; [unrolled: 1-line block ×17, first 2 shown]
	v_and_or_b32 v35, 0x3f0, v35, v36
	v_add_nc_u32_e32 v38, 56, v33
	v_lshrrev_b32_e32 v39, 2, v34
	v_and_or_b32 v34, 0x3f0, v34, v36
	v_and_or_b32 v36, 0x3f0, v37, v36
	v_lshrrev_b32_e32 v37, 2, v37
	v_and_b32_e32 v83, 3, v33
	scratch_store_b32 off, v39, off offset:1012 ; 4-byte Folded Spill
	v_and_b32_e32 v39, 15, v32
	v_ashrrev_i32_e32 v15, 31, v14
	scratch_store_b32 off, v37, off offset:1016 ; 4-byte Folded Spill
	v_lshrrev_b32_e32 v37, 2, v38
	v_add_nc_u32_e32 v38, 32, v32
	v_lshlrev_b64 v[186:187], 2, v[14:15]
	scratch_store_b32 off, v37, off offset:1020 ; 4-byte Folded Spill
	v_add_nc_u32_e32 v37, 16, v32
	v_mul_u32_u24_e32 v32, 60, v32
	s_delay_alu instid0(VALU_DEP_2)
	v_lshrrev_b32_e32 v41, 2, v37
	v_and_or_b32 v37, 0x7f0, v37, v39
	scratch_store_b32 off, v41, off offset:1028 ; 4-byte Folded Spill
	v_lshrrev_b32_e32 v41, 2, v38
	v_and_or_b32 v38, 0x7f0, v38, v39
	v_and_or_b32 v39, 0x7f0, v40, v39
	v_lshrrev_b32_e32 v40, 2, v40
	scratch_store_b32 off, v41, off offset:1032 ; 4-byte Folded Spill
	v_and_or_b32 v41, 0xf0, v244, v240
	scratch_store_b32 off, v40, off offset:1036 ; 4-byte Folded Spill
	v_or_b32_e32 v40, v31, v236
	v_or_b32_e32 v31, v31, v54
	v_mul_u32_u24_e32 v41, 60, v41
	s_delay_alu instid0(VALU_DEP_3) | instskip(SKIP_1) | instid1(VALU_DEP_4)
	v_lshlrev_b32_e32 v44, 3, v40
	v_mul_u32_u24_e32 v40, 0xf0, v40
	v_mad_u32_u24 v31, 0xf0, v31, v45
	s_delay_alu instid0(VALU_DEP_3) | instskip(NEXT) | instid1(VALU_DEP_1)
	v_add_co_u32 v47, s0, s0, v44
	v_add_co_ci_u32_e64 v48, null, s1, 0, s0
	s_delay_alu instid0(VALU_DEP_4)
	v_add_nc_u32_e32 v0, 0, v40
	s_clause 0x1
	scratch_store_b64 off, v[47:48], off offset:1328
	scratch_store_b32 off, v45, off offset:980
	v_mad_u32_u24 v44, v34, 60, v54
	scratch_store_b32 off, v0, off offset:1392 ; 4-byte Folded Spill
	v_mad_u32_u24 v0, 0xf00, v245, 0
	v_mad_u32_u24 v45, v37, 60, v55
	v_mul_u32_u24_e32 v34, 60, v34
	v_lshl_add_u32 v44, v44, 2, 0
	v_mul_u32_u24_e32 v37, 60, v37
	scratch_store_b32 off, v0, off offset:1044 ; 4-byte Folded Spill
	v_mul_u32_u24_e32 v0, 0xf0, v54
	s_sub_i32 s0, 0, s84
	s_ashr_i32 s1, s15, 31
	s_mul_i32 s0, s0, s2
	v_writelane_b32 v254, s1, 21
	scratch_store_b32 off, v0, off offset:1048 ; 4-byte Folded Spill
	v_lshlrev_b32_e32 v0, 1, v236
	s_clause 0x1
	scratch_store_b32 off, v53, off offset:900
	scratch_store_b32 off, v31, off offset:1040
	v_lshlrev_b32_e32 v31, 2, v41
	v_mad_u32_u24 v41, v35, 60, v54
	scratch_store_b32 off, v0, off offset:944 ; 4-byte Folded Spill
	v_lshrrev_b32_e32 v0, 2, v220
	v_mul_u32_u24_e32 v35, 60, v35
	s_mul_hi_u32 s0, s2, s0
	v_lshl_add_u32 v41, v41, 2, 0
	s_add_i32 s0, s2, s0
	scratch_store_b32 off, v0, off offset:1052 ; 4-byte Folded Spill
	s_sub_i32 s1, 0, s85
	v_writelane_b32 v254, s0, 22
	scratch_store_b32 off, v41, off offset:1460 ; 4-byte Folded Spill
	v_mad_u32_u24 v41, v36, 60, v54
	v_mul_u32_u24_e32 v36, 60, v36
	s_mul_i32 s1, s1, s3
	s_delay_alu instid0(SALU_CYCLE_1) | instskip(NEXT) | instid1(VALU_DEP_2)
	s_mul_hi_u32 s0, s3, s1
	v_lshl_add_u32 v41, v41, 2, 0
	scratch_store_b32 off, v44, off offset:1504 ; 4-byte Folded Spill
	v_mad_u32_u24 v44, v39, 60, v55
	v_mul_u32_u24_e32 v39, 60, v39
	s_ashr_i32 s1, s7, 31
	scratch_store_b32 off, v41, off offset:1524 ; 4-byte Folded Spill
	v_lshl_add_u32 v41, v45, 2, 0
	v_lshlrev_b32_e32 v45, 2, v221
	v_writelane_b32 v254, s1, 23
	s_add_i32 s0, s3, s0
	s_sub_i32 s1, 0, s87
	scratch_store_b32 off, v41, off offset:1336 ; 4-byte Folded Spill
	v_mad_u32_u24 v41, v38, 60, v55
	v_mul_u32_u24_e32 v38, 60, v38
	v_writelane_b32 v254, s0, 24
	s_ashr_i32 s0, s6, 31
	s_mul_i32 s1, s1, s5
	v_lshl_add_u32 v41, v41, 2, 0
	s_mul_hi_u32 s1, s5, s1
	v_writelane_b32 v254, s0, 25
	s_sub_i32 s0, 0, s86
	scratch_store_b32 off, v41, off offset:1464 ; 4-byte Folded Spill
	v_lshl_add_u32 v41, v44, 2, 0
	v_add_nc_u32_e32 v44, 0, v45
	s_mul_i32 s0, s0, s4
	s_delay_alu instid0(SALU_CYCLE_1) | instskip(SKIP_3) | instid1(SALU_CYCLE_1)
	s_mul_hi_u32 s0, s4, s0
	scratch_store_b32 off, v41, off offset:1484 ; 4-byte Folded Spill
	v_add_nc_u32_e32 v41, v120, v45
	s_add_i32 s0, s4, s0
	v_writelane_b32 v254, s0, 26
	s_add_i32 s0, s5, s1
	s_delay_alu instid0(VALU_DEP_2)
	v_add_nc_u32_e32 v0, 0x3c0, v41
	scratch_store_b32 off, v44, off offset:1284 ; 4-byte Folded Spill
	v_add_nc_u32_e32 v44, v120, v31
	v_add_nc_u32_e32 v31, 0, v31
	v_writelane_b32 v254, s0, 27
	scratch_store_b32 off, v0, off offset:948 ; 4-byte Folded Spill
	v_lshrrev_b32_e32 v0, 2, v219
	s_clause 0x1
	scratch_store_b32 off, v44, off offset:1508
	scratch_store_b32 off, v31, off offset:1516
	v_mul_u32_u24_e32 v31, 60, v33
	v_add_nc_u32_e32 v44, v120, v42
	scratch_store_b32 off, v0, off offset:1056 ; 4-byte Folded Spill
	v_add_nc_u32_e32 v0, 0x780, v41
	v_add_nc_u32_e32 v42, 0, v42
	v_lshl_add_u32 v31, v31, 2, 0
	scratch_store_b32 off, v44, off offset:1532 ; 4-byte Folded Spill
	v_add_nc_u32_e32 v82, 0xb40, v41
	scratch_store_b32 off, v0, off offset:952 ; 4-byte Folded Spill
	v_lshrrev_b32_e32 v0, 2, v242
	scratch_store_b32 off, v31, off offset:1324 ; 4-byte Folded Spill
	v_lshl_add_u32 v31, v35, 2, 0
	s_lshl_b64 s[0:1], s[34:35], 1
	s_delay_alu instid0(SALU_CYCLE_1)
	v_writelane_b32 v254, s0, 28
	scratch_store_b32 off, v31, off offset:1492 ; 4-byte Folded Spill
	v_lshl_add_u32 v31, v34, 2, 0
	v_writelane_b32 v254, s1, 29
	scratch_store_b32 off, v31, off offset:1520 ; 4-byte Folded Spill
	v_lshl_add_u32 v31, v36, 2, 0
	;; [unrolled: 3-line block ×3, first 2 shown]
	scratch_store_b32 off, v42, off offset:1536 ; 4-byte Folded Spill
	v_add_nc_u32_e32 v42, v120, v43
	v_writelane_b32 v254, s51, 31
	scratch_store_b32 off, v31, off offset:1340 ; 4-byte Folded Spill
	v_lshl_add_u32 v31, v37, 2, 0
	scratch_store_b32 off, v31, off offset:1468 ; 4-byte Folded Spill
	v_lshl_add_u32 v31, v38, 2, 0
	;; [unrolled: 2-line block ×3, first 2 shown]
	scratch_store_b32 off, v31, off offset:1512 ; 4-byte Folded Spill
	v_and_b32_e32 v31, 1, v236
	s_delay_alu instid0(VALU_DEP_1) | instskip(NEXT) | instid1(VALU_DEP_1)
	v_lshlrev_b32_e32 v21, 4, v31
	v_add_co_u32 v22, vcc_lo, v21, v178
	v_add_co_ci_u32_e32 v31, vcc_lo, 0, v179, vcc_lo
	s_delay_alu instid0(VALU_DEP_2) | instskip(NEXT) | instid1(VALU_DEP_2)
	v_add_co_u32 v22, vcc_lo, v22, s20
	v_add_co_ci_u32_e32 v31, vcc_lo, s21, v31, vcc_lo
	s_delay_alu instid0(VALU_DEP_2)
	v_add_co_u32 v19, vcc_lo, 0xc0, v22
	scratch_store_b32 off, v42, off offset:1540 ; 4-byte Folded Spill
	v_add_nc_u32_e32 v42, 0, v43
	scratch_store_b32 off, v19, off offset:1344 ; 4-byte Folded Spill
	v_add_co_ci_u32_e32 v19, vcc_lo, 0, v31, vcc_lo
	s_clause 0x1
	scratch_store_b32 off, v42, off offset:1544
	scratch_store_b32 off, v19, off offset:1348
	v_add_co_u32 v19, vcc_lo, v182, s20
	v_add_co_ci_u32_e32 v20, vcc_lo, s21, v183, vcc_lo
	s_delay_alu instid0(VALU_DEP_2)
	v_add_co_u32 v19, vcc_lo, 0x80, v19
	scratch_store_b32 off, v19, off offset:1352 ; 4-byte Folded Spill
	v_add_co_ci_u32_e32 v19, vcc_lo, 0, v20, vcc_lo
	scratch_store_b32 off, v19, off offset:1356 ; 4-byte Folded Spill
	v_add_co_u32 v19, vcc_lo, v184, s20
	v_add_co_ci_u32_e32 v20, vcc_lo, s21, v185, vcc_lo
	s_delay_alu instid0(VALU_DEP_2)
	v_add_co_u32 v8, vcc_lo, 0x80, v19
	v_mad_u64_u32 v[18:19], null, v86, s14, v[236:237]
	scratch_store_b32 off, v8, off offset:1360 ; 4-byte Folded Spill
	v_add_co_ci_u32_e32 v8, vcc_lo, 0, v20, vcc_lo
	scratch_store_b32 off, v8, off offset:1364 ; 4-byte Folded Spill
	v_add_co_u32 v8, vcc_lo, v21, v66
	v_add_co_ci_u32_e32 v9, vcc_lo, 0, v67, vcc_lo
	s_delay_alu instid0(VALU_DEP_2) | instskip(NEXT) | instid1(VALU_DEP_2)
	v_add_co_u32 v8, vcc_lo, v8, s18
	v_add_co_ci_u32_e32 v9, vcc_lo, s19, v9, vcc_lo
	s_delay_alu instid0(VALU_DEP_2)
	v_add_co_u32 v2, vcc_lo, 0xc0, v8
	scratch_store_b32 off, v2, off offset:1368 ; 4-byte Folded Spill
	v_add_co_ci_u32_e32 v2, vcc_lo, 0, v9, vcc_lo
	scratch_store_b32 off, v2, off offset:1372 ; 4-byte Folded Spill
	v_add_co_u32 v2, vcc_lo, v68, s18
	v_add_co_ci_u32_e32 v3, vcc_lo, s19, v69, vcc_lo
	v_add_co_u32 v8, vcc_lo, v70, s18
	v_add_co_ci_u32_e32 v9, vcc_lo, s19, v71, vcc_lo
	s_delay_alu instid0(VALU_DEP_4)
	v_add_co_u32 v2, vcc_lo, 0x80, v2
	scratch_store_b32 off, v2, off offset:1376 ; 4-byte Folded Spill
	v_add_co_ci_u32_e32 v2, vcc_lo, 0, v3, vcc_lo
	v_lshrrev_b32_e32 v3, 2, v52
	scratch_store_b32 off, v2, off offset:1380 ; 4-byte Folded Spill
	v_add_co_u32 v2, vcc_lo, 0x80, v8
	scratch_store_b32 off, v2, off offset:1384 ; 4-byte Folded Spill
	v_add_co_ci_u32_e32 v2, vcc_lo, 0, v9, vcc_lo
	s_clause 0x2
	scratch_store_b32 off, v2, off offset:1388
	scratch_store_b32 off, v0, off offset:1060
	;; [unrolled: 1-line block ×3, first 2 shown]
	v_lshrrev_b32_e32 v0, 2, v244
	v_and_b32_e32 v2, 3, v236
	s_clause 0x1
	scratch_store_b32 off, v228, off offset:1280
	scratch_store_b32 off, v0, off offset:1068
	v_lshrrev_b32_e32 v0, 2, v238
	v_lshlrev_b32_e32 v90, 4, v2
	scratch_store_b32 off, v0, off offset:1072 ; 4-byte Folded Spill
	v_lshrrev_b32_e32 v0, 2, v33
	scratch_store_b32 off, v0, off offset:1076 ; 4-byte Folded Spill
	v_lshrrev_b32_e32 v0, 2, v217
	scratch_store_b32 off, v0, off offset:1088 ; 4-byte Folded Spill
	v_lshrrev_b32_e32 v0, 2, v218
	scratch_store_b32 off, v0, off offset:1100 ; 4-byte Folded Spill
	v_lshrrev_b32_e32 v0, 2, v241
	scratch_store_b32 off, v0, off offset:1104 ; 4-byte Folded Spill
	v_lshrrev_b32_e32 v0, 2, v216
	scratch_store_b32 off, v0, off offset:1108 ; 4-byte Folded Spill
	v_mul_lo_u32 v0, v83, s14
	s_delay_alu instid0(VALU_DEP_1)
	v_add3_u32 v16, v0, v54, 32
	v_add_co_u32 v0, vcc_lo, s20, v186
	s_clause 0x1
	scratch_store_b32 off, v2, off offset:1184
	scratch_store_b32 off, v0, off offset:1396
	v_add_co_ci_u32_e32 v0, vcc_lo, s21, v187, vcc_lo
	scratch_store_b32 off, v0, off offset:1400 ; 4-byte Folded Spill
	v_add_co_u32 v0, vcc_lo, s20, v188
	scratch_store_b32 off, v0, off offset:1404 ; 4-byte Folded Spill
	v_add_co_ci_u32_e32 v0, vcc_lo, s21, v189, vcc_lo
	scratch_store_b32 off, v0, off offset:1408 ; 4-byte Folded Spill
	v_add_co_u32 v0, vcc_lo, s20, v190
	scratch_store_b32 off, v0, off offset:1412 ; 4-byte Folded Spill
	;; [unrolled: 4-line block ×7, first 2 shown]
	v_add_co_ci_u32_e32 v0, vcc_lo, s19, v79, vcc_lo
	scratch_store_b32 off, v0, off offset:1456 ; 4-byte Folded Spill
	v_mbcnt_lo_u32_b32 v0, -1, 0
	scratch_store_b32 off, v3, off offset:1112 ; 4-byte Folded Spill
	v_lshrrev_b32_e32 v3, 2, v51
	scratch_store_b32 off, v0, off offset:904 ; 4-byte Folded Spill
	v_mov_b32_e32 v0, v86
	scratch_store_b32 off, v3, off offset:1116 ; 4-byte Folded Spill
	v_lshrrev_b32_e32 v3, 2, v239
	v_lshlrev_b32_e32 v180, 2, v17
	v_add3_u32 v17, v1, v55, 48
	scratch_store_b32 off, v3, off offset:1120 ; 4-byte Folded Spill
	v_lshrrev_b32_e32 v3, 2, v50
	scratch_store_b32 off, v3, off offset:1124 ; 4-byte Folded Spill
	v_lshrrev_b32_e32 v3, 2, v49
	;; [unrolled: 2-line block ×3, first 2 shown]
	s_clause 0x1f
	scratch_store_b32 off, v3, off offset:1132
	scratch_store_b64 off, v[0:1], off offset:920
	scratch_store_b32 off, v243, off offset:1164
	scratch_store_b32 off, v54, off offset:1160
	;; [unrolled: 1-line block ×23, first 2 shown]
	scratch_store_b32 off, v173, off
	scratch_store_b32 off, v103, off offset:732
	scratch_store_b32 off, v99, off offset:8
	;; [unrolled: 1-line block ×6, first 2 shown]
	s_clause 0x15
	scratch_store_b64 off, v[178:179], off offset:464
	scratch_store_b64 off, v[182:183], off offset:472
	;; [unrolled: 1-line block ×14, first 2 shown]
	scratch_store_b32 off, v175, off offset:576
	scratch_store_b32 off, v180, off offset:580
	;; [unrolled: 1-line block ×8, first 2 shown]
	v_mov_b32_e32 v0, v83
	scratch_store_b64 off, v[0:1], off offset:1080 ; 8-byte Folded Spill
	v_mov_b32_e32 v0, v84
	scratch_store_b64 off, v[0:1], off offset:1092 ; 8-byte Folded Spill
	;; [unrolled: 2-line block ×3, first 2 shown]
	v_mov_b32_e32 v0, v17
	s_clause 0x2
	scratch_store_b64 off, v[0:1], off offset:1144
	scratch_store_b32 off, v90, off offset:736
	scratch_store_b32 off, v96, off offset:740
	v_mov_b32_e32 v0, v18
	s_clause 0x8
	scratch_store_b64 off, v[0:1], off offset:1152
	scratch_store_b32 off, v249, off offset:776
	scratch_store_b32 off, v232, off offset:780
	;; [unrolled: 1-line block ×8, first 2 shown]
	s_branch .LBB19_15
.LBB19_14:                              ;   in Loop: Header=BB19_15 Depth=1
	s_or_b32 exec_lo, exec_lo, s0
	s_add_i32 s0, s58, s80
	s_mov_b32 s63, 0
	s_abs_i32 s1, s0
	s_delay_alu instid0(SALU_CYCLE_1) | instskip(NEXT) | instid1(SALU_CYCLE_1)
	s_mul_hi_u32 s2, s1, s55
	s_mul_i32 s2, s2, s81
	s_delay_alu instid0(SALU_CYCLE_1) | instskip(SKIP_4) | instid1(SALU_CYCLE_1)
	s_sub_i32 s1, s1, s2
	s_ashr_i32 s2, s0, 31
	s_sub_i32 s3, s1, s81
	s_cmp_ge_u32 s1, s81
	s_cselect_b32 s1, s3, s1
	s_sub_i32 s3, s1, s81
	s_cmp_ge_u32 s1, s81
	s_cselect_b32 s1, s3, s1
	s_delay_alu instid0(SALU_CYCLE_1) | instskip(NEXT) | instid1(SALU_CYCLE_1)
	s_xor_b32 s1, s1, s2
	s_sub_i32 s1, s2, s1
	s_delay_alu instid0(SALU_CYCLE_1) | instskip(NEXT) | instid1(SALU_CYCLE_1)
	s_add_i32 s58, s0, s1
	s_sub_i32 s1, s62, s58
	s_delay_alu instid0(SALU_CYCLE_1) | instskip(SKIP_4) | instid1(SALU_CYCLE_1)
	s_min_i32 s101, s80, s1
	s_cmp_gt_i32 s62, s58
	s_cselect_b32 s0, -1, 0
	s_cmp_le_i32 s80, s1
	s_cselect_b32 s1, -1, 0
	s_and_b32 s1, s1, s0
	s_delay_alu instid0(SALU_CYCLE_1)
	s_and_b32 vcc_lo, exec_lo, s1
	s_cbranch_vccz .LBB19_537
.LBB19_15:                              ; =>This Loop Header: Depth=1
                                        ;     Child Loop BB19_137 Depth 2
                                        ;     Child Loop BB19_395 Depth 2
	v_readlane_b32 s1, v254, 22
	s_abs_i32 s0, s58
	v_readlane_b32 s4, v254, 21
	s_ashr_i32 s2, s58, 31
	v_readlane_b32 s6, v254, 23
	s_mul_hi_u32 s1, s0, s1
	v_readlane_b32 s7, v254, 25
	s_mul_i32 s3, s1, s84
	s_xor_b32 s2, s2, s4
	s_sub_i32 s0, s0, s3
	s_add_i32 s3, s1, 1
	s_sub_i32 s4, s0, s84
	s_cmp_ge_u32 s0, s84
	s_cselect_b32 s1, s3, s1
	s_cselect_b32 s0, s4, s0
	s_add_i32 s3, s1, 1
	s_cmp_ge_u32 s0, s84
	s_cselect_b32 s0, s3, s1
	v_readlane_b32 s1, v254, 3
	s_xor_b32 s0, s0, s2
	v_readlane_b32 s3, v254, 24
	s_sub_i32 s0, s0, s2
	s_delay_alu instid0(VALU_DEP_2) | instid1(SALU_CYCLE_1)
	s_mul_i32 s1, s0, s1
	s_delay_alu instid0(SALU_CYCLE_1) | instskip(NEXT) | instid1(SALU_CYCLE_1)
	s_sub_i32 s2, s58, s1
	s_abs_i32 s1, s2
	s_ashr_i32 s4, s2, 31
	s_mul_hi_u32 s3, s1, s3
	s_xor_b32 s4, s4, s6
	s_mul_i32 s5, s3, s85
	s_delay_alu instid0(SALU_CYCLE_1)
	s_sub_i32 s1, s1, s5
	s_add_i32 s5, s3, 1
	s_sub_i32 s6, s1, s85
	s_cmp_ge_u32 s1, s85
	s_cselect_b32 s3, s5, s3
	s_cselect_b32 s1, s6, s1
	s_add_i32 s5, s3, 1
	s_cmp_ge_u32 s1, s85
	s_cselect_b32 s1, s5, s3
	v_readlane_b32 s3, v254, 2
	s_xor_b32 s1, s1, s4
	s_delay_alu instid0(SALU_CYCLE_1) | instskip(SKIP_1) | instid1(VALU_DEP_2)
	s_sub_i32 s1, s1, s4
	v_readlane_b32 s4, v254, 26
	s_mul_i32 s3, s1, s3
	s_delay_alu instid0(SALU_CYCLE_1) | instskip(NEXT) | instid1(SALU_CYCLE_1)
	s_sub_i32 s3, s2, s3
	s_abs_i32 s2, s3
	s_ashr_i32 s5, s3, 31
	s_mul_hi_u32 s4, s2, s4
	s_xor_b32 s5, s5, s7
	s_mul_i32 s6, s4, s86
	s_delay_alu instid0(SALU_CYCLE_1)
	s_sub_i32 s2, s2, s6
	s_add_i32 s6, s4, 1
	s_sub_i32 s7, s2, s86
	s_cmp_ge_u32 s2, s86
	s_cselect_b32 s4, s6, s4
	s_cselect_b32 s2, s7, s2
	s_add_i32 s6, s4, 1
	s_cmp_ge_u32 s2, s86
	v_readlane_b32 s7, v254, 14
	s_cselect_b32 s2, s6, s4
	v_readlane_b32 s4, v254, 1
	s_xor_b32 s2, s2, s5
	s_delay_alu instid0(SALU_CYCLE_1)
	s_sub_i32 s2, s2, s5
	s_delay_alu instid0(VALU_DEP_1) | instid1(SALU_CYCLE_1)
	s_mul_i32 s4, s2, s4
	s_delay_alu instid0(SALU_CYCLE_1) | instskip(NEXT) | instid1(SALU_CYCLE_1)
	s_sub_i32 s3, s3, s4
	s_abs_i32 s4, s3
	s_ashr_i32 s3, s3, 31
	s_mul_hi_u32 s5, s4, s55
	s_xor_b32 s3, s3, s7
	s_mul_i32 s6, s5, s81
	s_delay_alu instid0(SALU_CYCLE_1)
	s_sub_i32 s4, s4, s6
	s_add_i32 s6, s5, 1
	s_sub_i32 s7, s4, s81
	s_cmp_ge_u32 s4, s81
	s_cselect_b32 s5, s6, s5
	s_cselect_b32 s4, s7, s4
	s_add_i32 s6, s5, 1
	s_cmp_ge_u32 s4, s81
	s_cselect_b32 s4, s6, s5
	v_readlane_b32 s5, v254, 19
	s_xor_b32 s4, s4, s3
	s_delay_alu instid0(SALU_CYCLE_1) | instskip(NEXT) | instid1(VALU_DEP_1)
	s_sub_i32 s76, s4, s3
	s_and_not1_b32 vcc_lo, exec_lo, s5
	s_cbranch_vccnz .LBB19_17
; %bb.16:                               ;   in Loop: Header=BB19_15 Depth=1
	v_readlane_b32 s3, v254, 0
	s_delay_alu instid0(VALU_DEP_1) | instskip(NEXT) | instid1(SALU_CYCLE_1)
	s_mul_i32 s3, s0, s3
	s_add_i32 s4, s76, s3
	s_delay_alu instid0(SALU_CYCLE_1) | instskip(NEXT) | instid1(SALU_CYCLE_1)
	s_ashr_i32 s5, s4, 31
	s_lshl_b64 s[4:5], s[4:5], 2
	s_delay_alu instid0(SALU_CYCLE_1) | instskip(SKIP_4) | instid1(VALU_DEP_1)
	s_add_u32 s4, s26, s4
	s_addc_u32 s5, s27, s5
	global_load_b32 v0, v80, s[4:5]
	s_waitcnt vmcnt(0)
	v_readfirstlane_b32 s3, v0
	s_ashr_i32 s4, s3, 31
	s_delay_alu instid0(SALU_CYCLE_1) | instskip(NEXT) | instid1(SALU_CYCLE_1)
	s_lshr_b32 s4, s4, 26
	s_add_i32 s3, s3, s4
	s_delay_alu instid0(SALU_CYCLE_1) | instskip(NEXT) | instid1(SALU_CYCLE_1)
	s_ashr_i32 s3, s3, 6
	s_min_i32 s101, s101, s3
.LBB19_17:                              ;   in Loop: Header=BB19_15 Depth=1
	v_readlane_b32 s6, v254, 6
	v_readlane_b32 s7, v254, 7
	s_mul_i32 s3, s1, s33
	s_lshl_b32 s79, s2, 2
	s_mul_i32 s51, s0, s44
	s_add_i32 s2, s79, s3
	s_mul_i32 s4, s0, s7
	s_mul_i32 s5, s2, s6
	s_ashr_i32 s3, s4, 31
	s_add_u32 s4, s16, s4
	s_addc_u32 s3, s17, s3
	s_ashr_i32 s6, s5, 31
	s_add_u32 s77, s4, s5
	s_addc_u32 s78, s3, s6
	s_mul_i32 s3, s0, s45
	s_mul_hi_u32 s4, s0, s44
	s_ashr_i32 s6, s0, 31
	s_add_i32 s3, s4, s3
	s_mul_i32 s4, s6, s44
	v_readlane_b32 s14, v254, 12
	s_add_i32 s104, s3, s4
	v_readlane_b32 s4, v254, 15
	v_readlane_b32 s5, v254, 16
	s_add_u32 s3, s18, s51
	s_addc_u32 s4, s19, s104
	v_readlane_b32 s15, v254, 13
	s_mov_b32 s75, 0
	s_mul_i32 vcc_hi, s1, s5
	s_mul_i32 s55, s1, s47
	s_ashr_i32 s60, vcc_hi, 31
	s_add_u32 s97, s3, vcc_hi
	s_addc_u32 s98, s4, s60
	v_readlane_b32 s4, v254, 27
	s_abs_i32 s3, s0
	v_or_b32_e32 v6, s79, v86
	s_delay_alu instid0(VALU_DEP_2) | instskip(NEXT) | instid1(SALU_CYCLE_1)
	s_mul_hi_u32 s4, s3, s4
	s_mul_i32 s4, s4, s87
	s_delay_alu instid0(VALU_DEP_1) | instskip(SKIP_1) | instid1(SALU_CYCLE_1)
	v_cmp_gt_i32_e32 vcc_lo, s33, v6
	s_sub_i32 s3, s3, s4
	s_sub_i32 s4, s3, s87
	s_cmp_ge_u32 s3, s87
	s_cselect_b32 s3, s4, s3
	s_delay_alu instid0(SALU_CYCLE_1) | instskip(SKIP_2) | instid1(SALU_CYCLE_1)
	s_sub_i32 s4, s3, s87
	s_cmp_ge_u32 s3, s87
	s_cselect_b32 s3, s4, s3
	s_xor_b32 s3, s3, s6
	s_delay_alu instid0(SALU_CYCLE_1) | instskip(NEXT) | instid1(SALU_CYCLE_1)
	s_sub_i32 s3, s3, s6
	s_mul_i32 s4, s3, s15
	s_mul_hi_u32 s5, s3, s14
	s_ashr_i32 s7, s3, 31
	s_add_i32 s4, s5, s4
	s_mul_i32 s7, s7, s14
	s_mul_i32 s64, s3, s14
	;; [unrolled: 1-line block ×3, first 2 shown]
	s_add_i32 s7, s4, s7
	s_mul_i32 s3, s3, s0
	s_add_u32 s99, s22, s64
	s_addc_u32 s100, s23, s7
	s_add_i32 s3, s2, s3
	v_readlane_b32 s14, v254, 10
	v_readlane_b32 s15, v254, 11
	s_mul_i32 s74, s3, 56
	s_delay_alu instid0(SALU_CYCLE_1) | instskip(NEXT) | instid1(VALU_DEP_2)
	s_lshl_b64 s[4:5], s[74:75], 3
	s_mul_i32 s6, s6, s14
	s_add_u32 s35, s28, s4
	s_mul_i32 s3, s0, s15
	s_mul_hi_u32 s4, s0, s14
	s_addc_u32 s67, s29, s5
	s_add_i32 s3, s4, s3
	s_mul_i32 s15, s0, s14
	s_add_i32 s14, s3, s6
	s_add_u32 s0, s20, s15
	s_addc_u32 s1, s21, s14
	s_ashr_i32 s46, s55, 31
	s_add_u32 s95, s0, s55
	s_addc_u32 s96, s1, s46
	s_ashr_i32 s3, s2, 31
	s_delay_alu instid0(SALU_CYCLE_1) | instskip(SKIP_3) | instid1(VALU_DEP_1)
	s_lshl_b64 s[0:1], s[2:3], 2
	v_readlane_b32 s2, v254, 18
	s_add_u32 s0, s24, s0
	s_addc_u32 s1, s25, s1
	s_and_b32 s2, s2, exec_lo
	s_cselect_b32 s73, 0, s1
	s_cselect_b32 s72, 0, s0
	s_cmp_lg_u32 s63, 0
	s_cbranch_scc0 .LBB19_132
; %bb.18:                               ;   in Loop: Header=BB19_15 Depth=1
	s_lshl_b32 s2, s76, 4
	s_xor_b32 s0, vcc_lo, -1
	s_waitcnt vmcnt(0)
	v_add_nc_u32_e32 v34, s2, v243
	s_delay_alu instid0(VALU_DEP_1) | instskip(NEXT) | instid1(VALU_DEP_1)
	v_cmp_le_i32_e64 s1, s8, v34
	s_or_b32 s1, s1, s0
	s_delay_alu instid0(SALU_CYCLE_1) | instskip(NEXT) | instid1(SALU_CYCLE_1)
	s_and_saveexec_b32 s3, s1
	s_xor_b32 s1, exec_lo, s3
	s_cbranch_execz .LBB19_20
; %bb.19:                               ;   in Loop: Header=BB19_15 Depth=1
	scratch_load_b32 v0, off, off offset:932 ; 4-byte Folded Reload
	s_waitcnt vmcnt(0)
	ds_store_b32 v0, v80
.LBB19_20:                              ;   in Loop: Header=BB19_15 Depth=1
	s_and_not1_saveexec_b32 s1, s1
	s_cbranch_execz .LBB19_22
; %bb.21:                               ;   in Loop: Header=BB19_15 Depth=1
	v_mad_u64_u32 v[0:1], null, v34, s59, v[18:19]
	s_delay_alu instid0(VALU_DEP_1) | instskip(NEXT) | instid1(VALU_DEP_1)
	v_ashrrev_i32_e32 v1, 31, v0
	v_lshlrev_b64 v[0:1], 3, v[0:1]
	s_delay_alu instid0(VALU_DEP_1) | instskip(NEXT) | instid1(VALU_DEP_2)
	v_add_co_u32 v0, vcc_lo, s77, v0
	v_add_co_ci_u32_e32 v1, vcc_lo, s78, v1, vcc_lo
	global_load_b64 v[0:1], v[0:1], off
	s_waitcnt vmcnt(0)
	v_cvt_f16_f32_e32 v0, v0
	v_cvt_f16_f32_e32 v1, v1
	s_delay_alu instid0(VALU_DEP_1)
	v_pack_b32_f16 v0, v0, v1
	scratch_load_b32 v1, off, off offset:932 ; 4-byte Folded Reload
	v_pk_mul_f16 v0, v228, v0
	s_waitcnt vmcnt(0)
	ds_store_b32 v1, v0
.LBB19_22:                              ;   in Loop: Header=BB19_15 Depth=1
	s_or_b32 exec_lo, exec_lo, s1
	scratch_load_b32 v0, off, off offset:1052 ; 4-byte Folded Reload
	s_waitcnt vmcnt(0)
	v_add_nc_u32_e32 v33, s2, v0
	s_delay_alu instid0(VALU_DEP_1) | instskip(SKIP_1) | instid1(SALU_CYCLE_1)
	v_cmp_le_i32_e32 vcc_lo, s8, v33
	s_or_b32 s1, vcc_lo, s0
	s_and_saveexec_b32 s3, s1
	s_delay_alu instid0(SALU_CYCLE_1)
	s_xor_b32 s1, exec_lo, s3
	s_cbranch_execz .LBB19_24
; %bb.23:                               ;   in Loop: Header=BB19_15 Depth=1
	scratch_load_b32 v0, off, off offset:948 ; 4-byte Folded Reload
	s_waitcnt vmcnt(0)
	ds_store_b32 v0, v80
.LBB19_24:                              ;   in Loop: Header=BB19_15 Depth=1
	s_and_not1_saveexec_b32 s1, s1
	s_cbranch_execz .LBB19_26
; %bb.25:                               ;   in Loop: Header=BB19_15 Depth=1
	v_mad_u64_u32 v[0:1], null, v33, s59, v[18:19]
	s_delay_alu instid0(VALU_DEP_1) | instskip(NEXT) | instid1(VALU_DEP_1)
	v_ashrrev_i32_e32 v1, 31, v0
	v_lshlrev_b64 v[0:1], 3, v[0:1]
	s_delay_alu instid0(VALU_DEP_1) | instskip(NEXT) | instid1(VALU_DEP_2)
	v_add_co_u32 v0, vcc_lo, s77, v0
	v_add_co_ci_u32_e32 v1, vcc_lo, s78, v1, vcc_lo
	global_load_b64 v[0:1], v[0:1], off
	s_waitcnt vmcnt(0)
	v_cvt_f16_f32_e32 v0, v0
	v_cvt_f16_f32_e32 v1, v1
	s_delay_alu instid0(VALU_DEP_1)
	v_pack_b32_f16 v0, v0, v1
	scratch_load_b32 v1, off, off offset:948 ; 4-byte Folded Reload
	v_pk_mul_f16 v0, v228, v0
	s_waitcnt vmcnt(0)
	ds_store_b32 v1, v0
.LBB19_26:                              ;   in Loop: Header=BB19_15 Depth=1
	s_or_b32 exec_lo, exec_lo, s1
	scratch_load_b32 v0, off, off offset:1056 ; 4-byte Folded Reload
	s_waitcnt vmcnt(0)
	v_add_nc_u32_e32 v32, s2, v0
	s_delay_alu instid0(VALU_DEP_1) | instskip(SKIP_1) | instid1(SALU_CYCLE_1)
	v_cmp_le_i32_e32 vcc_lo, s8, v32
	s_or_b32 s1, vcc_lo, s0
	s_and_saveexec_b32 s3, s1
	s_delay_alu instid0(SALU_CYCLE_1)
	;; [unrolled: 37-line block ×3, first 2 shown]
	s_xor_b32 s1, exec_lo, s3
	s_cbranch_execz .LBB19_32
; %bb.31:                               ;   in Loop: Header=BB19_15 Depth=1
	ds_store_b32 v82, v80
.LBB19_32:                              ;   in Loop: Header=BB19_15 Depth=1
	s_and_not1_saveexec_b32 s1, s1
	s_cbranch_execz .LBB19_34
; %bb.33:                               ;   in Loop: Header=BB19_15 Depth=1
	v_mad_u64_u32 v[0:1], null, v31, s59, v[18:19]
	s_delay_alu instid0(VALU_DEP_1) | instskip(NEXT) | instid1(VALU_DEP_1)
	v_ashrrev_i32_e32 v1, 31, v0
	v_lshlrev_b64 v[0:1], 3, v[0:1]
	s_delay_alu instid0(VALU_DEP_1) | instskip(NEXT) | instid1(VALU_DEP_2)
	v_add_co_u32 v0, vcc_lo, s77, v0
	v_add_co_ci_u32_e32 v1, vcc_lo, s78, v1, vcc_lo
	global_load_b64 v[0:1], v[0:1], off
	s_waitcnt vmcnt(0)
	v_cvt_f16_f32_e32 v0, v0
	v_cvt_f16_f32_e32 v1, v1
	s_delay_alu instid0(VALU_DEP_1) | instskip(NEXT) | instid1(VALU_DEP_1)
	v_pack_b32_f16 v0, v0, v1
	v_pk_mul_f16 v0, v228, v0
	ds_store_b32 v82, v0
.LBB19_34:                              ;   in Loop: Header=BB19_15 Depth=1
	s_or_b32 exec_lo, exec_lo, s1
	scratch_load_b32 v0, off, off offset:1068 ; 4-byte Folded Reload
	s_waitcnt vmcnt(0)
	v_add_nc_u32_e32 v30, s2, v0
	s_delay_alu instid0(VALU_DEP_1) | instskip(SKIP_1) | instid1(SALU_CYCLE_1)
	v_cmp_le_i32_e32 vcc_lo, s8, v30
	s_or_b32 s1, vcc_lo, s0
	s_and_saveexec_b32 s3, s1
	s_delay_alu instid0(SALU_CYCLE_1)
	s_xor_b32 s1, exec_lo, s3
	s_cbranch_execz .LBB19_36
; %bb.35:                               ;   in Loop: Header=BB19_15 Depth=1
	ds_store_b32 v82, v80 offset:960
.LBB19_36:                              ;   in Loop: Header=BB19_15 Depth=1
	s_and_not1_saveexec_b32 s1, s1
	s_cbranch_execz .LBB19_38
; %bb.37:                               ;   in Loop: Header=BB19_15 Depth=1
	v_mad_u64_u32 v[0:1], null, v30, s59, v[18:19]
	s_delay_alu instid0(VALU_DEP_1) | instskip(NEXT) | instid1(VALU_DEP_1)
	v_ashrrev_i32_e32 v1, 31, v0
	v_lshlrev_b64 v[0:1], 3, v[0:1]
	s_delay_alu instid0(VALU_DEP_1) | instskip(NEXT) | instid1(VALU_DEP_2)
	v_add_co_u32 v0, vcc_lo, s77, v0
	v_add_co_ci_u32_e32 v1, vcc_lo, s78, v1, vcc_lo
	global_load_b64 v[0:1], v[0:1], off
	s_waitcnt vmcnt(0)
	v_cvt_f16_f32_e32 v0, v0
	v_cvt_f16_f32_e32 v1, v1
	s_delay_alu instid0(VALU_DEP_1) | instskip(NEXT) | instid1(VALU_DEP_1)
	v_pack_b32_f16 v0, v0, v1
	v_pk_mul_f16 v0, v228, v0
	ds_store_b32 v82, v0 offset:960
.LBB19_38:                              ;   in Loop: Header=BB19_15 Depth=1
	s_or_b32 exec_lo, exec_lo, s1
	scratch_load_b32 v0, off, off offset:1072 ; 4-byte Folded Reload
	s_waitcnt vmcnt(0)
	v_add_nc_u32_e32 v29, s2, v0
	s_delay_alu instid0(VALU_DEP_1) | instskip(SKIP_1) | instid1(SALU_CYCLE_1)
	v_cmp_le_i32_e32 vcc_lo, s8, v29
	s_or_b32 s1, vcc_lo, s0
	s_and_saveexec_b32 s3, s1
	s_delay_alu instid0(SALU_CYCLE_1)
	s_xor_b32 s1, exec_lo, s3
	s_cbranch_execz .LBB19_40
; %bb.39:                               ;   in Loop: Header=BB19_15 Depth=1
	ds_store_b32 v82, v80 offset:1920
.LBB19_40:                              ;   in Loop: Header=BB19_15 Depth=1
	s_and_not1_saveexec_b32 s1, s1
	s_cbranch_execz .LBB19_42
; %bb.41:                               ;   in Loop: Header=BB19_15 Depth=1
	v_mad_u64_u32 v[0:1], null, v29, s59, v[18:19]
	s_delay_alu instid0(VALU_DEP_1) | instskip(NEXT) | instid1(VALU_DEP_1)
	v_ashrrev_i32_e32 v1, 31, v0
	v_lshlrev_b64 v[0:1], 3, v[0:1]
	s_delay_alu instid0(VALU_DEP_1) | instskip(NEXT) | instid1(VALU_DEP_2)
	v_add_co_u32 v0, vcc_lo, s77, v0
	v_add_co_ci_u32_e32 v1, vcc_lo, s78, v1, vcc_lo
	global_load_b64 v[0:1], v[0:1], off
	s_waitcnt vmcnt(0)
	v_cvt_f16_f32_e32 v0, v0
	v_cvt_f16_f32_e32 v1, v1
	s_delay_alu instid0(VALU_DEP_1) | instskip(NEXT) | instid1(VALU_DEP_1)
	v_pack_b32_f16 v0, v0, v1
	v_pk_mul_f16 v0, v228, v0
	ds_store_b32 v82, v0 offset:1920
.LBB19_42:                              ;   in Loop: Header=BB19_15 Depth=1
	;; [unrolled: 33-line block ×12, first 2 shown]
	s_or_b32 exec_lo, exec_lo, s0
	scratch_load_b32 v0, off, off offset:1076 ; 4-byte Folded Reload
	v_or_b32_e32 v1, s79, v83
	s_delay_alu instid0(VALU_DEP_1) | instskip(SKIP_4) | instid1(VALU_DEP_1)
	v_cmp_gt_i32_e32 vcc_lo, s33, v1
	scratch_store_b32 off, v1, off offset:964 ; 4-byte Folded Spill
	s_xor_b32 s0, vcc_lo, -1
	s_waitcnt vmcnt(0)
	v_add_nc_u32_e32 v14, s2, v0
	v_cmp_le_i32_e64 s1, s8, v14
	s_delay_alu instid0(VALU_DEP_1) | instskip(NEXT) | instid1(SALU_CYCLE_1)
	s_or_b32 s1, s1, s0
	s_and_saveexec_b32 s3, s1
	s_delay_alu instid0(SALU_CYCLE_1)
	s_xor_b32 s1, exec_lo, s3
	s_cbranch_execz .LBB19_84
; %bb.83:                               ;   in Loop: Header=BB19_15 Depth=1
	ds_store_b32 v65, v80 offset:128
.LBB19_84:                              ;   in Loop: Header=BB19_15 Depth=1
	s_and_not1_saveexec_b32 s1, s1
	s_cbranch_execz .LBB19_86
; %bb.85:                               ;   in Loop: Header=BB19_15 Depth=1
	v_mad_u64_u32 v[0:1], null, v14, s59, v[16:17]
	s_delay_alu instid0(VALU_DEP_1) | instskip(NEXT) | instid1(VALU_DEP_1)
	v_ashrrev_i32_e32 v1, 31, v0
	v_lshlrev_b64 v[0:1], 3, v[0:1]
	s_delay_alu instid0(VALU_DEP_1) | instskip(NEXT) | instid1(VALU_DEP_2)
	v_add_co_u32 v0, vcc_lo, s77, v0
	v_add_co_ci_u32_e32 v1, vcc_lo, s78, v1, vcc_lo
	global_load_b64 v[0:1], v[0:1], off
	s_waitcnt vmcnt(0)
	v_cvt_f16_f32_e32 v0, v0
	v_cvt_f16_f32_e32 v1, v1
	s_delay_alu instid0(VALU_DEP_1) | instskip(NEXT) | instid1(VALU_DEP_1)
	v_pack_b32_f16 v0, v0, v1
	v_pk_mul_f16 v0, v228, v0
	ds_store_b32 v65, v0 offset:128
.LBB19_86:                              ;   in Loop: Header=BB19_15 Depth=1
	s_or_b32 exec_lo, exec_lo, s1
	scratch_load_b32 v0, off, off offset:996 ; 4-byte Folded Reload
	s_waitcnt vmcnt(0)
	v_add_nc_u32_e32 v13, s2, v0
	s_delay_alu instid0(VALU_DEP_1) | instskip(SKIP_1) | instid1(SALU_CYCLE_1)
	v_cmp_le_i32_e32 vcc_lo, s8, v13
	s_or_b32 s1, vcc_lo, s0
	s_and_saveexec_b32 s3, s1
	s_delay_alu instid0(SALU_CYCLE_1)
	s_xor_b32 s1, exec_lo, s3
	s_cbranch_execz .LBB19_88
; %bb.87:                               ;   in Loop: Header=BB19_15 Depth=1
	ds_store_b32 v65, v80 offset:2048
.LBB19_88:                              ;   in Loop: Header=BB19_15 Depth=1
	s_and_not1_saveexec_b32 s1, s1
	s_cbranch_execz .LBB19_90
; %bb.89:                               ;   in Loop: Header=BB19_15 Depth=1
	v_mad_u64_u32 v[0:1], null, v13, s59, v[16:17]
	s_delay_alu instid0(VALU_DEP_1) | instskip(NEXT) | instid1(VALU_DEP_1)
	v_ashrrev_i32_e32 v1, 31, v0
	v_lshlrev_b64 v[0:1], 3, v[0:1]
	s_delay_alu instid0(VALU_DEP_1) | instskip(NEXT) | instid1(VALU_DEP_2)
	v_add_co_u32 v0, vcc_lo, s77, v0
	v_add_co_ci_u32_e32 v1, vcc_lo, s78, v1, vcc_lo
	global_load_b64 v[0:1], v[0:1], off
	s_waitcnt vmcnt(0)
	v_cvt_f16_f32_e32 v0, v0
	v_cvt_f16_f32_e32 v1, v1
	s_delay_alu instid0(VALU_DEP_1) | instskip(NEXT) | instid1(VALU_DEP_1)
	v_pack_b32_f16 v0, v0, v1
	v_pk_mul_f16 v0, v228, v0
	ds_store_b32 v65, v0 offset:2048
.LBB19_90:                              ;   in Loop: Header=BB19_15 Depth=1
	s_or_b32 exec_lo, exec_lo, s1
	scratch_load_b32 v0, off, off offset:1008 ; 4-byte Folded Reload
	s_waitcnt vmcnt(0)
	v_add_nc_u32_e32 v12, s2, v0
	s_delay_alu instid0(VALU_DEP_1) | instskip(SKIP_1) | instid1(SALU_CYCLE_1)
	v_cmp_le_i32_e32 vcc_lo, s8, v12
	s_or_b32 s1, vcc_lo, s0
	;; [unrolled: 33-line block ×4, first 2 shown]
	s_and_saveexec_b32 s3, s1
	s_delay_alu instid0(SALU_CYCLE_1)
	s_xor_b32 s1, exec_lo, s3
	s_cbranch_execz .LBB19_100
; %bb.99:                               ;   in Loop: Header=BB19_15 Depth=1
	ds_store_b32 v65, v80 offset:7808
.LBB19_100:                             ;   in Loop: Header=BB19_15 Depth=1
	s_and_not1_saveexec_b32 s1, s1
	s_cbranch_execz .LBB19_102
; %bb.101:                              ;   in Loop: Header=BB19_15 Depth=1
	v_mad_u64_u32 v[0:1], null, v10, s59, v[16:17]
	s_delay_alu instid0(VALU_DEP_1) | instskip(NEXT) | instid1(VALU_DEP_1)
	v_ashrrev_i32_e32 v1, 31, v0
	v_lshlrev_b64 v[0:1], 3, v[0:1]
	s_delay_alu instid0(VALU_DEP_1) | instskip(NEXT) | instid1(VALU_DEP_2)
	v_add_co_u32 v0, vcc_lo, s77, v0
	v_add_co_ci_u32_e32 v1, vcc_lo, s78, v1, vcc_lo
	global_load_b64 v[0:1], v[0:1], off
	s_waitcnt vmcnt(0)
	v_cvt_f16_f32_e32 v0, v0
	v_cvt_f16_f32_e32 v1, v1
	s_delay_alu instid0(VALU_DEP_1) | instskip(NEXT) | instid1(VALU_DEP_1)
	v_pack_b32_f16 v0, v0, v1
	v_pk_mul_f16 v0, v228, v0
	ds_store_b32 v65, v0 offset:7808
.LBB19_102:                             ;   in Loop: Header=BB19_15 Depth=1
	s_or_b32 exec_lo, exec_lo, s1
	scratch_load_b32 v0, off, off offset:1004 ; 4-byte Folded Reload
	s_waitcnt vmcnt(0)
	v_add_nc_u32_e32 v9, s2, v0
	s_delay_alu instid0(VALU_DEP_1) | instskip(SKIP_1) | instid1(SALU_CYCLE_1)
	v_cmp_le_i32_e32 vcc_lo, s8, v9
	s_or_b32 s1, vcc_lo, s0
	s_and_saveexec_b32 s3, s1
	s_delay_alu instid0(SALU_CYCLE_1)
	s_xor_b32 s1, exec_lo, s3
	s_cbranch_execz .LBB19_104
; %bb.103:                              ;   in Loop: Header=BB19_15 Depth=1
	ds_store_b32 v65, v80 offset:9728
.LBB19_104:                             ;   in Loop: Header=BB19_15 Depth=1
	s_and_not1_saveexec_b32 s1, s1
	s_cbranch_execz .LBB19_106
; %bb.105:                              ;   in Loop: Header=BB19_15 Depth=1
	v_mad_u64_u32 v[0:1], null, v9, s59, v[16:17]
	s_delay_alu instid0(VALU_DEP_1) | instskip(NEXT) | instid1(VALU_DEP_1)
	v_ashrrev_i32_e32 v1, 31, v0
	v_lshlrev_b64 v[0:1], 3, v[0:1]
	s_delay_alu instid0(VALU_DEP_1) | instskip(NEXT) | instid1(VALU_DEP_2)
	v_add_co_u32 v0, vcc_lo, s77, v0
	v_add_co_ci_u32_e32 v1, vcc_lo, s78, v1, vcc_lo
	global_load_b64 v[0:1], v[0:1], off
	s_waitcnt vmcnt(0)
	v_cvt_f16_f32_e32 v0, v0
	v_cvt_f16_f32_e32 v1, v1
	s_delay_alu instid0(VALU_DEP_1) | instskip(NEXT) | instid1(VALU_DEP_1)
	v_pack_b32_f16 v0, v0, v1
	v_pk_mul_f16 v0, v228, v0
	ds_store_b32 v65, v0 offset:9728
.LBB19_106:                             ;   in Loop: Header=BB19_15 Depth=1
	s_or_b32 exec_lo, exec_lo, s1
	scratch_load_b32 v0, off, off offset:1016 ; 4-byte Folded Reload
	s_waitcnt vmcnt(0)
	v_add_nc_u32_e32 v8, s2, v0
	s_delay_alu instid0(VALU_DEP_1) | instskip(SKIP_1) | instid1(SALU_CYCLE_1)
	v_cmp_le_i32_e32 vcc_lo, s8, v8
	s_or_b32 s1, vcc_lo, s0
	s_and_saveexec_b32 s3, s1
	s_delay_alu instid0(SALU_CYCLE_1)
	s_xor_b32 s1, exec_lo, s3
	s_cbranch_execz .LBB19_108
; %bb.107:                              ;   in Loop: Header=BB19_15 Depth=1
	ds_store_b32 v65, v80 offset:11648
.LBB19_108:                             ;   in Loop: Header=BB19_15 Depth=1
	;; [unrolled: 33-line block ×3, first 2 shown]
	s_and_not1_saveexec_b32 s0, s0
	s_cbranch_execz .LBB19_114
; %bb.113:                              ;   in Loop: Header=BB19_15 Depth=1
	v_mad_u64_u32 v[0:1], null, v7, s59, v[16:17]
	s_delay_alu instid0(VALU_DEP_1) | instskip(NEXT) | instid1(VALU_DEP_1)
	v_ashrrev_i32_e32 v1, 31, v0
	v_lshlrev_b64 v[0:1], 3, v[0:1]
	s_delay_alu instid0(VALU_DEP_1) | instskip(NEXT) | instid1(VALU_DEP_2)
	v_add_co_u32 v0, vcc_lo, s77, v0
	v_add_co_ci_u32_e32 v1, vcc_lo, s78, v1, vcc_lo
	global_load_b64 v[0:1], v[0:1], off
	s_waitcnt vmcnt(0)
	v_cvt_f16_f32_e32 v0, v0
	v_cvt_f16_f32_e32 v1, v1
	s_delay_alu instid0(VALU_DEP_1) | instskip(NEXT) | instid1(VALU_DEP_1)
	v_pack_b32_f16 v0, v0, v1
	v_pk_mul_f16 v0, v228, v0
	ds_store_b32 v65, v0 offset:13568
.LBB19_114:                             ;   in Loop: Header=BB19_15 Depth=1
	s_or_b32 exec_lo, exec_lo, s0
	scratch_load_b32 v0, off, off offset:1024 ; 4-byte Folded Reload
	v_or_b32_e32 v1, s79, v84
	s_delay_alu instid0(VALU_DEP_1) | instskip(SKIP_4) | instid1(VALU_DEP_1)
	v_cmp_gt_i32_e32 vcc_lo, s33, v1
	scratch_store_b32 off, v1, off offset:868 ; 4-byte Folded Spill
	s_xor_b32 s0, vcc_lo, -1
	s_waitcnt vmcnt(0)
	v_add_nc_u32_e32 v5, s2, v0
	v_cmp_le_i32_e64 s1, s8, v5
	s_delay_alu instid0(VALU_DEP_1) | instskip(NEXT) | instid1(SALU_CYCLE_1)
	s_or_b32 s1, s1, s0
	s_and_saveexec_b32 s3, s1
	s_delay_alu instid0(SALU_CYCLE_1)
	s_xor_b32 s1, exec_lo, s3
	s_cbranch_execz .LBB19_116
; %bb.115:                              ;   in Loop: Header=BB19_15 Depth=1
	scratch_load_b32 v0, off, off offset:928 ; 4-byte Folded Reload
	s_waitcnt vmcnt(0)
	ds_store_b32 v0, v80 offset:192
.LBB19_116:                             ;   in Loop: Header=BB19_15 Depth=1
	s_and_not1_saveexec_b32 s1, s1
	s_cbranch_execz .LBB19_118
; %bb.117:                              ;   in Loop: Header=BB19_15 Depth=1
	v_mad_u64_u32 v[0:1], null, v5, s59, v[17:18]
	s_delay_alu instid0(VALU_DEP_1) | instskip(NEXT) | instid1(VALU_DEP_1)
	v_ashrrev_i32_e32 v1, 31, v0
	v_lshlrev_b64 v[0:1], 3, v[0:1]
	s_delay_alu instid0(VALU_DEP_1) | instskip(NEXT) | instid1(VALU_DEP_2)
	v_add_co_u32 v0, vcc_lo, s77, v0
	v_add_co_ci_u32_e32 v1, vcc_lo, s78, v1, vcc_lo
	global_load_b64 v[0:1], v[0:1], off
	s_waitcnt vmcnt(0)
	v_cvt_f16_f32_e32 v0, v0
	v_cvt_f16_f32_e32 v1, v1
	s_delay_alu instid0(VALU_DEP_1)
	v_pack_b32_f16 v0, v0, v1
	scratch_load_b32 v1, off, off offset:928 ; 4-byte Folded Reload
	v_pk_mul_f16 v0, v228, v0
	s_waitcnt vmcnt(0)
	ds_store_b32 v1, v0 offset:192
.LBB19_118:                             ;   in Loop: Header=BB19_15 Depth=1
	s_or_b32 exec_lo, exec_lo, s1
	scratch_load_b32 v0, off, off offset:1028 ; 4-byte Folded Reload
	s_waitcnt vmcnt(0)
	v_add_nc_u32_e32 v4, s2, v0
	s_delay_alu instid0(VALU_DEP_1) | instskip(SKIP_1) | instid1(SALU_CYCLE_1)
	v_cmp_le_i32_e32 vcc_lo, s8, v4
	s_or_b32 s1, vcc_lo, s0
	s_and_saveexec_b32 s3, s1
	s_delay_alu instid0(SALU_CYCLE_1)
	s_xor_b32 s1, exec_lo, s3
	s_cbranch_execz .LBB19_120
; %bb.119:                              ;   in Loop: Header=BB19_15 Depth=1
	ds_store_b32 v64, v80 offset:192
.LBB19_120:                             ;   in Loop: Header=BB19_15 Depth=1
	s_and_not1_saveexec_b32 s1, s1
	s_cbranch_execz .LBB19_122
; %bb.121:                              ;   in Loop: Header=BB19_15 Depth=1
	v_mad_u64_u32 v[0:1], null, v4, s59, v[17:18]
	s_delay_alu instid0(VALU_DEP_1) | instskip(NEXT) | instid1(VALU_DEP_1)
	v_ashrrev_i32_e32 v1, 31, v0
	v_lshlrev_b64 v[0:1], 3, v[0:1]
	s_delay_alu instid0(VALU_DEP_1) | instskip(NEXT) | instid1(VALU_DEP_2)
	v_add_co_u32 v0, vcc_lo, s77, v0
	v_add_co_ci_u32_e32 v1, vcc_lo, s78, v1, vcc_lo
	global_load_b64 v[0:1], v[0:1], off
	s_waitcnt vmcnt(0)
	v_cvt_f16_f32_e32 v0, v0
	v_cvt_f16_f32_e32 v1, v1
	s_delay_alu instid0(VALU_DEP_1) | instskip(NEXT) | instid1(VALU_DEP_1)
	v_pack_b32_f16 v0, v0, v1
	v_pk_mul_f16 v0, v228, v0
	ds_store_b32 v64, v0 offset:192
.LBB19_122:                             ;   in Loop: Header=BB19_15 Depth=1
	s_or_b32 exec_lo, exec_lo, s1
	scratch_load_b32 v0, off, off offset:1032 ; 4-byte Folded Reload
	s_waitcnt vmcnt(0)
	v_add_nc_u32_e32 v3, s2, v0
	s_delay_alu instid0(VALU_DEP_1) | instskip(SKIP_1) | instid1(SALU_CYCLE_1)
	v_cmp_le_i32_e32 vcc_lo, s8, v3
	s_or_b32 s1, vcc_lo, s0
	s_and_saveexec_b32 s3, s1
	s_delay_alu instid0(SALU_CYCLE_1)
	s_xor_b32 s1, exec_lo, s3
	s_cbranch_execz .LBB19_124
; %bb.123:                              ;   in Loop: Header=BB19_15 Depth=1
	ds_store_b32 v64, v80 offset:4032
.LBB19_124:                             ;   in Loop: Header=BB19_15 Depth=1
	s_and_not1_saveexec_b32 s1, s1
	s_cbranch_execz .LBB19_126
; %bb.125:                              ;   in Loop: Header=BB19_15 Depth=1
	v_mad_u64_u32 v[0:1], null, v3, s59, v[17:18]
	s_delay_alu instid0(VALU_DEP_1) | instskip(NEXT) | instid1(VALU_DEP_1)
	v_ashrrev_i32_e32 v1, 31, v0
	v_lshlrev_b64 v[0:1], 3, v[0:1]
	s_delay_alu instid0(VALU_DEP_1) | instskip(NEXT) | instid1(VALU_DEP_2)
	v_add_co_u32 v0, vcc_lo, s77, v0
	v_add_co_ci_u32_e32 v1, vcc_lo, s78, v1, vcc_lo
	global_load_b64 v[0:1], v[0:1], off
	s_waitcnt vmcnt(0)
	v_cvt_f16_f32_e32 v0, v0
	v_cvt_f16_f32_e32 v1, v1
	s_delay_alu instid0(VALU_DEP_1) | instskip(NEXT) | instid1(VALU_DEP_1)
	v_pack_b32_f16 v0, v0, v1
	v_pk_mul_f16 v0, v228, v0
	ds_store_b32 v64, v0 offset:4032
.LBB19_126:                             ;   in Loop: Header=BB19_15 Depth=1
	s_or_b32 exec_lo, exec_lo, s1
	scratch_load_b32 v0, off, off offset:1036 ; 4-byte Folded Reload
	s_waitcnt vmcnt(0)
	v_add_nc_u32_e32 v2, s2, v0
	s_delay_alu instid0(VALU_DEP_1) | instskip(SKIP_1) | instid1(SALU_CYCLE_1)
	v_cmp_le_i32_e32 vcc_lo, s8, v2
	s_or_b32 s0, vcc_lo, s0
	s_and_saveexec_b32 s1, s0
	s_delay_alu instid0(SALU_CYCLE_1)
	s_xor_b32 s0, exec_lo, s1
	s_cbranch_execz .LBB19_128
; %bb.127:                              ;   in Loop: Header=BB19_15 Depth=1
	ds_store_b32 v64, v80 offset:7872
.LBB19_128:                             ;   in Loop: Header=BB19_15 Depth=1
	s_and_not1_saveexec_b32 s0, s0
	s_cbranch_execz .LBB19_130
; %bb.129:                              ;   in Loop: Header=BB19_15 Depth=1
	v_mad_u64_u32 v[0:1], null, v2, s59, v[17:18]
	s_delay_alu instid0(VALU_DEP_1) | instskip(NEXT) | instid1(VALU_DEP_1)
	v_ashrrev_i32_e32 v1, 31, v0
	v_lshlrev_b64 v[0:1], 3, v[0:1]
	s_delay_alu instid0(VALU_DEP_1) | instskip(NEXT) | instid1(VALU_DEP_2)
	v_add_co_u32 v0, vcc_lo, s77, v0
	v_add_co_ci_u32_e32 v1, vcc_lo, s78, v1, vcc_lo
	global_load_b64 v[0:1], v[0:1], off
	s_waitcnt vmcnt(0)
	v_cvt_f16_f32_e32 v0, v0
	v_cvt_f16_f32_e32 v1, v1
	s_delay_alu instid0(VALU_DEP_1) | instskip(NEXT) | instid1(VALU_DEP_1)
	v_pack_b32_f16 v0, v0, v1
	v_pk_mul_f16 v0, v228, v0
	ds_store_b32 v64, v0 offset:7872
.LBB19_130:                             ;   in Loop: Header=BB19_15 Depth=1
	s_or_b32 exec_lo, exec_lo, s0
	s_clause 0x1
	scratch_load_b32 v0, off, off offset:1044
	scratch_load_b32 v1, off, off offset:1048
	v_add_nc_u32_e32 v112, s2, v245
	v_add_nc_u32_e32 v113, s2, v220
	;; [unrolled: 1-line block ×4, first 2 shown]
	s_waitcnt vmcnt(0) lgkmcnt(0)
	s_waitcnt_vscnt null, 0x0
	s_barrier
	buffer_gl0_inv
	v_mul_hi_u32 v119, s48, v112
	v_mul_hi_u32 v118, s48, v113
	;; [unrolled: 1-line block ×4, first 2 shown]
	s_add_i32 s0, s101, -1
	s_delay_alu instid0(SALU_CYCLE_1)
	s_cmp_gt_i32 s0, s63
	v_add_nc_u32_e32 v0, v0, v1
	ds_load_b128 v[51:54], v0
	ds_load_b128 v[55:58], v0 offset:16
	ds_load_b128 v[43:46], v0 offset:32
	;; [unrolled: 1-line block ×13, first 2 shown]
	s_waitcnt lgkmcnt(0)
	s_barrier
	buffer_gl0_inv
	s_clause 0xf
	scratch_store_b32 off, v2, off offset:936
	scratch_store_b32 off, v6, off offset:744
	;; [unrolled: 1-line block ×10, first 2 shown]
	scratch_store_b128 off, v[35:38], off offset:304
	scratch_store_b128 off, v[39:42], off offset:320
	;; [unrolled: 1-line block ×6, first 2 shown]
	s_cbranch_scc1 .LBB19_134
; %bb.131:                              ;   in Loop: Header=BB19_15 Depth=1
	v_add_nc_u32_e32 v0, v112, v119
	v_dual_mov_b32 v96, 32 :: v_dual_add_nc_u32 v1, v113, v118
	v_add_nc_u32_e32 v2, v114, v117
	v_add_nc_u32_e32 v3, v115, v116
	s_delay_alu instid0(VALU_DEP_4) | instskip(NEXT) | instid1(VALU_DEP_4)
	v_lshrrev_b32_e32 v0, s49, v0
	v_lshrrev_b32_e32 v1, s49, v1
	s_mov_b32 s1, 0
	v_lshrrev_b32_e32 v2, s49, v2
	v_lshrrev_b32_e32 v3, s49, v3
	v_mul_lo_u32 v0, v0, s8
	v_mul_lo_u32 v1, v1, s8
	s_mov_b32 s2, 0xfeffffff
	v_mul_lo_u32 v2, v2, s8
	v_mul_lo_u32 v3, v3, s8
	s_mov_b32 s3, 0
	s_delay_alu instid0(VALU_DEP_4) | instskip(NEXT) | instid1(VALU_DEP_4)
	v_sub_nc_u32_e32 v0, v112, v0
	v_sub_nc_u32_e32 v1, v113, v1
	s_delay_alu instid0(VALU_DEP_4) | instskip(NEXT) | instid1(VALU_DEP_4)
	v_sub_nc_u32_e32 v2, v114, v2
	v_sub_nc_u32_e32 v3, v115, v3
	s_delay_alu instid0(VALU_DEP_4)
	v_mad_i64_i32 v[84:85], null, v0, s34, 0
	scratch_load_b32 v0, off, off offset:904 ; 4-byte Folded Reload
	v_mad_i64_i32 v[82:83], null, v1, s34, 0
	v_mad_i64_i32 v[61:62], null, v2, s34, 0
	;; [unrolled: 1-line block ×3, first 2 shown]
	s_waitcnt vmcnt(0)
	v_xor_b32_e32 v90, 16, v0
	s_branch .LBB19_135
.LBB19_132:                             ;   in Loop: Header=BB19_15 Depth=1
                                        ; implicit-def: $vgpr1
                                        ; implicit-def: $vgpr0
                                        ; kill: killed $vgpr0
	s_cbranch_execnz .LBB19_278
.LBB19_133:                             ;   in Loop: Header=BB19_15 Depth=1
	v_readlane_b32 s55, v255, 0
	s_and_saveexec_b32 s0, s75
	s_cbranch_execz .LBB19_14
	s_branch .LBB19_536
.LBB19_134:                             ;   in Loop: Header=BB19_15 Depth=1
	s_mov_b32 s1, -1
                                        ; implicit-def: $sgpr3
                                        ; implicit-def: $sgpr2
                                        ; implicit-def: $vgpr84_vgpr85
                                        ; implicit-def: $vgpr82_vgpr83
                                        ; implicit-def: $vgpr61_vgpr62
                                        ; implicit-def: $vgpr91_vgpr92
                                        ; implicit-def: $vgpr90
                                        ; implicit-def: $vgpr96
.LBB19_135:                             ;   in Loop: Header=BB19_15 Depth=1
	s_clause 0x12
	scratch_store_b32 off, v33, off offset:968
	scratch_store_b32 off, v32, off offset:1180
	;; [unrolled: 1-line block ×19, first 2 shown]
	v_dual_mov_b32 v7, s3 :: v_dual_mov_b32 v6, s3
	v_dual_mov_b32 v247, s2 :: v_dual_mov_b32 v4, s3
	;; [unrolled: 1-line block ×29, first 2 shown]
	s_and_not1_b32 vcc_lo, exec_lo, s1
	s_cbranch_vccnz .LBB19_139
; %bb.136:                              ;   in Loop: Header=BB19_15 Depth=1
	s_clause 0x1
	scratch_load_b32 v5, off, off offset:904
	scratch_load_b32 v4, off, off offset:944
	v_mov_b32_e32 v251, v234
	scratch_load_b32 v234, off, off offset:1168 ; 4-byte Folded Reload
	v_dual_mov_b32 v230, 0 :: v_dual_add_nc_u32 v1, v113, v118
	v_add_nc_u32_e32 v0, v112, v119
	v_dual_mov_b32 v247, 0xfeffffff :: v_dual_add_nc_u32 v2, v114, v117
	s_delay_alu instid0(VALU_DEP_3) | instskip(NEXT) | instid1(VALU_DEP_4)
	v_lshrrev_b32_e32 v1, s49, v1
	v_mov_b32_e32 v9, v230
	s_delay_alu instid0(VALU_DEP_4) | instskip(NEXT) | instid1(VALU_DEP_4)
	v_lshrrev_b32_e32 v0, s49, v0
	v_lshrrev_b32_e32 v2, s49, v2
	v_dual_mov_b32 v10, v230 :: v_dual_mov_b32 v93, v99
	v_mul_lo_u32 v1, v1, s8
	s_delay_alu instid0(VALU_DEP_4) | instskip(NEXT) | instid1(VALU_DEP_4)
	v_mul_lo_u32 v0, v0, s8
	v_mul_lo_u32 v2, v2, s8
	v_dual_mov_b32 v12, v230 :: v_dual_mov_b32 v99, v103
	v_dual_mov_b32 v13, v230 :: v_dual_mov_b32 v16, 0
	;; [unrolled: 1-line block ×3, first 2 shown]
	v_sub_nc_u32_e32 v57, v112, v0
	v_sub_nc_u32_e32 v58, v113, v1
	;; [unrolled: 1-line block ×3, first 2 shown]
	v_dual_mov_b32 v15, v230 :: v_dual_mov_b32 v24, 0
	s_delay_alu instid0(VALU_DEP_4) | instskip(NEXT) | instid1(VALU_DEP_4)
	v_mad_i64_i32 v[84:85], null, v57, s34, 0
	v_mad_i64_i32 v[82:83], null, v58, s34, 0
	s_delay_alu instid0(VALU_DEP_4)
	v_mad_i64_i32 v[61:62], null, v59, s34, 0
	v_dual_mov_b32 v17, v230 :: v_dual_mov_b32 v32, 0
	v_mov_b32_e32 v18, v230
	v_dual_mov_b32 v19, v230 :: v_dual_mov_b32 v40, 0
	v_dual_mov_b32 v20, v230 :: v_dual_mov_b32 v253, v225
	;; [unrolled: 1-line block ×3, first 2 shown]
	v_mov_b32_e32 v22, v230
	v_dual_mov_b32 v23, v230 :: v_dual_mov_b32 v0, 0
	v_dual_mov_b32 v25, v230 :: v_dual_mov_b32 v232, v249
	v_mov_b32_e32 v26, v230
	v_mov_b32_e32 v27, v230
	v_mov_b32_e32 v28, v230
	v_mov_b32_e32 v29, v230
	v_mov_b32_e32 v30, v230
	v_dual_mov_b32 v31, v230 :: v_dual_mov_b32 v90, v181
	v_mov_b32_e32 v33, v230
	v_mov_b32_e32 v34, v230
	v_mov_b32_e32 v35, v230
	v_mov_b32_e32 v36, v230
	v_mov_b32_e32 v37, v230
	v_mov_b32_e32 v38, v230
	v_mov_b32_e32 v39, v230
	v_mov_b32_e32 v41, v230
	v_mov_b32_e32 v42, v230
	v_mov_b32_e32 v43, v230
	v_mov_b32_e32 v44, v230
	v_mov_b32_e32 v45, v230
	v_mov_b32_e32 v46, v230
	v_mov_b32_e32 v47, v230
	v_mov_b32_e32 v49, v230
	v_mov_b32_e32 v50, v230
	v_mov_b32_e32 v51, v230
	v_mov_b32_e32 v52, v230
	v_mov_b32_e32 v53, v230
	v_mov_b32_e32 v54, v230
	v_mov_b32_e32 v55, v230
	v_mov_b32_e32 v1, v230
	v_mov_b32_e32 v2, v230
	v_mov_b32_e32 v7, v230
	v_mov_b32_e32 v249, v237
	v_dual_mov_b32 v101, v94 :: v_dual_mov_b32 v94, v252
	v_mov_b32_e32 v252, v250
	v_mov_b32_e32 v250, v144
	;; [unrolled: 1-line block ×3, first 2 shown]
	s_lshl_b32 s74, s63, 6
	v_dual_mov_b32 v11, v230 :: v_dual_mov_b32 v8, 0
	s_waitcnt vmcnt(2)
	v_xor_b32_e32 v6, 16, v5
	s_waitcnt vmcnt(1)
	v_lshlrev_b32_e32 v56, 1, v4
	s_delay_alu instid0(VALU_DEP_2) | instskip(SKIP_1) | instid1(VALU_DEP_3)
	v_cmp_gt_i32_e32 vcc_lo, 32, v6
	v_add_nc_u32_e32 v3, v115, v116
	v_add_co_u32 v56, s1, s99, v56
	scratch_store_b32 off, v6, off offset:1276 ; 4-byte Folded Spill
	v_cndmask_b32_e32 v4, v5, v6, vcc_lo
	v_lshrrev_b32_e32 v3, s49, v3
	scratch_store_b32 off, v56, off offset:620 ; 4-byte Folded Spill
	v_mov_b32_e32 v5, v230
	v_dual_mov_b32 v6, v230 :: v_dual_lshlrev_b32 v231, 2, v4
	v_mul_lo_u32 v3, v3, s8
	v_mov_b32_e32 v4, v230
	v_add_co_ci_u32_e64 v56, null, s100, 0, s1
	scratch_store_b32 off, v56, off offset:652 ; 4-byte Folded Spill
	v_sub_nc_u32_e32 v60, v115, v3
	v_mov_b32_e32 v3, v230
	s_clause 0x5
	scratch_store_b128 off, v[147:150], off offset:432
	scratch_store_b128 off, v[151:154], off offset:448
	scratch_store_b128 off, v[155:158], off offset:400
	scratch_store_b128 off, v[159:162], off offset:416
	scratch_store_b128 off, v[104:107], off offset:588
	scratch_store_b128 off, v[108:111], off offset:604
	v_mad_i64_i32 v[91:92], null, v60, s34, 0
.LBB19_137:                             ;   Parent Loop BB19_15 Depth=1
                                        ; =>  This Inner Loop Header: Depth=2
	scratch_load_b32 v56, off, off offset:620 ; 4-byte Folded Reload
	s_ashr_i32 s75, s74, 31
	v_dual_mov_b32 v238, v62 :: v_dual_mov_b32 v237, v61
	s_lshl_b64 s[2:3], s[74:75], 1
	v_lshlrev_b64 v[58:59], 1, v[82:83]
	v_lshlrev_b64 v[62:63], 1, v[91:92]
	v_mov_b32_e32 v151, s43
	v_lshlrev_b64 v[60:61], 1, v[237:238]
	v_dual_mov_b32 v148, s40 :: v_dual_mov_b32 v147, s39
	v_dual_mov_b32 v146, s38 :: v_dual_mov_b32 v145, s37
	v_mov_b32_e32 v144, s36
	v_dual_mov_b32 v150, s42 :: v_dual_mov_b32 v149, s41
	v_mov_b32_e32 v225, v83
	v_mov_b32_e32 v227, v85
	;; [unrolled: 1-line block ×3, first 2 shown]
	s_waitcnt vmcnt(0)
	v_add_co_u32 v64, vcc_lo, v56, s2
	scratch_load_b32 v56, off, off offset:652 ; 4-byte Folded Reload
	s_mul_i32 s2, s74, s12
	s_waitcnt vmcnt(0)
	v_add_co_ci_u32_e32 v65, vcc_lo, s3, v56, vcc_lo
	v_lshlrev_b64 v[56:57], 1, v[84:85]
	s_mul_hi_i32 s3, s74, s12
	s_delay_alu instid0(SALU_CYCLE_1) | instskip(NEXT) | instid1(SALU_CYCLE_1)
	s_lshl_b64 s[2:3], s[2:3], 2
	s_add_u32 s1, s97, s2
	s_delay_alu instid0(VALU_DEP_1) | instskip(NEXT) | instid1(VALU_DEP_2)
	v_add_co_u32 v56, vcc_lo, v64, v56
	v_add_co_ci_u32_e32 v57, vcc_lo, v65, v57, vcc_lo
	v_add_co_u32 v58, vcc_lo, v64, v58
	v_add_co_ci_u32_e32 v59, vcc_lo, v65, v59, vcc_lo
	;; [unrolled: 2-line block ×4, first 2 shown]
	s_clause 0x3
	global_load_b32 v56, v[56:57], off
	global_load_b32 v57, v[58:59], off
	;; [unrolled: 1-line block ×4, first 2 shown]
	v_add_nc_u32_e32 v60, v120, v81
	s_addc_u32 s2, s98, s3
	s_mul_hi_i32 s3, s74, s10
	s_delay_alu instid0(VALU_DEP_1)
	v_add_nc_u32_e32 v61, 0x3c00, v60
	s_waitcnt vmcnt(2)
	ds_store_2addr_b32 v61, v56, v57 offset1:144
	v_add_nc_u32_e32 v56, 0x4000, v60
	s_waitcnt vmcnt(0)
	ds_store_2addr_b32 v56, v58, v59 offset0:32 offset1:176
	v_add_co_u32 v56, vcc_lo, s1, v66
	v_add_co_ci_u32_e32 v57, vcc_lo, s2, v67, vcc_lo
	s_delay_alu instid0(VALU_DEP_2) | instskip(NEXT) | instid1(VALU_DEP_2)
	v_add_co_u32 v56, vcc_lo, v56, v175
	v_add_co_ci_u32_e32 v57, vcc_lo, 0, v57, vcc_lo
	v_add_co_u32 v58, vcc_lo, s1, v68
	v_add_co_ci_u32_e32 v59, vcc_lo, s2, v69, vcc_lo
	s_delay_alu instid0(VALU_DEP_2) | instskip(NEXT) | instid1(VALU_DEP_2)
	v_add_co_u32 v60, vcc_lo, v58, v180
	v_add_co_ci_u32_e32 v61, vcc_lo, 0, v59, vcc_lo
	s_clause 0x1
	global_load_b128 v[56:59], v[56:57], off offset:192
	global_load_b128 v[60:63], v[60:61], off offset:128
	scratch_load_b32 v69, off, off offset:296 ; 4-byte Folded Reload
	s_waitcnt vmcnt(0)
	ds_store_b128 v69, v[56:59]
	v_add_co_u32 v56, vcc_lo, s1, v70
	v_add_co_ci_u32_e32 v57, vcc_lo, s2, v71, vcc_lo
	s_delay_alu instid0(VALU_DEP_2) | instskip(NEXT) | instid1(VALU_DEP_2)
	v_add_co_u32 v56, vcc_lo, v56, v180
	v_add_co_ci_u32_e32 v57, vcc_lo, 0, v57, vcc_lo
	v_add_co_u32 v58, vcc_lo, s1, v72
	v_add_co_ci_u32_e32 v59, vcc_lo, s2, v73, vcc_lo
	s_delay_alu instid0(VALU_DEP_2) | instskip(NEXT) | instid1(VALU_DEP_2)
	v_add_co_u32 v64, vcc_lo, v58, v194
	v_add_co_ci_u32_e32 v65, vcc_lo, 0, v59, vcc_lo
	s_clause 0x1
	global_load_b128 v[56:59], v[56:57], off offset:128
	global_load_b128 v[64:67], v[64:65], off
	ds_store_b128 v168, v[60:63]
	s_waitcnt vmcnt(1)
	ds_store_b128 v169, v[56:59]
	v_add_co_u32 v56, vcc_lo, s1, v74
	v_add_co_ci_u32_e32 v57, vcc_lo, s2, v75, vcc_lo
	s_delay_alu instid0(VALU_DEP_2) | instskip(NEXT) | instid1(VALU_DEP_2)
	v_add_co_u32 v56, vcc_lo, v56, v194
	v_add_co_ci_u32_e32 v57, vcc_lo, 0, v57, vcc_lo
	v_add_co_u32 v58, vcc_lo, s1, v76
	v_add_co_ci_u32_e32 v59, vcc_lo, s2, v77, vcc_lo
	s_delay_alu instid0(VALU_DEP_2) | instskip(NEXT) | instid1(VALU_DEP_2)
	v_add_co_u32 v60, vcc_lo, v58, v194
	v_add_co_ci_u32_e32 v61, vcc_lo, 0, v59, vcc_lo
	s_clause 0x1
	global_load_b128 v[56:59], v[56:57], off
	global_load_b128 v[60:63], v[60:61], off
	s_waitcnt vmcnt(2)
	ds_store_b128 v172, v[64:67]
	s_waitcnt vmcnt(1)
	ds_store_b128 v174, v[56:59]
	v_add_co_u32 v56, vcc_lo, s1, v78
	v_add_co_ci_u32_e32 v57, vcc_lo, s2, v79, vcc_lo
	s_mul_i32 s2, s74, s10
	s_delay_alu instid0(VALU_DEP_2) | instskip(NEXT) | instid1(VALU_DEP_2)
	v_add_co_u32 v56, vcc_lo, v56, v194
	v_add_co_ci_u32_e32 v57, vcc_lo, 0, v57, vcc_lo
	s_lshl_b64 s[2:3], s[2:3], 2
	s_delay_alu instid0(SALU_CYCLE_1)
	s_add_u32 s1, s95, s2
	global_load_b128 v[56:59], v[56:57], off
	s_waitcnt vmcnt(1)
	ds_store_b128 v196, v[60:63]
	s_waitcnt vmcnt(0)
	ds_store_b128 v197, v[56:59]
	s_waitcnt lgkmcnt(0)
	s_waitcnt_vscnt null, 0x0
	s_barrier
	buffer_gl0_inv
	ds_load_b128 v[112:115], v233
	ds_load_b128 v[116:119], v233 offset:16
	ds_load_b128 v[120:123], v233 offset:3840
	;; [unrolled: 1-line block ×7, first 2 shown]
	s_clause 0x1
	scratch_load_b128 v[56:59], off, off offset:368
	scratch_load_b128 v[60:63], off, off offset:384
	s_addc_u32 s2, s96, s3
	s_add_i32 s63, s63, 1
	s_add_i32 s74, s74, 64
	s_cmp_lt_i32 s63, s0
	s_waitcnt vmcnt(0) lgkmcnt(6)
	v_wmma_f32_16x16x16_f16 v[152:159], v[112:119], v[56:63], v[144:151]
	s_waitcnt lgkmcnt(4)
	v_wmma_f32_16x16x16_f16 v[160:167], v[120:127], v[56:63], v[144:151]
	s_waitcnt lgkmcnt(2)
	;; [unrolled: 2-line block ×3, first 2 shown]
	v_wmma_f32_16x16x16_f16 v[128:135], v[136:143], v[56:63], v[144:151]
	ds_load_b128 v[112:115], v233 offset:32
	ds_load_b128 v[116:119], v233 offset:48
	s_clause 0x1
	scratch_load_b128 v[56:59], off, off offset:336
	scratch_load_b128 v[60:63], off, off offset:352
	s_waitcnt vmcnt(0) lgkmcnt(0)
	v_wmma_f32_16x16x16_f16 v[152:159], v[112:119], v[56:63], v[152:159]
	ds_load_b128 v[112:115], v233 offset:3872
	ds_load_b128 v[116:119], v233 offset:3888
	s_waitcnt lgkmcnt(0)
	v_wmma_f32_16x16x16_f16 v[160:167], v[112:119], v[56:63], v[160:167]
	ds_load_b128 v[112:115], v233 offset:7712
	ds_load_b128 v[116:119], v233 offset:7728
	s_waitcnt lgkmcnt(0)
	v_wmma_f32_16x16x16_f16 v[120:127], v[112:119], v[56:63], v[120:127]
	ds_load_b128 v[112:115], v233 offset:11552
	ds_load_b128 v[116:119], v233 offset:11568
	s_waitcnt lgkmcnt(0)
	v_wmma_f32_16x16x16_f16 v[128:135], v[112:119], v[56:63], v[128:135]
	ds_load_b128 v[112:115], v233 offset:64
	ds_load_b128 v[116:119], v233 offset:80
	s_clause 0x1
	scratch_load_b128 v[56:59], off, off offset:304
	scratch_load_b128 v[60:63], off, off offset:320
	s_waitcnt vmcnt(0) lgkmcnt(0)
	v_wmma_f32_16x16x16_f16 v[152:159], v[112:119], v[56:63], v[152:159]
	ds_load_b128 v[112:115], v233 offset:3904
	ds_load_b128 v[116:119], v233 offset:3920
	s_waitcnt lgkmcnt(0)
	v_wmma_f32_16x16x16_f16 v[160:167], v[112:119], v[56:63], v[160:167]
	ds_load_b128 v[112:115], v233 offset:7744
	ds_load_b128 v[116:119], v233 offset:7760
	s_waitcnt lgkmcnt(0)
	v_wmma_f32_16x16x16_f16 v[120:127], v[112:119], v[56:63], v[120:127]
	ds_load_b128 v[112:115], v233 offset:11584
	ds_load_b128 v[116:119], v233 offset:11600
	s_waitcnt lgkmcnt(0)
	;; [unrolled: 19-line block ×4, first 2 shown]
	v_wmma_f32_16x16x16_f16 v[128:135], v[112:119], v[56:63], v[128:135]
	ds_load_b128 v[112:115], v233 offset:160
	ds_load_b128 v[116:119], v233 offset:176
	s_waitcnt lgkmcnt(0)
	v_wmma_f32_16x16x16_f16 v[152:159], v[112:119], v[104:111], v[152:159]
	ds_load_b128 v[112:115], v233 offset:4000
	ds_load_b128 v[116:119], v233 offset:4016
	s_waitcnt lgkmcnt(0)
	;; [unrolled: 4-line block ×4, first 2 shown]
	v_wmma_f32_16x16x16_f16 v[128:135], v[112:119], v[104:111], v[128:135]
	ds_load_b128 v[112:115], v233 offset:192
	ds_load_b128 v[116:119], v233 offset:208
	v_dual_mov_b32 v104, v207 :: v_dual_mov_b32 v107, v210
	v_mov_b32_e32 v105, v208
	v_mov_b32_e32 v109, v212
	;; [unrolled: 1-line block ×3, first 2 shown]
	s_waitcnt lgkmcnt(0)
	v_wmma_f32_16x16x16_f16 v[152:159], v[112:119], v[207:214], v[152:159]
	ds_load_b128 v[112:115], v233 offset:4032
	ds_load_b128 v[116:119], v233 offset:4048
	s_waitcnt lgkmcnt(0)
	v_wmma_f32_16x16x16_f16 v[160:167], v[112:119], v[207:214], v[160:167]
	ds_load_b128 v[112:115], v233 offset:7872
	ds_load_b128 v[116:119], v233 offset:7888
	;; [unrolled: 4-line block ×3, first 2 shown]
	s_waitcnt lgkmcnt(0)
	s_barrier
	buffer_gl0_inv
	ds_load_u16 v56, v234 offset:15360
	ds_load_u16 v57, v234 offset:15364
	;; [unrolled: 1-line block ×8, first 2 shown]
	s_waitcnt lgkmcnt(7)
	v_cvt_f32_f16_e32 v56, v56
	s_waitcnt lgkmcnt(6)
	v_cvt_f32_f16_e32 v57, v57
	;; [unrolled: 2-line block ×8, first 2 shown]
	v_wmma_f32_16x16x16_f16 v[128:135], v[112:119], v[207:214], v[128:135]
	v_dual_add_f32 v112, v152, v56 :: v_dual_add_f32 v117, v157, v61
	s_delay_alu instid0(VALU_DEP_3)
	v_dual_add_f32 v68, v153, v57 :: v_dual_add_f32 v119, v159, v63
	v_dual_add_f32 v114, v154, v58 :: v_dual_add_f32 v115, v155, v59
	v_add_f32_e32 v116, v156, v60
	v_add_f32_e32 v118, v158, v62
	ds_load_u16 v56, v234 offset:15392
	ds_load_u16 v57, v234 offset:15396
	;; [unrolled: 1-line block ×8, first 2 shown]
	v_mov_b32_e32 v224, v82
	s_waitcnt lgkmcnt(7)
	v_cvt_f32_f16_e32 v56, v56
	s_waitcnt lgkmcnt(6)
	v_cvt_f32_f16_e32 v57, v57
	;; [unrolled: 2-line block ×8, first 2 shown]
	v_dual_add_f32 v145, v160, v56 :: v_dual_add_f32 v146, v161, v57
	v_add_f32_e32 v143, v162, v58
	v_dual_add_f32 v139, v166, v62 :: v_dual_add_f32 v142, v163, v59
	v_dual_add_f32 v141, v164, v60 :: v_dual_add_f32 v140, v165, v61
	v_add_f32_e32 v138, v167, v63
	ds_load_u16 v56, v234 offset:15424
	ds_load_u16 v57, v234 offset:15428
	;; [unrolled: 1-line block ×8, first 2 shown]
	s_waitcnt lgkmcnt(7)
	v_cvt_f32_f16_e32 v56, v56
	s_waitcnt lgkmcnt(6)
	v_cvt_f32_f16_e32 v57, v57
	;; [unrolled: 2-line block ×8, first 2 shown]
	v_dual_add_f32 v71, v120, v56 :: v_dual_add_f32 v72, v121, v57
	v_dual_mov_b32 v226, v84 :: v_dual_add_f32 v79, v125, v61
	v_add_f32_e32 v84, v122, v58
	v_add_f32_e32 v82, v123, v59
	v_dual_add_f32 v80, v124, v60 :: v_dual_add_f32 v223, v126, v62
	v_add_f32_e32 v222, v127, v63
	ds_load_u16 v56, v234 offset:15456
	ds_load_u16 v57, v234 offset:15460
	;; [unrolled: 1-line block ×8, first 2 shown]
	s_waitcnt lgkmcnt(7)
	v_cvt_f32_f16_e32 v56, v56
	s_waitcnt lgkmcnt(6)
	v_cvt_f32_f16_e32 v57, v57
	;; [unrolled: 2-line block ×5, first 2 shown]
	v_add_f32_e32 v78, v128, v56
	v_add_co_u32 v56, vcc_lo, s1, v178
	v_add_f32_e32 v228, v129, v57
	v_add_co_ci_u32_e32 v57, vcc_lo, s2, v179, vcc_lo
	s_delay_alu instid0(VALU_DEP_3) | instskip(SKIP_2) | instid1(VALU_DEP_3)
	v_add_co_u32 v56, vcc_lo, v56, v175
	s_waitcnt lgkmcnt(2)
	v_cvt_f32_f16_e32 v61, v61
	v_add_co_ci_u32_e32 v57, vcc_lo, 0, v57, vcc_lo
	s_waitcnt lgkmcnt(1)
	v_cvt_f32_f16_e32 v62, v62
	s_waitcnt lgkmcnt(0)
	v_cvt_f32_f16_e32 v63, v63
	v_add_f32_e32 v77, v130, v58
	v_add_co_u32 v58, vcc_lo, s1, v182
	v_add_f32_e32 v76, v131, v59
	v_add_co_ci_u32_e32 v59, vcc_lo, s2, v183, vcc_lo
	v_dual_add_f32 v75, v132, v60 :: v_dual_add_f32 v74, v133, v61
	v_dual_add_f32 v73, v134, v62 :: v_dual_add_f32 v70, v135, v63
	v_add_co_u32 v60, vcc_lo, v58, v180
	s_delay_alu instid0(VALU_DEP_4)
	v_add_co_ci_u32_e32 v61, vcc_lo, 0, v59, vcc_lo
	s_clause 0x6
	scratch_store_b32 off, v78, off offset:204
	scratch_store_b32 off, v77, off offset:172
	;; [unrolled: 1-line block ×7, first 2 shown]
	s_clause 0x1
	global_load_b128 v[56:59], v[56:57], off offset:192
	global_load_b128 v[60:63], v[60:61], off offset:128
	s_waitcnt vmcnt(1)
	ds_store_b128 v69, v[56:59]
	v_add_co_u32 v56, vcc_lo, s1, v184
	v_add_co_ci_u32_e32 v57, vcc_lo, s2, v185, vcc_lo
	s_delay_alu instid0(VALU_DEP_2) | instskip(NEXT) | instid1(VALU_DEP_2)
	v_add_co_u32 v56, vcc_lo, v56, v180
	v_add_co_ci_u32_e32 v57, vcc_lo, 0, v57, vcc_lo
	v_add_co_u32 v58, vcc_lo, s1, v186
	v_add_co_ci_u32_e32 v59, vcc_lo, s2, v187, vcc_lo
	s_delay_alu instid0(VALU_DEP_2) | instskip(NEXT) | instid1(VALU_DEP_2)
	v_add_co_u32 v64, vcc_lo, v58, v194
	v_add_co_ci_u32_e32 v65, vcc_lo, 0, v59, vcc_lo
	s_clause 0x1
	global_load_b128 v[56:59], v[56:57], off offset:128
	global_load_b128 v[64:67], v[64:65], off
	s_waitcnt vmcnt(2)
	ds_store_b128 v168, v[60:63]
	s_waitcnt vmcnt(1)
	ds_store_b128 v169, v[56:59]
	v_add_co_u32 v56, vcc_lo, s1, v188
	v_add_co_ci_u32_e32 v57, vcc_lo, s2, v189, vcc_lo
	s_delay_alu instid0(VALU_DEP_2) | instskip(NEXT) | instid1(VALU_DEP_2)
	v_add_co_u32 v56, vcc_lo, v56, v194
	v_add_co_ci_u32_e32 v57, vcc_lo, 0, v57, vcc_lo
	v_add_co_u32 v58, vcc_lo, s1, v190
	v_add_co_ci_u32_e32 v59, vcc_lo, s2, v191, vcc_lo
	s_delay_alu instid0(VALU_DEP_2) | instskip(NEXT) | instid1(VALU_DEP_2)
	v_add_co_u32 v60, vcc_lo, v58, v194
	v_add_co_ci_u32_e32 v61, vcc_lo, 0, v59, vcc_lo
	s_clause 0x1
	global_load_b128 v[56:59], v[56:57], off
	global_load_b128 v[60:63], v[60:61], off
	s_waitcnt vmcnt(2)
	ds_store_b128 v172, v[64:67]
	s_waitcnt vmcnt(1)
	ds_store_b128 v174, v[56:59]
	v_add_co_u32 v56, vcc_lo, s1, v192
	v_add_co_ci_u32_e32 v57, vcc_lo, s2, v193, vcc_lo
	v_mov_b32_e32 v67, v170
	s_delay_alu instid0(VALU_DEP_3) | instskip(NEXT) | instid1(VALU_DEP_3)
	v_add_co_u32 v56, vcc_lo, v56, v194
	v_add_co_ci_u32_e32 v57, vcc_lo, 0, v57, vcc_lo
	global_load_b128 v[56:59], v[56:57], off
	s_waitcnt vmcnt(1)
	ds_store_b128 v196, v[60:63]
	s_waitcnt vmcnt(0)
	ds_store_b128 v197, v[56:59]
	v_dual_mov_b32 v56, v247 :: v_dual_add_f32 v57, 0x40051340, v112
	v_dual_add_f32 v58, 0x40051340, v68 :: v_dual_add_f32 v59, 0x40051340, v115
	s_delay_alu instid0(VALU_DEP_1) | instskip(SKIP_1) | instid1(VALU_DEP_1)
	v_max3_f32 v57, v56, v57, v58
	v_add_f32_e32 v58, 0x40051340, v114
	v_max3_f32 v57, v57, v58, v59
	v_dual_add_f32 v58, 0x40051340, v116 :: v_dual_add_f32 v59, 0x40051340, v117
	s_delay_alu instid0(VALU_DEP_1) | instskip(SKIP_1) | instid1(VALU_DEP_1)
	v_max3_f32 v57, v57, v58, v59
	v_dual_add_f32 v59, 0x40051340, v119 :: v_dual_add_f32 v58, 0x40051340, v118
	v_max3_f32 v57, v57, v58, v59
	v_dual_add_f32 v58, 0x40051340, v145 :: v_dual_add_f32 v59, 0x40051340, v146
	s_delay_alu instid0(VALU_DEP_1) | instskip(SKIP_1) | instid1(VALU_DEP_1)
	v_max3_f32 v57, v57, v58, v59
	v_dual_add_f32 v58, 0x40051340, v143 :: v_dual_add_f32 v59, 0x40051340, v142
	;; [unrolled: 5-line block ×7, first 2 shown]
	v_max3_f32 v57, v57, v58, v59
	ds_bpermute_b32 v58, v231, v57
	s_waitcnt lgkmcnt(0)
	v_max_f32_e32 v58, v58, v58
	s_delay_alu instid0(VALU_DEP_1) | instskip(NEXT) | instid1(VALU_DEP_1)
	v_max_f32_e32 v247, v57, v58
	v_sub_f32_e32 v57, v68, v247
	s_delay_alu instid0(VALU_DEP_1) | instskip(SKIP_2) | instid1(VALU_DEP_3)
	v_mul_f32_e32 v58, 0x3fb8aa3b, v57
	v_cmp_ngt_f32_e32 vcc_lo, 0xc2ce8ed0, v57
	v_sub_f32_e32 v56, v56, v247
	v_fma_f32 v59, 0x3fb8aa3b, v57, -v58
	v_rndne_f32_e32 v60, v58
	s_delay_alu instid0(VALU_DEP_1) | instskip(SKIP_1) | instid1(VALU_DEP_2)
	v_dual_fmac_f32 v59, 0x32a5705f, v57 :: v_dual_sub_f32 v58, v58, v60
	v_cvt_i32_f32_e32 v60, v60
	v_add_f32_e32 v58, v58, v59
	v_sub_f32_e32 v59, v112, v247
	s_delay_alu instid0(VALU_DEP_2) | instskip(NEXT) | instid1(VALU_DEP_1)
	v_exp_f32_e32 v58, v58
	v_mul_f32_e32 v61, 0x3fb8aa3b, v59
	v_cmp_ngt_f32_e64 s1, 0xc2ce8ed0, v59
	s_delay_alu instid0(VALU_DEP_2)
	v_fma_f32 v62, 0x3fb8aa3b, v59, -v61
	v_rndne_f32_e32 v63, v61
	s_waitcnt_depctr 0xfff
	v_ldexp_f32 v58, v58, v60
	v_fmac_f32_e32 v62, 0x32a5705f, v59
	v_sub_f32_e32 v61, v61, v63
	v_cvt_i32_f32_e32 v60, v63
	s_delay_alu instid0(VALU_DEP_4) | instskip(SKIP_1) | instid1(VALU_DEP_4)
	v_cndmask_b32_e32 v58, 0, v58, vcc_lo
	v_cmp_nlt_f32_e32 vcc_lo, 0x42b17218, v57
	v_add_f32_e32 v61, v61, v62
	s_delay_alu instid0(VALU_DEP_3) | instskip(NEXT) | instid1(VALU_DEP_2)
	v_cndmask_b32_e32 v246, 0x7f800000, v58, vcc_lo
	v_exp_f32_e32 v61, v61
	v_cmp_eq_u32_e32 vcc_lo, 1, v195
	s_waitcnt_depctr 0xfff
	v_ldexp_f32 v60, v61, v60
	s_delay_alu instid0(VALU_DEP_1)
	v_cndmask_b32_e64 v57, 0, v60, s1
	v_cmp_nlt_f32_e64 s1, 0x42b17218, v59
	scratch_load_b32 v59, off, off offset:300 ; 4-byte Folded Reload
	s_waitcnt vmcnt(0)
	s_waitcnt_vscnt null, 0x0
	s_barrier
	buffer_gl0_inv
	v_cndmask_b32_e64 v240, 0x7f800000, v57, s1
	v_cmp_eq_u32_e64 s1, 0, v195
	ds_load_u16 v121, v235 offset:480
	ds_load_u16 v126, v235 offset:2880
	;; [unrolled: 1-line block ×36, first 2 shown]
	ds_bpermute_b32 v57, v231, v240
	s_waitcnt lgkmcnt(0)
	v_cndmask_b32_e32 v58, v240, v57, vcc_lo
	v_cndmask_b32_e64 v57, v240, v57, s1
	v_cmp_eq_u32_e64 s2, 1, v59
	v_cmp_eq_u32_e64 s3, 0, v59
	ds_bpermute_b32 v59, v231, v246
	v_cndmask_b32_e64 v61, v58, v246, s2
	v_cndmask_b32_e64 v60, v57, v246, s3
	v_cvt_f16_f32_e32 v57, v57
	v_cvt_f16_f32_e32 v58, v58
	s_delay_alu instid0(VALU_DEP_1) | instskip(SKIP_1) | instid1(VALU_DEP_1)
	v_pack_b32_f16 v112, v57, v58
	v_sub_f32_e32 v57, v114, v247
	v_mul_f32_e32 v58, 0x3fb8aa3b, v57
	v_cmp_ngt_f32_e64 s4, 0xc2ce8ed0, v57
	s_waitcnt lgkmcnt(0)
	v_cndmask_b32_e64 v60, v60, v59, s1
	v_cndmask_b32_e32 v59, v61, v59, vcc_lo
	s_delay_alu instid0(VALU_DEP_2) | instskip(NEXT) | instid1(VALU_DEP_2)
	v_cvt_f16_f32_e32 v61, v60
	v_cvt_f16_f32_e32 v62, v59
	s_delay_alu instid0(VALU_DEP_1) | instskip(SKIP_2) | instid1(VALU_DEP_1)
	v_pack_b32_f16 v113, v61, v62
	v_fma_f32 v61, 0x3fb8aa3b, v57, -v58
	v_rndne_f32_e32 v62, v58
	v_dual_fmac_f32 v61, 0x32a5705f, v57 :: v_dual_sub_f32 v58, v58, v62
	s_delay_alu instid0(VALU_DEP_1) | instskip(SKIP_1) | instid1(VALU_DEP_2)
	v_add_f32_e32 v58, v58, v61
	v_cvt_i32_f32_e32 v61, v62
	v_exp_f32_e32 v58, v58
	s_waitcnt_depctr 0xfff
	v_ldexp_f32 v58, v58, v61
	s_delay_alu instid0(VALU_DEP_1) | instskip(SKIP_1) | instid1(VALU_DEP_1)
	v_cndmask_b32_e64 v58, 0, v58, s4
	v_cmp_nlt_f32_e64 s4, 0x42b17218, v57
	v_cndmask_b32_e64 v248, 0x7f800000, v58, s4
	s_delay_alu instid0(VALU_DEP_1) | instskip(SKIP_3) | instid1(VALU_DEP_1)
	v_cndmask_b32_e64 v57, v59, v248, s2
	ds_bpermute_b32 v59, v231, v248
	v_cndmask_b32_e64 v58, v60, v248, s3
	s_waitcnt lgkmcnt(0)
	v_cndmask_b32_e64 v58, v58, v59, s1
	v_cndmask_b32_e32 v57, v57, v59, vcc_lo
	s_delay_alu instid0(VALU_DEP_2) | instskip(NEXT) | instid1(VALU_DEP_2)
	v_cvt_f16_f32_e32 v59, v58
	v_cvt_f16_f32_e32 v60, v57
	s_delay_alu instid0(VALU_DEP_1) | instskip(SKIP_1) | instid1(VALU_DEP_1)
	v_pack_b32_f16 v114, v59, v60
	v_sub_f32_e32 v59, v115, v247
	v_mul_f32_e32 v60, 0x3fb8aa3b, v59
	v_cmp_ngt_f32_e64 s4, 0xc2ce8ed0, v59
	s_delay_alu instid0(VALU_DEP_2) | instskip(SKIP_1) | instid1(VALU_DEP_1)
	v_fma_f32 v61, 0x3fb8aa3b, v59, -v60
	v_rndne_f32_e32 v62, v60
	v_dual_fmac_f32 v61, 0x32a5705f, v59 :: v_dual_sub_f32 v60, v60, v62
	s_delay_alu instid0(VALU_DEP_1) | instskip(SKIP_1) | instid1(VALU_DEP_2)
	v_add_f32_e32 v60, v60, v61
	v_cvt_i32_f32_e32 v61, v62
	v_exp_f32_e32 v60, v60
	s_waitcnt_depctr 0xfff
	v_ldexp_f32 v60, v60, v61
	s_delay_alu instid0(VALU_DEP_1) | instskip(SKIP_1) | instid1(VALU_DEP_1)
	v_cndmask_b32_e64 v60, 0, v60, s4
	v_cmp_nlt_f32_e64 s4, 0x42b17218, v59
	v_cndmask_b32_e64 v236, 0x7f800000, v60, s4
	ds_bpermute_b32 v59, v231, v236
	v_cndmask_b32_e64 v57, v57, v236, s2
	v_cndmask_b32_e64 v58, v58, v236, s3
	s_waitcnt lgkmcnt(0)
	s_delay_alu instid0(VALU_DEP_1) | instskip(NEXT) | instid1(VALU_DEP_3)
	v_cndmask_b32_e64 v58, v58, v59, s1
	v_cndmask_b32_e32 v57, v57, v59, vcc_lo
	s_delay_alu instid0(VALU_DEP_2) | instskip(NEXT) | instid1(VALU_DEP_2)
	v_cvt_f16_f32_e32 v59, v58
	v_cvt_f16_f32_e32 v60, v57
	s_delay_alu instid0(VALU_DEP_1) | instskip(SKIP_1) | instid1(VALU_DEP_1)
	v_pack_b32_f16 v115, v59, v60
	v_sub_f32_e32 v59, v116, v247
	v_mul_f32_e32 v60, 0x3fb8aa3b, v59
	v_cmp_ngt_f32_e64 s4, 0xc2ce8ed0, v59
	s_delay_alu instid0(VALU_DEP_2) | instskip(SKIP_1) | instid1(VALU_DEP_1)
	v_fma_f32 v61, 0x3fb8aa3b, v59, -v60
	v_rndne_f32_e32 v62, v60
	v_dual_fmac_f32 v61, 0x32a5705f, v59 :: v_dual_sub_f32 v60, v60, v62
	s_delay_alu instid0(VALU_DEP_1) | instskip(SKIP_1) | instid1(VALU_DEP_2)
	v_add_f32_e32 v60, v60, v61
	v_cvt_i32_f32_e32 v61, v62
	v_exp_f32_e32 v60, v60
	s_waitcnt_depctr 0xfff
	v_ldexp_f32 v60, v60, v61
	s_delay_alu instid0(VALU_DEP_1) | instskip(SKIP_1) | instid1(VALU_DEP_1)
	v_cndmask_b32_e64 v60, 0, v60, s4
	v_cmp_nlt_f32_e64 s4, 0x42b17218, v59
	v_cndmask_b32_e64 v239, 0x7f800000, v60, s4
	ds_bpermute_b32 v59, v231, v239
	v_cndmask_b32_e64 v57, v57, v239, s2
	v_cndmask_b32_e64 v58, v58, v239, s3
	s_waitcnt lgkmcnt(0)
	s_delay_alu instid0(VALU_DEP_1) | instskip(NEXT) | instid1(VALU_DEP_3)
	v_cndmask_b32_e64 v58, v58, v59, s1
	v_cndmask_b32_e32 v57, v57, v59, vcc_lo
	s_delay_alu instid0(VALU_DEP_2) | instskip(NEXT) | instid1(VALU_DEP_2)
	v_cvt_f16_f32_e32 v59, v58
	v_cvt_f16_f32_e32 v60, v57
	s_delay_alu instid0(VALU_DEP_1) | instskip(SKIP_1) | instid1(VALU_DEP_1)
	v_pack_b32_f16 v116, v59, v60
	v_sub_f32_e32 v59, v117, v247
	v_mul_f32_e32 v60, 0x3fb8aa3b, v59
	v_cmp_ngt_f32_e64 s4, 0xc2ce8ed0, v59
	s_delay_alu instid0(VALU_DEP_2) | instskip(SKIP_1) | instid1(VALU_DEP_1)
	v_fma_f32 v61, 0x3fb8aa3b, v59, -v60
	v_rndne_f32_e32 v62, v60
	v_dual_fmac_f32 v61, 0x32a5705f, v59 :: v_dual_sub_f32 v60, v60, v62
	s_delay_alu instid0(VALU_DEP_1) | instskip(SKIP_1) | instid1(VALU_DEP_2)
	v_add_f32_e32 v60, v60, v61
	v_cvt_i32_f32_e32 v61, v62
	v_exp_f32_e32 v60, v60
	s_waitcnt_depctr 0xfff
	v_ldexp_f32 v60, v60, v61
	s_delay_alu instid0(VALU_DEP_1) | instskip(SKIP_1) | instid1(VALU_DEP_1)
	v_cndmask_b32_e64 v60, 0, v60, s4
	v_cmp_nlt_f32_e64 s4, 0x42b17218, v59
	v_cndmask_b32_e64 v242, 0x7f800000, v60, s4
	ds_bpermute_b32 v59, v231, v242
	v_cndmask_b32_e64 v57, v57, v242, s2
	v_cndmask_b32_e64 v58, v58, v242, s3
	s_waitcnt lgkmcnt(0)
	s_delay_alu instid0(VALU_DEP_1) | instskip(NEXT) | instid1(VALU_DEP_3)
	v_cndmask_b32_e64 v58, v58, v59, s1
	v_cndmask_b32_e32 v57, v57, v59, vcc_lo
	s_delay_alu instid0(VALU_DEP_2) | instskip(NEXT) | instid1(VALU_DEP_2)
	v_cvt_f16_f32_e32 v59, v58
	v_cvt_f16_f32_e32 v60, v57
	s_delay_alu instid0(VALU_DEP_1) | instskip(SKIP_1) | instid1(VALU_DEP_1)
	v_pack_b32_f16 v117, v59, v60
	v_sub_f32_e32 v59, v118, v247
	v_mul_f32_e32 v60, 0x3fb8aa3b, v59
	v_cmp_ngt_f32_e64 s4, 0xc2ce8ed0, v59
	s_delay_alu instid0(VALU_DEP_2) | instskip(SKIP_1) | instid1(VALU_DEP_1)
	v_fma_f32 v61, 0x3fb8aa3b, v59, -v60
	v_rndne_f32_e32 v62, v60
	v_dual_fmac_f32 v61, 0x32a5705f, v59 :: v_dual_sub_f32 v60, v60, v62
	s_delay_alu instid0(VALU_DEP_1) | instskip(SKIP_1) | instid1(VALU_DEP_2)
	v_add_f32_e32 v60, v60, v61
	v_cvt_i32_f32_e32 v61, v62
	v_exp_f32_e32 v60, v60
	s_waitcnt_depctr 0xfff
	v_ldexp_f32 v60, v60, v61
	s_delay_alu instid0(VALU_DEP_1) | instskip(SKIP_1) | instid1(VALU_DEP_1)
	v_cndmask_b32_e64 v60, 0, v60, s4
	v_cmp_nlt_f32_e64 s4, 0x42b17218, v59
	v_cndmask_b32_e64 v243, 0x7f800000, v60, s4
	ds_bpermute_b32 v59, v231, v243
	v_cndmask_b32_e64 v57, v57, v243, s2
	v_cndmask_b32_e64 v58, v58, v243, s3
	s_waitcnt lgkmcnt(0)
	s_delay_alu instid0(VALU_DEP_1) | instskip(NEXT) | instid1(VALU_DEP_3)
	v_cndmask_b32_e64 v58, v58, v59, s1
	v_cndmask_b32_e32 v57, v57, v59, vcc_lo
	s_delay_alu instid0(VALU_DEP_2) | instskip(NEXT) | instid1(VALU_DEP_2)
	v_cvt_f16_f32_e32 v59, v58
	v_cvt_f16_f32_e32 v60, v57
	s_delay_alu instid0(VALU_DEP_1) | instskip(SKIP_1) | instid1(VALU_DEP_1)
	v_pack_b32_f16 v118, v59, v60
	v_sub_f32_e32 v59, v119, v247
	v_mul_f32_e32 v60, 0x3fb8aa3b, v59
	v_cmp_ngt_f32_e64 s4, 0xc2ce8ed0, v59
	s_delay_alu instid0(VALU_DEP_2) | instskip(SKIP_1) | instid1(VALU_DEP_1)
	v_fma_f32 v61, 0x3fb8aa3b, v59, -v60
	v_rndne_f32_e32 v62, v60
	v_dual_fmac_f32 v61, 0x32a5705f, v59 :: v_dual_sub_f32 v60, v60, v62
	s_delay_alu instid0(VALU_DEP_1) | instskip(SKIP_1) | instid1(VALU_DEP_2)
	v_add_f32_e32 v60, v60, v61
	v_cvt_i32_f32_e32 v61, v62
	v_exp_f32_e32 v60, v60
	s_waitcnt_depctr 0xfff
	v_ldexp_f32 v60, v60, v61
	s_delay_alu instid0(VALU_DEP_1) | instskip(SKIP_1) | instid1(VALU_DEP_1)
	v_cndmask_b32_e64 v60, 0, v60, s4
	v_cmp_nlt_f32_e64 s4, 0x42b17218, v59
	v_cndmask_b32_e64 v244, 0x7f800000, v60, s4
	v_cmp_ngt_f32_e64 s4, 0xc2ce8ed0, v56
	ds_bpermute_b32 v59, v231, v244
	v_cndmask_b32_e64 v57, v57, v244, s2
	v_cndmask_b32_e64 v58, v58, v244, s3
	s_waitcnt lgkmcnt(0)
	s_delay_alu instid0(VALU_DEP_2) | instskip(NEXT) | instid1(VALU_DEP_2)
	v_cndmask_b32_e32 v57, v57, v59, vcc_lo
	v_cndmask_b32_e64 v58, v58, v59, s1
	s_delay_alu instid0(VALU_DEP_2) | instskip(NEXT) | instid1(VALU_DEP_2)
	v_cvt_f16_f32_e32 v57, v57
	v_cvt_f16_f32_e32 v58, v58
	s_delay_alu instid0(VALU_DEP_1) | instskip(SKIP_1) | instid1(VALU_DEP_1)
	v_pack_b32_f16 v119, v58, v57
	v_mul_f32_e32 v57, 0x3fb8aa3b, v56
	v_fma_f32 v58, 0x3fb8aa3b, v56, -v57
	v_rndne_f32_e32 v59, v57
	s_delay_alu instid0(VALU_DEP_1) | instskip(NEXT) | instid1(VALU_DEP_1)
	v_dual_fmac_f32 v58, 0x32a5705f, v56 :: v_dual_sub_f32 v57, v57, v59
	v_add_f32_e32 v57, v57, v58
	v_cvt_i32_f32_e32 v58, v59
	s_delay_alu instid0(VALU_DEP_2) | instskip(SKIP_2) | instid1(VALU_DEP_1)
	v_exp_f32_e32 v57, v57
	s_waitcnt_depctr 0xfff
	v_ldexp_f32 v57, v57, v58
	v_cndmask_b32_e64 v57, 0, v57, s4
	v_cmp_nlt_f32_e64 s4, 0x42b17218, v56
	s_delay_alu instid0(VALU_DEP_1) | instskip(SKIP_1) | instid1(VALU_DEP_1)
	v_cndmask_b32_e64 v57, 0x7f800000, v57, s4
	v_cmp_le_f32_e64 s4, 0xc1a00000, v56
	v_cndmask_b32_e64 v245, 0, v57, s4
	v_mov_b32_e32 v102, v198
	ds_load_u16 v198, v253 offset:480
	ds_load_u16 v120, v235
	ds_load_u16 v128, v235 offset:32
	ds_load_u16 v189, v235 offset:64
	;; [unrolled: 1-line block ×5, first 2 shown]
	v_mov_b32_e32 v106, v209
	v_dual_mov_b32 v108, v211 :: v_dual_mul_f32 v33, v33, v245
	v_mul_f32_e32 v48, v48, v245
	v_mul_f32_e32 v50, v50, v245
	v_dual_mov_b32 v110, v213 :: v_dual_mul_f32 v47, v47, v245
	ds_load_u16 v207, v206 offset:960
	ds_load_u16 v208, v206 offset:1440
	;; [unrolled: 1-line block ×7, first 2 shown]
	scratch_load_b32 v56, off, off offset:4 ; 4-byte Folded Reload
	v_dual_mul_f32 v40, v40, v245 :: v_dual_sub_f32 v57, v146, v247
	v_mul_f32_e32 v54, v54, v245
	v_mul_f32_e32 v49, v49, v245
	;; [unrolled: 1-line block ×7, first 2 shown]
	v_cmp_ngt_f32_e64 s4, 0xc2ce8ed0, v57
	v_mul_f32_e32 v41, v41, v245
	v_fma_f32 v59, 0x3fb8aa3b, v57, -v58
	v_rndne_f32_e32 v60, v58
	v_mul_f32_e32 v35, v35, v245
	v_mul_f32_e32 v43, v43, v245
	;; [unrolled: 1-line block ×3, first 2 shown]
	s_delay_alu instid0(VALU_DEP_4)
	v_dual_fmac_f32 v59, 0x32a5705f, v57 :: v_dual_sub_f32 v58, v58, v60
	v_mul_f32_e32 v37, v37, v245
	v_cvt_i32_f32_e32 v60, v60
	v_mul_f32_e32 v34, v34, v245
	v_mul_f32_e32 v36, v36, v245
	v_add_f32_e32 v58, v58, v59
	v_dual_sub_f32 v59, v145, v247 :: v_dual_mul_f32 v42, v42, v245
	v_mul_f32_e32 v38, v38, v245
	v_mul_f32_e32 v24, v24, v245
	s_delay_alu instid0(VALU_DEP_4) | instskip(NEXT) | instid1(VALU_DEP_3)
	v_exp_f32_e32 v58, v58
	v_mul_f32_e32 v61, 0x3fb8aa3b, v59
	v_cmp_ngt_f32_e64 s5, 0xc2ce8ed0, v59
	v_mul_f32_e32 v25, v25, v245
	v_mul_f32_e32 v26, v26, v245
	;; [unrolled: 1-line block ×3, first 2 shown]
	v_fma_f32 v62, 0x3fb8aa3b, v59, -v61
	v_rndne_f32_e32 v63, v61
	v_mul_f32_e32 v44, v44, v245
	v_mul_f32_e32 v39, v39, v245
	v_ldexp_f32 v58, v58, v60
	v_fmac_f32_e32 v62, 0x32a5705f, v59
	v_dual_sub_f32 v61, v61, v63 :: v_dual_mul_f32 v46, v46, v245
	v_cvt_i32_f32_e32 v60, v63
	s_delay_alu instid0(VALU_DEP_4) | instskip(SKIP_1) | instid1(VALU_DEP_4)
	v_cndmask_b32_e64 v58, 0, v58, s4
	v_cmp_nlt_f32_e64 s4, 0x42b17218, v57
	v_dual_add_f32 v61, v61, v62 :: v_dual_mul_f32 v28, v28, v245
	v_mul_f32_e32 v29, v29, v245
	v_mul_f32_e32 v30, v30, v245
	;; [unrolled: 1-line block ×3, first 2 shown]
	s_delay_alu instid0(VALU_DEP_4)
	v_exp_f32_e32 v61, v61
	v_mul_f32_e32 v16, v16, v245
	v_mul_f32_e32 v17, v17, v245
	;; [unrolled: 1-line block ×9, first 2 shown]
	v_ldexp_f32 v60, v61, v60
	v_mul_f32_e32 v9, v9, v245
	v_mul_f32_e32 v10, v10, v245
	;; [unrolled: 1-line block ×15, first 2 shown]
	v_cndmask_b32_e64 v57, 0, v60, s5
	v_cmp_nlt_f32_e64 s5, 0x42b17218, v59
	s_waitcnt vmcnt(0)
	ds_load_u16 v206, v56 offset:480
	ds_load_u16 v218, v99 offset:2400
	;; [unrolled: 1-line block ×19, first 2 shown]
	s_waitcnt lgkmcnt(31)
	ds_load_u16_d16_hi v120, v235 offset:240
	ds_load_u16_d16_hi v121, v235 offset:720
	ds_load_u16_d16_hi v134, v235 offset:3152
	s_waitcnt lgkmcnt(20)
	ds_load_u16_d16_hi v218, v235 offset:2832
	ds_load_u16_d16_hi v126, v235 offset:3120
	ds_load_u16_d16_hi v135, v235 offset:3632
	;; [unrolled: 4-line block ×3, first 2 shown]
	ds_load_u16_d16_hi v131, v235 offset:1712
	ds_load_u16_d16_hi v132, v235 offset:2192
	;; [unrolled: 1-line block ×3, first 2 shown]
	ds_load_u16 v221, v173 offset:3360
	s_waitcnt lgkmcnt(28)
	ds_load_u16_d16_hi v214, v235 offset:912
	ds_load_u16_d16_hi v122, v235 offset:1200
	ds_load_u16_d16_hi v191, v235 offset:1264
	ds_load_u16_d16_hi v183, v235 offset:1296
	ds_load_u16_d16_hi v199, v235 offset:1328
	ds_load_u16_d16_hi v207, v235 offset:1360
	s_waitcnt lgkmcnt(33)
	ds_load_u16_d16_hi v215, v235 offset:1392
	ds_load_u16_d16_hi v123, v235 offset:1680
	ds_load_u16_d16_hi v192, v235 offset:1744
	ds_load_u16_d16_hi v184, v235 offset:1776
	ds_load_u16_d16_hi v200, v235 offset:1808
	ds_load_u16_d16_hi v208, v235 offset:1840
	;; [unrolled: 7-line block ×4, first 2 shown]
	ds_load_u16_d16_hi v195, v235 offset:3184
	ds_load_u16_d16_hi v187, v235 offset:3216
	;; [unrolled: 1-line block ×9, first 2 shown]
	s_waitcnt lgkmcnt(57)
	ds_load_u16_d16_hi v213, v235 offset:432
	ds_load_u16 v136, v235 offset:3872
	ds_load_u16_d16_hi v196, v235 offset:3664
	ds_load_u16_d16_hi v188, v235 offset:3696
	;; [unrolled: 1-line block ×4, first 2 shown]
	s_waitcnt lgkmcnt(56)
	ds_load_u16_d16_hi v220, v235 offset:3792
	ds_load_u16 v56, v235 offset:3840
	s_waitcnt lgkmcnt(21)
	v_wmma_f32_16x16x16_f16 v[48:55], v[120:127], v[112:119], v[48:55]
	ds_load_u16_d16_hi v129, v235 offset:752
	ds_load_u16 v229, v103 offset:3360
	ds_load_u16_d16_hi v190, v235 offset:784
	ds_load_u16_d16_hi v182, v235 offset:816
	ds_load_u16 v120, v94 offset:3360
	ds_load_u16_d16_hi v198, v235 offset:848
	ds_load_u16_d16_hi v206, v235 offset:880
	ds_load_u16 v169, v88 offset:960
	ds_load_u16 v161, v90 offset:960
	;; [unrolled: 1-line block ×5, first 2 shown]
	scratch_load_b32 v63, off, off offset:292 ; 4-byte Folded Reload
	s_waitcnt lgkmcnt(11)
	v_wmma_f32_16x16x16_f16 v[40:47], v[128:135], v[112:119], v[40:47]
	v_cndmask_b32_e64 v129, 0x7f800000, v58, s4
	s_waitcnt lgkmcnt(8)
	v_wmma_f32_16x16x16_f16 v[24:31], v[181:188], v[112:119], v[24:31]
	v_wmma_f32_16x16x16_f16 v[0:7], v[213:220], v[112:119], v[0:7]
	s_waitcnt lgkmcnt(6)
	v_wmma_f32_16x16x16_f16 v[16:23], v[197:204], v[112:119], v[16:23]
	ds_bpermute_b32 v59, v231, v129
	v_mul_f32_e32 v32, v32, v245
	s_waitcnt lgkmcnt(6)
	v_wmma_f32_16x16x16_f16 v[8:15], v[205:212], v[112:119], v[8:15]
	s_delay_alu instid0(VALU_DEP_2)
	v_wmma_f32_16x16x16_f16 v[32:39], v[189:196], v[112:119], v[32:39]
	v_cndmask_b32_e64 v112, 0x7f800000, v57, s5
	ds_bpermute_b32 v57, v231, v112
	s_waitcnt lgkmcnt(0)
	v_cndmask_b32_e32 v58, v112, v57, vcc_lo
	v_cndmask_b32_e64 v57, v112, v57, s1
	s_delay_alu instid0(VALU_DEP_2) | instskip(NEXT) | instid1(VALU_DEP_2)
	v_cndmask_b32_e64 v61, v58, v129, s2
	v_cndmask_b32_e64 v60, v57, v129, s3
	v_cvt_f16_f32_e32 v57, v57
	v_cvt_f16_f32_e32 v58, v58
	s_delay_alu instid0(VALU_DEP_3) | instskip(SKIP_1) | instid1(VALU_DEP_3)
	v_cndmask_b32_e64 v60, v60, v59, s1
	v_cndmask_b32_e32 v59, v61, v59, vcc_lo
	v_pack_b32_f16 v183, v57, v58
	v_sub_f32_e32 v57, v143, v247
	s_delay_alu instid0(VALU_DEP_4) | instskip(NEXT) | instid1(VALU_DEP_4)
	v_cvt_f16_f32_e32 v61, v60
	v_cvt_f16_f32_e32 v62, v59
	s_delay_alu instid0(VALU_DEP_3) | instskip(SKIP_1) | instid1(VALU_DEP_3)
	v_mul_f32_e32 v58, 0x3fb8aa3b, v57
	v_cmp_ngt_f32_e64 s4, 0xc2ce8ed0, v57
	v_pack_b32_f16 v184, v61, v62
	s_delay_alu instid0(VALU_DEP_3) | instskip(SKIP_1) | instid1(VALU_DEP_1)
	v_fma_f32 v61, 0x3fb8aa3b, v57, -v58
	v_rndne_f32_e32 v62, v58
	v_dual_fmac_f32 v61, 0x32a5705f, v57 :: v_dual_sub_f32 v58, v58, v62
	s_delay_alu instid0(VALU_DEP_1) | instskip(SKIP_1) | instid1(VALU_DEP_2)
	v_add_f32_e32 v58, v58, v61
	v_cvt_i32_f32_e32 v61, v62
	v_exp_f32_e32 v58, v58
	s_waitcnt_depctr 0xfff
	v_ldexp_f32 v58, v58, v61
	s_delay_alu instid0(VALU_DEP_1) | instskip(SKIP_1) | instid1(VALU_DEP_1)
	v_cndmask_b32_e64 v58, 0, v58, s4
	v_cmp_nlt_f32_e64 s4, 0x42b17218, v57
	v_cndmask_b32_e64 v130, 0x7f800000, v58, s4
	s_delay_alu instid0(VALU_DEP_1) | instskip(SKIP_3) | instid1(VALU_DEP_1)
	v_cndmask_b32_e64 v58, v59, v130, s2
	ds_bpermute_b32 v59, v231, v130
	v_cndmask_b32_e64 v57, v60, v130, s3
	s_waitcnt lgkmcnt(0)
	v_cndmask_b32_e64 v57, v57, v59, s1
	v_cndmask_b32_e32 v58, v58, v59, vcc_lo
	s_delay_alu instid0(VALU_DEP_2) | instskip(NEXT) | instid1(VALU_DEP_2)
	v_cvt_f16_f32_e32 v59, v57
	v_cvt_f16_f32_e32 v60, v58
	s_delay_alu instid0(VALU_DEP_1) | instskip(SKIP_1) | instid1(VALU_DEP_1)
	v_pack_b32_f16 v185, v59, v60
	v_sub_f32_e32 v59, v142, v247
	v_mul_f32_e32 v60, 0x3fb8aa3b, v59
	v_cmp_ngt_f32_e64 s4, 0xc2ce8ed0, v59
	s_delay_alu instid0(VALU_DEP_2) | instskip(SKIP_1) | instid1(VALU_DEP_1)
	v_fma_f32 v61, 0x3fb8aa3b, v59, -v60
	v_rndne_f32_e32 v62, v60
	v_dual_fmac_f32 v61, 0x32a5705f, v59 :: v_dual_sub_f32 v60, v60, v62
	s_delay_alu instid0(VALU_DEP_1) | instskip(SKIP_1) | instid1(VALU_DEP_2)
	v_add_f32_e32 v60, v60, v61
	v_cvt_i32_f32_e32 v61, v62
	v_exp_f32_e32 v60, v60
	s_waitcnt_depctr 0xfff
	v_ldexp_f32 v60, v60, v61
	s_delay_alu instid0(VALU_DEP_1) | instskip(SKIP_1) | instid1(VALU_DEP_1)
	v_cndmask_b32_e64 v60, 0, v60, s4
	v_cmp_nlt_f32_e64 s4, 0x42b17218, v59
	v_cndmask_b32_e64 v131, 0x7f800000, v60, s4
	ds_bpermute_b32 v59, v231, v131
	v_cndmask_b32_e64 v57, v57, v131, s3
	v_cndmask_b32_e64 v58, v58, v131, s2
	s_waitcnt lgkmcnt(0)
	s_delay_alu instid0(VALU_DEP_2) | instskip(NEXT) | instid1(VALU_DEP_2)
	v_cndmask_b32_e64 v57, v57, v59, s1
	v_cndmask_b32_e32 v58, v58, v59, vcc_lo
	s_delay_alu instid0(VALU_DEP_2) | instskip(NEXT) | instid1(VALU_DEP_2)
	v_cvt_f16_f32_e32 v59, v57
	v_cvt_f16_f32_e32 v60, v58
	s_delay_alu instid0(VALU_DEP_1) | instskip(SKIP_1) | instid1(VALU_DEP_1)
	v_pack_b32_f16 v186, v59, v60
	v_sub_f32_e32 v59, v141, v247
	v_mul_f32_e32 v60, 0x3fb8aa3b, v59
	v_cmp_ngt_f32_e64 s4, 0xc2ce8ed0, v59
	s_delay_alu instid0(VALU_DEP_2) | instskip(SKIP_1) | instid1(VALU_DEP_1)
	v_fma_f32 v61, 0x3fb8aa3b, v59, -v60
	v_rndne_f32_e32 v62, v60
	v_dual_fmac_f32 v61, 0x32a5705f, v59 :: v_dual_sub_f32 v60, v60, v62
	s_delay_alu instid0(VALU_DEP_1) | instskip(SKIP_1) | instid1(VALU_DEP_2)
	v_add_f32_e32 v60, v60, v61
	v_cvt_i32_f32_e32 v61, v62
	v_exp_f32_e32 v60, v60
	s_waitcnt_depctr 0xfff
	v_ldexp_f32 v60, v60, v61
	s_delay_alu instid0(VALU_DEP_1) | instskip(SKIP_1) | instid1(VALU_DEP_1)
	v_cndmask_b32_e64 v60, 0, v60, s4
	v_cmp_nlt_f32_e64 s4, 0x42b17218, v59
	v_cndmask_b32_e64 v132, 0x7f800000, v60, s4
	ds_bpermute_b32 v59, v231, v132
	v_cndmask_b32_e64 v57, v57, v132, s3
	v_cndmask_b32_e64 v58, v58, v132, s2
	s_waitcnt lgkmcnt(0)
	s_delay_alu instid0(VALU_DEP_2) | instskip(NEXT) | instid1(VALU_DEP_2)
	;; [unrolled: 29-line block ×5, first 2 shown]
	v_cndmask_b32_e64 v57, v57, v59, s1
	v_cndmask_b32_e32 v58, v58, v59, vcc_lo
	s_delay_alu instid0(VALU_DEP_2) | instskip(NEXT) | instid1(VALU_DEP_2)
	v_cvt_f16_f32_e32 v57, v57
	v_cvt_f16_f32_e32 v58, v58
	s_delay_alu instid0(VALU_DEP_1)
	v_pack_b32_f16 v190, v57, v58
	s_waitcnt vmcnt(0)
	ds_load_u16 v61, v63 offset:2400
	ds_load_u16 v57, v63 offset:480
	ds_load_u16 v58, v63 offset:960
	ds_load_u16 v60, v63 offset:1920
	ds_load_u16 v59, v63 offset:1440
	ds_load_u16 v143, v249 offset:3360
	ds_load_u16 v138, v249 offset:960
	ds_load_u16 v139, v249 offset:1440
	ds_load_u16 v192, v232 offset:480
	ds_load_u16 v142, v249 offset:2880
	ds_load_u16 v141, v249 offset:2400
	ds_load_u16 v140, v249 offset:1920
	ds_load_u16 v145, v101 offset:960
	ds_load_u16 v146, v101 offset:1440
	ds_load_u16 v148, v101 offset:2400
	ds_load_u16 v149, v101 offset:2880
	ds_load_u16 v150, v101 offset:3360
	ds_load_u16 v199, v95 offset:480
	ds_load_u16 v147, v101 offset:1920
	ds_load_u16 v156, v96 offset:2400
	ds_load_u16 v157, v96 offset:2880
	ds_load_u16 v158, v96 offset:3360
	ds_load_u16 v207, v97 offset:480
	ds_load_u16 v155, v96 offset:1920
	ds_load_u16 v154, v96 offset:1440
	ds_load_u16 v153, v96 offset:960
	ds_load_u16 v68, v250 offset:1920
	ds_load_u16 v69, v250 offset:2400
	ds_load_u16 v70, v250 offset:2880
	ds_load_u16 v62, v63 offset:2880
	ds_load_u16 v63, v63 offset:3360
	ds_load_u16 v65, v250 offset:480
	ds_load_u16 v66, v250 offset:960
	ds_load_u16 v181, v93 offset:2880
	ds_load_u16 v182, v93 offset:3360
	ds_load_u16 v73, v98 offset:480
	ds_load_u16 v76, v98 offset:1920
	ds_load_u16 v77, v98 offset:2400
	ds_load_u16 v78, v98 offset:2880
	ds_load_u16 v74, v98 offset:960
	ds_load_u16 v128, v100 offset:3360
	ds_load_u16 v127, v100 offset:2880
	s_waitcnt lgkmcnt(36)
	ds_load_u16_d16_hi v143, v235 offset:7472
	s_waitcnt lgkmcnt(36)
	ds_load_u16_d16_hi v138, v235 offset:5072
	ds_load_u16_d16_hi v169, v235 offset:5104
	s_waitcnt lgkmcnt(32)
	ds_load_u16_d16_hi v145, v235 offset:5136
	ds_load_u16_d16_hi v161, v235 offset:5168
	;; [unrolled: 1-line block ×4, first 2 shown]
	s_waitcnt lgkmcnt(35)
	ds_load_u16_d16_hi v146, v235 offset:5616
	ds_load_u16_d16_hi v162, v235 offset:5648
	s_waitcnt lgkmcnt(26)
	ds_load_u16_d16_hi v154, v235 offset:5680
	ds_load_u16_d16_hi v61, v235 offset:6480
	;; [unrolled: 1-line block ×19, first 2 shown]
	s_waitcnt lgkmcnt(40)
	ds_load_u16_d16_hi v62, v235 offset:6960
	ds_load_u16_d16_hi v180, v235 offset:6672
	s_waitcnt lgkmcnt(41)
	ds_load_u16_d16_hi v63, v235 offset:7440
	s_waitcnt lgkmcnt(39)
	;; [unrolled: 2-line block ×3, first 2 shown]
	ds_load_u16_d16_hi v128, v235 offset:15312
	ds_load_u16_d16_hi v57, v235 offset:4560
	;; [unrolled: 1-line block ×4, first 2 shown]
	ds_load_u16 v175, v235 offset:4032
	s_waitcnt lgkmcnt(2)
	v_wmma_f32_16x16x16_f16 v[48:55], v[56:63], v[183:190], v[48:55]
	v_mov_b32_e32 v58, v173
	ds_load_u16 v173, v88 offset:2880
	ds_load_u16 v174, v88 offset:3360
	ds_load_u16 v165, v90 offset:2880
	ds_load_u16 v166, v90 offset:3360
	ds_load_u16 v61, v89 offset:2400
	ds_load_u16 v62, v89 offset:2880
	ds_load_u16 v59, v89 offset:1440
	ds_load_u16 v57, v89 offset:480
	scratch_load_b32 v87, off, off offset:244 ; 4-byte Folded Reload
	s_waitcnt vmcnt(0)
	ds_load_u16 v85, v87 offset:2400
	ds_load_u16 v86, v87 offset:2880
	ds_load_u16 v83, v87 offset:1440
	ds_load_u16 v81, v87 offset:480
	ds_load_u16_d16_hi v137, v235 offset:4592
	ds_load_u16_d16_hi v142, v235 offset:6992
	s_waitcnt lgkmcnt(13)
	ds_load_u16_d16_hi v173, v235 offset:7024
	ds_load_u16_d16_hi v149, v235 offset:7056
	s_waitcnt lgkmcnt(13)
	ds_load_u16_d16_hi v165, v235 offset:7088
	ds_load_u16_d16_hi v157, v235 offset:7120
	;; [unrolled: 1-line block ×5, first 2 shown]
	s_waitcnt lgkmcnt(7)
	v_wmma_f32_16x16x16_f16 v[40:47], v[136:143], v[183:190], v[40:47]
	ds_load_u16 v167, v235 offset:3904
	ds_load_u16 v143, v235 offset:3936
	;; [unrolled: 1-line block ×4, first 2 shown]
	ds_load_u16_d16_hi v174, v235 offset:7504
	ds_load_u16_d16_hi v150, v235 offset:7536
	;; [unrolled: 1-line block ×5, first 2 shown]
	ds_load_u16 v64, v235 offset:7680
	ds_load_u16 v191, v235 offset:7712
	;; [unrolled: 1-line block ×3, first 2 shown]
	s_waitcnt lgkmcnt(11)
	ds_load_u16_d16_hi v167, v235 offset:4144
	s_waitcnt lgkmcnt(11)
	ds_load_u16_d16_hi v143, v235 offset:4176
	;; [unrolled: 2-line block ×4, first 2 shown]
	s_waitcnt lgkmcnt(7)
	v_wmma_f32_16x16x16_f16 v[0:7], v[175:182], v[183:190], v[0:7]
	s_waitcnt lgkmcnt(3)
	v_wmma_f32_16x16x16_f16 v[32:39], v[167:174], v[183:190], v[32:39]
	v_dual_mov_b32 v173, v58 :: v_dual_sub_f32 v58, v72, v247
	v_mov_b32_e32 v170, v67
	s_clause 0x3
	scratch_load_b32 v174, off, off offset:236
	scratch_load_b32 v172, off, off offset:228
	;; [unrolled: 1-line block ×4, first 2 shown]
	ds_load_u16_d16_hi v160, v235 offset:4688
	ds_load_u16_d16_hi v152, v235 offset:4720
	s_waitcnt lgkmcnt(4)
	v_wmma_f32_16x16x16_f16 v[24:31], v[143:150], v[183:190], v[24:31]
	v_mul_f32_e32 v60, 0x3fb8aa3b, v58
	v_cmp_ngt_f32_e64 s4, 0xc2ce8ed0, v58
	ds_load_u16_d16_hi v153, v235 offset:5200
	v_fma_f32 v63, 0x3fb8aa3b, v58, -v60
	v_rndne_f32_e32 v67, v60
	s_delay_alu instid0(VALU_DEP_1) | instskip(SKIP_1) | instid1(VALU_DEP_2)
	v_dual_fmac_f32 v63, 0x32a5705f, v58 :: v_dual_sub_f32 v60, v60, v67
	v_cvt_i32_f32_e32 v67, v67
	v_add_f32_e32 v60, v60, v63
	v_sub_f32_e32 v63, v71, v247
	s_waitcnt lgkmcnt(2)
	v_wmma_f32_16x16x16_f16 v[16:23], v[159:166], v[183:190], v[16:23]
	s_delay_alu instid0(VALU_DEP_3) | instskip(NEXT) | instid1(VALU_DEP_2)
	v_exp_f32_e32 v60, v60
	v_mul_f32_e32 v71, 0x3fb8aa3b, v63
	v_cmp_ngt_f32_e64 s5, 0xc2ce8ed0, v63
	s_waitcnt lgkmcnt(0)
	v_wmma_f32_16x16x16_f16 v[8:15], v[151:158], v[183:190], v[8:15]
	s_clause 0x6
	scratch_load_b32 v180, off, off offset:580
	scratch_load_b32 v175, off, off offset:576
	scratch_load_b64 v[188:189], off, off offset:504
	scratch_load_b64 v[186:187], off, off offset:496
	;; [unrolled: 1-line block ×5, first 2 shown]
	v_fma_f32 v72, 0x3fb8aa3b, v63, -v71
	v_rndne_f32_e32 v75, v71
	v_ldexp_f32 v60, v60, v67
	s_delay_alu instid0(VALU_DEP_3) | instskip(NEXT) | instid1(VALU_DEP_3)
	v_fmac_f32_e32 v72, 0x32a5705f, v63
	v_sub_f32_e32 v71, v71, v75
	v_cvt_i32_f32_e32 v67, v75
	s_delay_alu instid0(VALU_DEP_4) | instskip(SKIP_1) | instid1(VALU_DEP_4)
	v_cndmask_b32_e64 v60, 0, v60, s4
	v_cmp_nlt_f32_e64 s4, 0x42b17218, v58
	v_add_f32_e32 v71, v71, v72
	s_delay_alu instid0(VALU_DEP_2) | instskip(NEXT) | instid1(VALU_DEP_2)
	v_cndmask_b32_e64 v137, 0x7f800000, v60, s4
	v_exp_f32_e32 v71, v71
	s_waitcnt_depctr 0xfff
	v_ldexp_f32 v67, v71, v67
	s_delay_alu instid0(VALU_DEP_1)
	v_cndmask_b32_e64 v58, 0, v67, s5
	v_cmp_nlt_f32_e64 s5, 0x42b17218, v63
	ds_bpermute_b32 v63, v231, v137
	v_cndmask_b32_e64 v136, 0x7f800000, v58, s5
	ds_bpermute_b32 v58, v231, v136
	s_waitcnt lgkmcnt(0)
	v_cndmask_b32_e32 v60, v136, v58, vcc_lo
	v_cndmask_b32_e64 v58, v136, v58, s1
	s_delay_alu instid0(VALU_DEP_2) | instskip(NEXT) | instid1(VALU_DEP_2)
	v_cndmask_b32_e64 v71, v60, v137, s2
	v_cndmask_b32_e64 v67, v58, v137, s3
	v_cvt_f16_f32_e32 v58, v58
	v_cvt_f16_f32_e32 v60, v60
	s_delay_alu instid0(VALU_DEP_3) | instskip(SKIP_1) | instid1(VALU_DEP_3)
	v_cndmask_b32_e64 v67, v67, v63, s1
	v_cndmask_b32_e32 v63, v71, v63, vcc_lo
	v_pack_b32_f16 v139, v58, v60
	v_sub_f32_e32 v58, v84, v247
	s_delay_alu instid0(VALU_DEP_4) | instskip(NEXT) | instid1(VALU_DEP_4)
	v_cvt_f16_f32_e32 v71, v67
	v_cvt_f16_f32_e32 v72, v63
	s_delay_alu instid0(VALU_DEP_3) | instskip(SKIP_1) | instid1(VALU_DEP_3)
	v_mul_f32_e32 v60, 0x3fb8aa3b, v58
	v_cmp_ngt_f32_e64 s4, 0xc2ce8ed0, v58
	v_pack_b32_f16 v140, v71, v72
	s_delay_alu instid0(VALU_DEP_3) | instskip(SKIP_1) | instid1(VALU_DEP_1)
	v_fma_f32 v71, 0x3fb8aa3b, v58, -v60
	v_rndne_f32_e32 v72, v60
	v_dual_fmac_f32 v71, 0x32a5705f, v58 :: v_dual_sub_f32 v60, v60, v72
	s_delay_alu instid0(VALU_DEP_1) | instskip(SKIP_1) | instid1(VALU_DEP_2)
	v_add_f32_e32 v60, v60, v71
	v_cvt_i32_f32_e32 v71, v72
	v_exp_f32_e32 v60, v60
	s_waitcnt_depctr 0xfff
	v_ldexp_f32 v60, v60, v71
	s_delay_alu instid0(VALU_DEP_1) | instskip(SKIP_1) | instid1(VALU_DEP_1)
	v_cndmask_b32_e64 v60, 0, v60, s4
	v_cmp_nlt_f32_e64 s4, 0x42b17218, v58
	v_cndmask_b32_e64 v138, 0x7f800000, v60, s4
	s_delay_alu instid0(VALU_DEP_1) | instskip(SKIP_3) | instid1(VALU_DEP_1)
	v_cndmask_b32_e64 v60, v63, v138, s2
	ds_bpermute_b32 v63, v231, v138
	v_cndmask_b32_e64 v58, v67, v138, s3
	s_waitcnt lgkmcnt(0)
	v_cndmask_b32_e64 v58, v58, v63, s1
	v_cndmask_b32_e32 v60, v60, v63, vcc_lo
	s_delay_alu instid0(VALU_DEP_2) | instskip(NEXT) | instid1(VALU_DEP_2)
	v_cvt_f16_f32_e32 v63, v58
	v_cvt_f16_f32_e32 v67, v60
	s_delay_alu instid0(VALU_DEP_1) | instskip(SKIP_1) | instid1(VALU_DEP_1)
	v_pack_b32_f16 v141, v63, v67
	v_sub_f32_e32 v63, v82, v247
	v_mul_f32_e32 v67, 0x3fb8aa3b, v63
	v_cmp_ngt_f32_e64 s4, 0xc2ce8ed0, v63
	s_delay_alu instid0(VALU_DEP_2) | instskip(SKIP_1) | instid1(VALU_DEP_2)
	v_fma_f32 v71, 0x3fb8aa3b, v63, -v67
	v_rndne_f32_e32 v72, v67
	v_fmac_f32_e32 v71, 0x32a5705f, v63
	s_delay_alu instid0(VALU_DEP_2) | instskip(NEXT) | instid1(VALU_DEP_1)
	v_sub_f32_e32 v67, v67, v72
	v_add_f32_e32 v67, v67, v71
	v_cvt_i32_f32_e32 v71, v72
	s_delay_alu instid0(VALU_DEP_2) | instskip(SKIP_2) | instid1(VALU_DEP_1)
	v_exp_f32_e32 v67, v67
	s_waitcnt_depctr 0xfff
	v_ldexp_f32 v67, v67, v71
	v_cndmask_b32_e64 v67, 0, v67, s4
	v_cmp_nlt_f32_e64 s4, 0x42b17218, v63
	s_delay_alu instid0(VALU_DEP_1) | instskip(SKIP_4) | instid1(VALU_DEP_2)
	v_cndmask_b32_e64 v163, 0x7f800000, v67, s4
	ds_bpermute_b32 v63, v231, v163
	v_cndmask_b32_e64 v58, v58, v163, s3
	v_cndmask_b32_e64 v60, v60, v163, s2
	s_waitcnt lgkmcnt(0)
	v_cndmask_b32_e64 v58, v58, v63, s1
	s_delay_alu instid0(VALU_DEP_2) | instskip(NEXT) | instid1(VALU_DEP_2)
	v_cndmask_b32_e32 v60, v60, v63, vcc_lo
	v_cvt_f16_f32_e32 v63, v58
	s_delay_alu instid0(VALU_DEP_2) | instskip(NEXT) | instid1(VALU_DEP_1)
	v_cvt_f16_f32_e32 v67, v60
	v_pack_b32_f16 v142, v63, v67
	v_sub_f32_e32 v63, v80, v247
	s_delay_alu instid0(VALU_DEP_1) | instskip(SKIP_1) | instid1(VALU_DEP_2)
	v_mul_f32_e32 v67, 0x3fb8aa3b, v63
	v_cmp_ngt_f32_e64 s4, 0xc2ce8ed0, v63
	v_fma_f32 v71, 0x3fb8aa3b, v63, -v67
	v_rndne_f32_e32 v72, v67
	s_delay_alu instid0(VALU_DEP_2) | instskip(NEXT) | instid1(VALU_DEP_2)
	v_fmac_f32_e32 v71, 0x32a5705f, v63
	v_sub_f32_e32 v67, v67, v72
	s_delay_alu instid0(VALU_DEP_1) | instskip(SKIP_1) | instid1(VALU_DEP_2)
	v_add_f32_e32 v67, v67, v71
	v_cvt_i32_f32_e32 v71, v72
	v_exp_f32_e32 v67, v67
	s_waitcnt_depctr 0xfff
	v_ldexp_f32 v67, v67, v71
	s_delay_alu instid0(VALU_DEP_1) | instskip(SKIP_1) | instid1(VALU_DEP_1)
	v_cndmask_b32_e64 v67, 0, v67, s4
	v_cmp_nlt_f32_e64 s4, 0x42b17218, v63
	v_cndmask_b32_e64 v164, 0x7f800000, v67, s4
	ds_bpermute_b32 v63, v231, v164
	v_cndmask_b32_e64 v58, v58, v164, s3
	v_cndmask_b32_e64 v60, v60, v164, s2
	s_waitcnt lgkmcnt(0)
	s_delay_alu instid0(VALU_DEP_2) | instskip(NEXT) | instid1(VALU_DEP_2)
	v_cndmask_b32_e64 v58, v58, v63, s1
	v_cndmask_b32_e32 v60, v60, v63, vcc_lo
	s_delay_alu instid0(VALU_DEP_2) | instskip(NEXT) | instid1(VALU_DEP_2)
	v_cvt_f16_f32_e32 v63, v58
	v_cvt_f16_f32_e32 v67, v60
	s_delay_alu instid0(VALU_DEP_1) | instskip(SKIP_1) | instid1(VALU_DEP_1)
	v_pack_b32_f16 v143, v63, v67
	v_sub_f32_e32 v63, v79, v247
	v_mul_f32_e32 v67, 0x3fb8aa3b, v63
	v_cmp_ngt_f32_e64 s4, 0xc2ce8ed0, v63
	s_delay_alu instid0(VALU_DEP_2) | instskip(SKIP_1) | instid1(VALU_DEP_2)
	v_fma_f32 v71, 0x3fb8aa3b, v63, -v67
	v_rndne_f32_e32 v72, v67
	v_fmac_f32_e32 v71, 0x32a5705f, v63
	s_delay_alu instid0(VALU_DEP_2) | instskip(NEXT) | instid1(VALU_DEP_1)
	v_sub_f32_e32 v67, v67, v72
	v_add_f32_e32 v67, v67, v71
	v_cvt_i32_f32_e32 v71, v72
	s_delay_alu instid0(VALU_DEP_2) | instskip(SKIP_2) | instid1(VALU_DEP_1)
	v_exp_f32_e32 v67, v67
	s_waitcnt_depctr 0xfff
	v_ldexp_f32 v67, v67, v71
	v_cndmask_b32_e64 v67, 0, v67, s4
	v_cmp_nlt_f32_e64 s4, 0x42b17218, v63
	s_delay_alu instid0(VALU_DEP_1) | instskip(SKIP_4) | instid1(VALU_DEP_2)
	v_cndmask_b32_e64 v165, 0x7f800000, v67, s4
	ds_bpermute_b32 v63, v231, v165
	v_cndmask_b32_e64 v58, v58, v165, s3
	v_cndmask_b32_e64 v60, v60, v165, s2
	s_waitcnt lgkmcnt(0)
	v_cndmask_b32_e64 v58, v58, v63, s1
	s_delay_alu instid0(VALU_DEP_2) | instskip(NEXT) | instid1(VALU_DEP_2)
	v_cndmask_b32_e32 v60, v60, v63, vcc_lo
	v_cvt_f16_f32_e32 v63, v58
	s_delay_alu instid0(VALU_DEP_2) | instskip(NEXT) | instid1(VALU_DEP_1)
	v_cvt_f16_f32_e32 v67, v60
	v_pack_b32_f16 v144, v63, v67
	v_sub_f32_e32 v63, v223, v247
	s_delay_alu instid0(VALU_DEP_1) | instskip(SKIP_1) | instid1(VALU_DEP_2)
	v_mul_f32_e32 v67, 0x3fb8aa3b, v63
	v_cmp_ngt_f32_e64 s4, 0xc2ce8ed0, v63
	v_fma_f32 v71, 0x3fb8aa3b, v63, -v67
	v_rndne_f32_e32 v72, v67
	s_delay_alu instid0(VALU_DEP_2) | instskip(NEXT) | instid1(VALU_DEP_2)
	v_fmac_f32_e32 v71, 0x32a5705f, v63
	v_sub_f32_e32 v67, v67, v72
	s_delay_alu instid0(VALU_DEP_1) | instskip(SKIP_1) | instid1(VALU_DEP_2)
	v_add_f32_e32 v67, v67, v71
	v_cvt_i32_f32_e32 v71, v72
	v_exp_f32_e32 v67, v67
	s_waitcnt_depctr 0xfff
	v_ldexp_f32 v67, v67, v71
	s_delay_alu instid0(VALU_DEP_1) | instskip(SKIP_1) | instid1(VALU_DEP_1)
	v_cndmask_b32_e64 v67, 0, v67, s4
	v_cmp_nlt_f32_e64 s4, 0x42b17218, v63
	v_cndmask_b32_e64 v166, 0x7f800000, v67, s4
	ds_bpermute_b32 v63, v231, v166
	v_cndmask_b32_e64 v58, v58, v166, s3
	v_cndmask_b32_e64 v60, v60, v166, s2
	s_waitcnt lgkmcnt(0)
	s_delay_alu instid0(VALU_DEP_2) | instskip(NEXT) | instid1(VALU_DEP_2)
	v_cndmask_b32_e64 v58, v58, v63, s1
	v_cndmask_b32_e32 v60, v60, v63, vcc_lo
	s_delay_alu instid0(VALU_DEP_2) | instskip(NEXT) | instid1(VALU_DEP_2)
	v_cvt_f16_f32_e32 v63, v58
	v_cvt_f16_f32_e32 v67, v60
	s_delay_alu instid0(VALU_DEP_1) | instskip(SKIP_1) | instid1(VALU_DEP_1)
	v_pack_b32_f16 v145, v63, v67
	v_sub_f32_e32 v63, v222, v247
	v_mul_f32_e32 v67, 0x3fb8aa3b, v63
	v_cmp_ngt_f32_e64 s4, 0xc2ce8ed0, v63
	s_delay_alu instid0(VALU_DEP_2) | instskip(SKIP_1) | instid1(VALU_DEP_2)
	v_fma_f32 v71, 0x3fb8aa3b, v63, -v67
	v_rndne_f32_e32 v72, v67
	v_fmac_f32_e32 v71, 0x32a5705f, v63
	s_delay_alu instid0(VALU_DEP_2) | instskip(NEXT) | instid1(VALU_DEP_1)
	v_sub_f32_e32 v67, v67, v72
	v_add_f32_e32 v67, v67, v71
	v_cvt_i32_f32_e32 v71, v72
	s_delay_alu instid0(VALU_DEP_2) | instskip(SKIP_2) | instid1(VALU_DEP_1)
	v_exp_f32_e32 v67, v67
	s_waitcnt_depctr 0xfff
	v_ldexp_f32 v67, v67, v71
	v_cndmask_b32_e64 v67, 0, v67, s4
	v_cmp_nlt_f32_e64 s4, 0x42b17218, v63
	s_delay_alu instid0(VALU_DEP_1) | instskip(SKIP_4) | instid1(VALU_DEP_2)
	v_cndmask_b32_e64 v167, 0x7f800000, v67, s4
	ds_bpermute_b32 v63, v231, v167
	v_cndmask_b32_e64 v58, v58, v167, s3
	v_cndmask_b32_e64 v60, v60, v167, s2
	s_waitcnt lgkmcnt(0)
	v_cndmask_b32_e64 v58, v58, v63, s1
	s_delay_alu instid0(VALU_DEP_2) | instskip(NEXT) | instid1(VALU_DEP_2)
	v_cndmask_b32_e32 v60, v60, v63, vcc_lo
	v_cvt_f16_f32_e32 v58, v58
	s_delay_alu instid0(VALU_DEP_2) | instskip(NEXT) | instid1(VALU_DEP_1)
	v_cvt_f16_f32_e32 v60, v60
	v_pack_b32_f16 v146, v58, v60
	ds_load_u16 v67, v250 offset:1440
	ds_load_u16 v58, v89 offset:960
	;; [unrolled: 1-line block ×35, first 2 shown]
	ds_load_u16_d16_hi v65, v235 offset:8400
	s_waitcnt lgkmcnt(23)
	ds_load_u16_d16_hi v197, v235 offset:10832
	ds_load_u16_d16_hi v198, v235 offset:11312
	ds_load_u16 v156, v170 offset:480
	s_waitcnt lgkmcnt(22)
	ds_load_u16_d16_hi v63, v235 offset:11344
	ds_load_u16_d16_hi v193, v235 offset:8912
	;; [unrolled: 1-line block ×9, first 2 shown]
	s_waitcnt lgkmcnt(26)
	ds_load_u16_d16_hi v202, v235 offset:9936
	ds_load_u16_d16_hi v84, v235 offset:9968
	s_waitcnt lgkmcnt(22)
	ds_load_u16_d16_hi v210, v235 offset:10000
	ds_load_u16_d16_hi v66, v235 offset:8880
	ds_load_u16_d16_hi v73, v235 offset:8592
	ds_load_u16_d16_hi v194, v235 offset:9392
	ds_load_u16_d16_hi v59, v235 offset:9424
	ds_load_u16_d16_hi v201, v235 offset:9456
	ds_load_u16_d16_hi v83, v235 offset:9488
	s_waitcnt lgkmcnt(28)
	ds_load_u16_d16_hi v209, v235 offset:9520
	ds_load_u16_d16_hi v75, v235 offset:9552
	ds_load_u16_d16_hi v67, v235 offset:9360
	ds_load_u16_d16_hi v74, v235 offset:9072
	ds_load_u16_d16_hi v69, v235 offset:10320
	ds_load_u16_d16_hi v76, v235 offset:10032
	ds_load_u16_d16_hi v70, v235 offset:10800
	ds_load_u16_d16_hi v77, v235 offset:10512
	ds_load_u16_d16_hi v71, v235 offset:11280
	ds_load_u16_d16_hi v78, v235 offset:10992
	ds_load_u16_d16_hi v64, v235 offset:7920
	ds_load_u16_d16_hi v191, v235 offset:7952
	ds_load_u16_d16_hi v56, v235 offset:7984
	ds_load_u16 v72, v235 offset:7872
	ds_load_u16_d16_hi v192, v235 offset:8432
	ds_load_u16_d16_hi v196, v235 offset:10352
	;; [unrolled: 1-line block ×9, first 2 shown]
	s_waitcnt lgkmcnt(9)
	ds_load_u16_d16_hi v72, v235 offset:8112
	v_wmma_f32_16x16x16_f16 v[48:55], v[64:71], v[139:146], v[48:55]
	s_waitcnt lgkmcnt(8)
	v_wmma_f32_16x16x16_f16 v[40:47], v[191:198], v[139:146], v[40:47]
	s_clause 0x5
	scratch_load_b32 v197, off, off offset:288
	scratch_load_b32 v196, off, off offset:280
	;; [unrolled: 1-line block ×4, first 2 shown]
	scratch_load_b64 v[192:193], off, off offset:520
	scratch_load_b64 v[190:191], off, off offset:512
	ds_load_u16_d16_hi v62, v235 offset:10864
	ds_load_u16_d16_hi v204, v235 offset:10896
	;; [unrolled: 1-line block ×4, first 2 shown]
	ds_load_u16 v87, v87 offset:3360
	ds_load_u16 v79, v98 offset:3360
	ds_load_u16 v198, v235 offset:7776
	ds_load_u16 v80, v235 offset:7808
	ds_load_u16 v206, v235 offset:7840
	ds_load_u16 v124, v100 offset:1440
	ds_load_u16 v125, v100 offset:1920
	ds_load_u16 v126, v100 offset:2400
	ds_load_u16 v122, v100 offset:480
	ds_load_u16_d16_hi v205, v235 offset:11376
	scratch_load_b32 v171, off, off offset:252 ; 4-byte Folded Reload
	s_waitcnt lgkmcnt(13)
	v_wmma_f32_16x16x16_f16 v[32:39], v[56:63], v[139:146], v[32:39]
	v_sub_f32_e32 v56, v228, v247
	s_waitcnt vmcnt(0)
	ds_load_u16 v57, v171 offset:480
	s_waitcnt lgkmcnt(10)
	ds_load_u16_d16_hi v87, v235 offset:11408
	ds_load_u16_d16_hi v213, v235 offset:11440
	s_waitcnt lgkmcnt(11)
	ds_load_u16_d16_hi v79, v235 offset:11472
	ds_load_u16 v147, v235 offset:11520
	ds_load_u16 v222, v235 offset:11552
	;; [unrolled: 1-line block ×4, first 2 shown]
	s_waitcnt lgkmcnt(15)
	ds_load_u16_d16_hi v198, v235 offset:8016
	s_waitcnt lgkmcnt(15)
	ds_load_u16_d16_hi v80, v235 offset:8048
	;; [unrolled: 2-line block ×3, first 2 shown]
	v_mul_f32_e32 v58, 0x3fb8aa3b, v56
	v_cmp_ngt_f32_e64 s4, 0xc2ce8ed0, v56
	ds_load_u16_d16_hi v207, v235 offset:8560
	v_fma_f32 v59, 0x3fb8aa3b, v56, -v58
	v_rndne_f32_e32 v60, v58
	s_delay_alu instid0(VALU_DEP_2) | instskip(NEXT) | instid1(VALU_DEP_2)
	v_fmac_f32_e32 v59, 0x32a5705f, v56
	v_sub_f32_e32 v58, v58, v60
	v_cvt_i32_f32_e32 v60, v60
	s_waitcnt lgkmcnt(8)
	v_wmma_f32_16x16x16_f16 v[0:7], v[72:79], v[139:146], v[0:7]
	s_delay_alu instid0(VALU_DEP_3)
	v_add_f32_e32 v58, v58, v59
	scratch_load_b32 v59, off, off offset:204 ; 4-byte Folded Reload
	s_waitcnt lgkmcnt(2)
	v_wmma_f32_16x16x16_f16 v[16:23], v[80:87], v[139:146], v[16:23]
	scratch_load_b32 v81, off, off offset:264 ; 4-byte Folded Reload
	v_mov_b32_e32 v84, v226
	v_exp_f32_e32 v58, v58
	s_waitcnt lgkmcnt(0)
	v_wmma_f32_16x16x16_f16 v[8:15], v[206:213], v[139:146], v[8:15]
	scratch_load_b32 v206, off, off offset:4 ; 4-byte Folded Reload
	v_dual_mov_b32 v82, v224 :: v_dual_mov_b32 v85, v227
	v_mov_b32_e32 v83, v225
	v_wmma_f32_16x16x16_f16 v[24:31], v[198:205], v[139:146], v[24:31]
	v_mov_b32_e32 v198, v102
	v_mov_b32_e32 v102, v241
	v_ldexp_f32 v58, v58, v60
	s_delay_alu instid0(VALU_DEP_1) | instskip(SKIP_1) | instid1(VALU_DEP_1)
	v_cndmask_b32_e64 v58, 0, v58, s4
	v_cmp_nlt_f32_e64 s4, 0x42b17218, v56
	v_cndmask_b32_e64 v73, 0x7f800000, v58, s4
	s_waitcnt vmcnt(2)
	v_sub_f32_e32 v59, v59, v247
	s_delay_alu instid0(VALU_DEP_1) | instskip(SKIP_1) | instid1(VALU_DEP_2)
	v_mul_f32_e32 v61, 0x3fb8aa3b, v59
	v_cmp_ngt_f32_e64 s5, 0xc2ce8ed0, v59
	v_fma_f32 v62, 0x3fb8aa3b, v59, -v61
	v_rndne_f32_e32 v63, v61
	s_delay_alu instid0(VALU_DEP_2) | instskip(NEXT) | instid1(VALU_DEP_2)
	v_fmac_f32_e32 v62, 0x32a5705f, v59
	v_sub_f32_e32 v61, v61, v63
	v_cvt_i32_f32_e32 v60, v63
	s_delay_alu instid0(VALU_DEP_2) | instskip(NEXT) | instid1(VALU_DEP_1)
	v_add_f32_e32 v61, v61, v62
	v_exp_f32_e32 v61, v61
	s_waitcnt_depctr 0xfff
	v_ldexp_f32 v60, v61, v60
	s_delay_alu instid0(VALU_DEP_1)
	v_cndmask_b32_e64 v56, 0, v60, s5
	v_cmp_nlt_f32_e64 s5, 0x42b17218, v59
	ds_bpermute_b32 v59, v231, v73
	v_cndmask_b32_e64 v72, 0x7f800000, v56, s5
	ds_bpermute_b32 v56, v231, v72
	s_waitcnt lgkmcnt(0)
	v_cndmask_b32_e32 v58, v72, v56, vcc_lo
	v_cndmask_b32_e64 v56, v72, v56, s1
	s_delay_alu instid0(VALU_DEP_2) | instskip(NEXT) | instid1(VALU_DEP_2)
	v_cndmask_b32_e64 v61, v58, v73, s2
	v_cndmask_b32_e64 v60, v56, v73, s3
	v_cvt_f16_f32_e32 v56, v56
	v_cvt_f16_f32_e32 v58, v58
	s_delay_alu instid0(VALU_DEP_3) | instskip(SKIP_1) | instid1(VALU_DEP_3)
	v_cndmask_b32_e64 v60, v60, v59, s1
	v_cndmask_b32_e32 v59, v61, v59, vcc_lo
	v_pack_b32_f16 v64, v56, v58
	scratch_load_b32 v56, off, off offset:172 ; 4-byte Folded Reload
	v_cvt_f16_f32_e32 v61, v60
	v_cvt_f16_f32_e32 v62, v59
	s_delay_alu instid0(VALU_DEP_1) | instskip(SKIP_2) | instid1(VALU_DEP_1)
	v_pack_b32_f16 v65, v61, v62
	s_waitcnt vmcnt(0)
	v_sub_f32_e32 v56, v56, v247
	v_mul_f32_e32 v58, 0x3fb8aa3b, v56
	v_cmp_ngt_f32_e64 s4, 0xc2ce8ed0, v56
	s_delay_alu instid0(VALU_DEP_2) | instskip(SKIP_1) | instid1(VALU_DEP_1)
	v_fma_f32 v61, 0x3fb8aa3b, v56, -v58
	v_rndne_f32_e32 v62, v58
	v_dual_fmac_f32 v61, 0x32a5705f, v56 :: v_dual_sub_f32 v58, v58, v62
	s_delay_alu instid0(VALU_DEP_1) | instskip(SKIP_1) | instid1(VALU_DEP_2)
	v_add_f32_e32 v58, v58, v61
	v_cvt_i32_f32_e32 v61, v62
	v_exp_f32_e32 v58, v58
	s_waitcnt_depctr 0xfff
	v_ldexp_f32 v58, v58, v61
	s_delay_alu instid0(VALU_DEP_1) | instskip(SKIP_1) | instid1(VALU_DEP_1)
	v_cndmask_b32_e64 v58, 0, v58, s4
	v_cmp_nlt_f32_e64 s4, 0x42b17218, v56
	v_cndmask_b32_e64 v74, 0x7f800000, v58, s4
	s_delay_alu instid0(VALU_DEP_1) | instskip(SKIP_3) | instid1(VALU_DEP_1)
	v_cndmask_b32_e64 v58, v59, v74, s2
	ds_bpermute_b32 v59, v231, v74
	v_cndmask_b32_e64 v56, v60, v74, s3
	s_waitcnt lgkmcnt(0)
	v_cndmask_b32_e64 v56, v56, v59, s1
	v_cndmask_b32_e32 v58, v58, v59, vcc_lo
	s_delay_alu instid0(VALU_DEP_2) | instskip(NEXT) | instid1(VALU_DEP_2)
	v_cvt_f16_f32_e32 v59, v56
	v_cvt_f16_f32_e32 v60, v58
	s_delay_alu instid0(VALU_DEP_1) | instskip(SKIP_3) | instid1(VALU_DEP_1)
	v_pack_b32_f16 v66, v59, v60
	scratch_load_b32 v59, off, off offset:140 ; 4-byte Folded Reload
	s_waitcnt vmcnt(0)
	v_sub_f32_e32 v59, v59, v247
	v_mul_f32_e32 v60, 0x3fb8aa3b, v59
	s_delay_alu instid0(VALU_DEP_1) | instskip(SKIP_1) | instid1(VALU_DEP_1)
	v_fma_f32 v61, 0x3fb8aa3b, v59, -v60
	v_rndne_f32_e32 v62, v60
	v_dual_fmac_f32 v61, 0x32a5705f, v59 :: v_dual_sub_f32 v60, v60, v62
	s_delay_alu instid0(VALU_DEP_1) | instskip(SKIP_2) | instid1(VALU_DEP_3)
	v_add_f32_e32 v60, v60, v61
	v_cvt_i32_f32_e32 v61, v62
	v_cmp_ngt_f32_e64 s4, 0xc2ce8ed0, v59
	v_exp_f32_e32 v60, v60
	s_waitcnt_depctr 0xfff
	v_ldexp_f32 v60, v60, v61
	s_delay_alu instid0(VALU_DEP_1) | instskip(SKIP_1) | instid1(VALU_DEP_1)
	v_cndmask_b32_e64 v60, 0, v60, s4
	v_cmp_nlt_f32_e64 s4, 0x42b17218, v59
	v_cndmask_b32_e64 v75, 0x7f800000, v60, s4
	ds_bpermute_b32 v59, v231, v75
	v_cndmask_b32_e64 v56, v56, v75, s3
	v_cndmask_b32_e64 v58, v58, v75, s2
	s_waitcnt lgkmcnt(0)
	s_delay_alu instid0(VALU_DEP_2) | instskip(NEXT) | instid1(VALU_DEP_2)
	v_cndmask_b32_e64 v56, v56, v59, s1
	v_cndmask_b32_e32 v58, v58, v59, vcc_lo
	s_delay_alu instid0(VALU_DEP_2) | instskip(NEXT) | instid1(VALU_DEP_2)
	v_cvt_f16_f32_e32 v59, v56
	v_cvt_f16_f32_e32 v60, v58
	s_delay_alu instid0(VALU_DEP_1) | instskip(SKIP_3) | instid1(VALU_DEP_1)
	v_pack_b32_f16 v67, v59, v60
	scratch_load_b32 v59, off, off offset:108 ; 4-byte Folded Reload
	s_waitcnt vmcnt(0)
	v_sub_f32_e32 v59, v59, v247
	v_mul_f32_e32 v60, 0x3fb8aa3b, v59
	s_delay_alu instid0(VALU_DEP_1) | instskip(SKIP_1) | instid1(VALU_DEP_1)
	v_fma_f32 v61, 0x3fb8aa3b, v59, -v60
	v_rndne_f32_e32 v62, v60
	v_dual_fmac_f32 v61, 0x32a5705f, v59 :: v_dual_sub_f32 v60, v60, v62
	s_delay_alu instid0(VALU_DEP_1) | instskip(SKIP_2) | instid1(VALU_DEP_3)
	v_add_f32_e32 v60, v60, v61
	v_cvt_i32_f32_e32 v61, v62
	v_cmp_ngt_f32_e64 s4, 0xc2ce8ed0, v59
	v_exp_f32_e32 v60, v60
	s_waitcnt_depctr 0xfff
	v_ldexp_f32 v60, v60, v61
	s_delay_alu instid0(VALU_DEP_1) | instskip(SKIP_1) | instid1(VALU_DEP_1)
	v_cndmask_b32_e64 v60, 0, v60, s4
	v_cmp_nlt_f32_e64 s4, 0x42b17218, v59
	v_cndmask_b32_e64 v76, 0x7f800000, v60, s4
	ds_bpermute_b32 v59, v231, v76
	v_cndmask_b32_e64 v56, v56, v76, s3
	v_cndmask_b32_e64 v58, v58, v76, s2
	s_waitcnt lgkmcnt(0)
	s_delay_alu instid0(VALU_DEP_2) | instskip(NEXT) | instid1(VALU_DEP_2)
	;; [unrolled: 31-line block ×5, first 2 shown]
	v_cndmask_b32_e64 v56, v56, v59, s1
	v_cndmask_b32_e32 v58, v58, v59, vcc_lo
	s_delay_alu instid0(VALU_DEP_2) | instskip(NEXT) | instid1(VALU_DEP_2)
	v_cvt_f16_f32_e32 v56, v56
	v_cvt_f16_f32_e32 v58, v58
	s_delay_alu instid0(VALU_DEP_1)
	v_pack_b32_f16 v71, v56, v58
	ds_load_u16 v149, v251 offset:960
	ds_load_u16 v123, v100 offset:960
	ds_load_u16 v227, v103 offset:2400
	ds_load_u16 v228, v103 offset:2880
	ds_load_u16 v225, v103 offset:1440
	ds_load_u16 v224, v103 offset:960
	ds_load_u16 v161, v170 offset:2880
	ds_load_u16 v162, v170 offset:3360
	ds_load_u16 v159, v170 offset:1920
	ds_load_u16 v160, v170 offset:2400
	ds_load_u16 v158, v170 offset:1440
	ds_load_u16 v157, v170 offset:960
	ds_load_u16 v116, v94 offset:1440
	ds_load_u16 v115, v94 offset:960
	ds_load_u16 v59, v171 offset:1440
	ds_load_u16 v217, v173 offset:1440
	ds_load_u16 v60, v171 offset:1920
	ds_load_u16 v61, v171 offset:2400
	ds_load_u16 v62, v171 offset:2880
	ds_load_u16 v58, v171 offset:960
	ds_load_u16 v216, v173 offset:960
	ds_load_u16 v226, v103 offset:1920
	ds_load_u16 v119, v94 offset:2880
	ds_load_u16_d16_hi v148, v235 offset:12240
	s_waitcnt lgkmcnt(21)
	ds_load_u16_d16_hi v227, v235 offset:14192
	s_waitcnt lgkmcnt(21)
	;; [unrolled: 2-line block ×3, first 2 shown]
	ds_load_u16_d16_hi v161, v235 offset:14704
	ds_load_u16_d16_hi v229, v235 offset:15152
	s_waitcnt lgkmcnt(20)
	ds_load_u16_d16_hi v162, v235 offset:15184
	ds_load_u16_d16_hi v120, v235 offset:15216
	;; [unrolled: 1-line block ×4, first 2 shown]
	s_waitcnt lgkmcnt(21)
	ds_load_u16_d16_hi v158, v235 offset:13264
	s_waitcnt lgkmcnt(20)
	ds_load_u16_d16_hi v116, v235 offset:13296
	;; [unrolled: 2-line block ×4, first 2 shown]
	ds_load_u16_d16_hi v224, v235 offset:12752
	ds_load_u16_d16_hi v157, v235 offset:12784
	;; [unrolled: 1-line block ×3, first 2 shown]
	s_waitcnt lgkmcnt(19)
	ds_load_u16_d16_hi v58, v235 offset:12848
	s_waitcnt lgkmcnt(19)
	ds_load_u16_d16_hi v216, v235 offset:12880
	ds_load_u16_d16_hi v123, v235 offset:12912
	;; [unrolled: 1-line block ×16, first 2 shown]
	ds_load_u16 v121, v235 offset:11712
	ds_load_u16 v117, v94 offset:1920
	;; [unrolled: 1-line block ×6, first 2 shown]
	ds_load_u16_d16_hi v223, v235 offset:12272
	s_waitcnt lgkmcnt(41)
	ds_load_u16_d16_hi v226, v235 offset:13712
	ds_load_u16_d16_hi v159, v235 offset:13744
	s_waitcnt lgkmcnt(7)
	ds_load_u16_d16_hi v117, v235 offset:13776
	;; [unrolled: 3-line block ×3, first 2 shown]
	ds_load_u16_d16_hi v156, v235 offset:12304
	ds_load_u16_d16_hi v114, v235 offset:12336
	;; [unrolled: 1-line block ×6, first 2 shown]
	s_waitcnt lgkmcnt(14)
	ds_load_u16_d16_hi v118, v235 offset:14256
	ds_load_u16_d16_hi v61, v235 offset:14288
	s_waitcnt lgkmcnt(15)
	ds_load_u16_d16_hi v219, v235 offset:14320
	ds_load_u16_d16_hi v119, v235 offset:14736
	;; [unrolled: 1-line block ×3, first 2 shown]
	s_waitcnt lgkmcnt(17)
	ds_load_u16_d16_hi v220, v235 offset:14800
	v_wmma_f32_16x16x16_f16 v[48:55], v[147:154], v[64:71], v[48:55]
	s_waitcnt lgkmcnt(16)
	v_wmma_f32_16x16x16_f16 v[40:47], v[222:229], v[64:71], v[40:47]
	s_waitcnt lgkmcnt(6)
	v_wmma_f32_16x16x16_f16 v[32:39], v[155:162], v[64:71], v[32:39]
	s_waitcnt lgkmcnt(2)
	v_wmma_f32_16x16x16_f16 v[24:31], v[113:120], v[64:71], v[24:31]
	scratch_load_b32 v120, off, off offset:260 ; 4-byte Folded Reload
	ds_load_u16 v63, v171 offset:3360
	ds_load_u16 v56, v235 offset:11648
	;; [unrolled: 1-line block ×3, first 2 shown]
	s_waitcnt lgkmcnt(2)
	ds_load_u16_d16_hi v63, v235 offset:15248
	ds_load_u16_d16_hi v221, v235 offset:15280
	s_waitcnt lgkmcnt(3)
	ds_load_u16_d16_hi v56, v235 offset:11888
	s_waitcnt lgkmcnt(3)
	ds_load_u16_d16_hi v214, v235 offset:11920
	v_wmma_f32_16x16x16_f16 v[0:7], v[121:128], v[64:71], v[0:7]
	s_waitcnt lgkmcnt(1)
	v_wmma_f32_16x16x16_f16 v[16:23], v[56:63], v[64:71], v[16:23]
	v_add_f32_e32 v56, v240, v246
	s_waitcnt lgkmcnt(0)
	v_wmma_f32_16x16x16_f16 v[8:15], v[214:221], v[64:71], v[8:15]
	v_dual_mov_b32 v214, v111 :: v_dual_mov_b32 v213, v110
	v_mov_b32_e32 v212, v109
	v_add_f32_e32 v56, v248, v56
	v_dual_mov_b32 v211, v108 :: v_dual_mov_b32 v210, v107
	v_dual_mov_b32 v209, v106 :: v_dual_mov_b32 v208, v105
	s_delay_alu instid0(VALU_DEP_3)
	v_add_f32_e32 v56, v236, v56
	v_mov_b32_e32 v207, v104
	s_clause 0x4
	scratch_load_b128 v[104:107], off, off offset:588
	scratch_load_b128 v[108:111], off, off offset:604
	scratch_load_b64 v[70:71], off, off offset:536
	scratch_load_b64 v[68:69], off, off offset:528
	;; [unrolled: 1-line block ×3, first 2 shown]
	v_dual_mov_b32 v57, v230 :: v_dual_add_f32 v56, v239, v56
	v_dual_mov_b32 v61, v237 :: v_dual_mov_b32 v62, v238
	s_delay_alu instid0(VALU_DEP_2) | instskip(NEXT) | instid1(VALU_DEP_1)
	v_add_f32_e32 v56, v242, v56
	v_add_f32_e32 v56, v243, v56
	s_delay_alu instid0(VALU_DEP_1) | instskip(NEXT) | instid1(VALU_DEP_1)
	v_add_f32_e32 v56, v244, v56
	v_add_f32_e32 v56, v112, v56
	s_delay_alu instid0(VALU_DEP_1) | instskip(NEXT) | instid1(VALU_DEP_1)
	;; [unrolled: 3-line block ×9, first 2 shown]
	v_add_f32_e32 v56, v167, v56
	v_add_f32_e32 v56, v72, v56
	s_delay_alu instid0(VALU_DEP_1) | instskip(SKIP_2) | instid1(VALU_DEP_1)
	v_add_f32_e32 v56, v73, v56
	scratch_load_b64 v[72:73], off, off offset:544 ; 8-byte Folded Reload
	v_add_f32_e32 v56, v74, v56
	v_add_f32_e32 v56, v75, v56
	scratch_load_b64 v[74:75], off, off offset:552 ; 8-byte Folded Reload
	v_add_f32_e32 v56, v76, v56
	s_delay_alu instid0(VALU_DEP_1) | instskip(SKIP_2) | instid1(VALU_DEP_1)
	v_add_f32_e32 v56, v77, v56
	scratch_load_b64 v[76:77], off, off offset:560 ; 8-byte Folded Reload
	v_add_f32_e32 v56, v78, v56
	v_add_f32_e32 v230, v79, v56
	scratch_load_b64 v[78:79], off, off offset:568 ; 8-byte Folded Reload
	s_waitcnt vmcnt(0)
	s_barrier
	buffer_gl0_inv
	v_fmac_f32_e32 v230, v57, v245
	s_cbranch_scc1 .LBB19_137
; %bb.138:                              ;   in Loop: Header=BB19_15 Depth=1
	s_clause 0x8
	scratch_load_b32 v245, off, off offset:1212
	scratch_load_b64 v[236:237], off, off offset:912
	scratch_load_b32 v219, off, off offset:1216
	scratch_load_b32 v220, off, off offset:1220
	;; [unrolled: 1-line block ×4, first 2 shown]
	scratch_load_b64 v[56:57], off, off offset:920
	scratch_load_b32 v243, off, off offset:1164
	scratch_load_b32 v231, off, off offset:296
	v_mov_b32_e32 v146, v96
	v_dual_mov_b32 v96, 32 :: v_dual_mov_b32 v225, v253
	scratch_load_b32 v253, off, off offset:300 ; 4-byte Folded Reload
	v_mov_b32_e32 v181, v90
	s_clause 0x4
	scratch_load_b32 v90, off, off offset:1276
	scratch_load_b128 v[147:150], off, off offset:432
	scratch_load_b128 v[151:154], off, off offset:448
	;; [unrolled: 1-line block ×4, first 2 shown]
	v_mov_b32_e32 v144, v250
	v_mov_b32_e32 v234, v251
	s_waitcnt vmcnt(13)
	v_dual_mov_b32 v250, v252 :: v_dual_mov_b32 v237, v249
	v_dual_mov_b32 v249, v232 :: v_dual_mov_b32 v232, v103
	v_mov_b32_e32 v252, v94
	v_dual_mov_b32 v94, v101 :: v_dual_mov_b32 v103, v99
	v_dual_mov_b32 v99, v93 :: v_dual_add_nc_u32 v238, 20, v245
	v_and_b32_e32 v240, 15, v245
	v_add_nc_u32_e32 v216, 36, v245
	v_add_nc_u32_e32 v217, 24, v245
	;; [unrolled: 1-line block ×7, first 2 shown]
.LBB19_139:                             ;   in Loop: Header=BB19_15 Depth=1
	scratch_load_b32 v58, off, off offset:944 ; 4-byte Folded Reload
	s_lshl_b32 s2, s63, 6
	s_waitcnt vmcnt(9)
	v_lshlrev_b64 v[56:57], 1, v[84:85]
	s_ashr_i32 s3, s2, 31
	v_lshlrev_b64 v[60:61], 1, v[61:62]
	s_lshl_b64 s[0:1], s[2:3], 1
	v_lshlrev_b64 v[62:63], 1, v[91:92]
	s_add_u32 s0, s99, s0
	s_addc_u32 s1, s100, s1
	v_mov_b32_e32 v246, v242
	v_dual_mov_b32 v236, v221 :: v_dual_mov_b32 v229, v220
	v_dual_mov_b32 v227, v244 :: v_dual_mov_b32 v224, v219
	v_mov_b32_e32 v248, v241
	v_mov_b32_e32 v226, v239
	v_dual_mov_b32 v244, v218 :: v_dual_mov_b32 v241, v217
	v_mov_b32_e32 v239, v216
	s_waitcnt vmcnt(6)
	v_cmp_eq_u32_e64 s3, 1, v253
	s_waitcnt vmcnt(0)
	v_lshlrev_b32_e32 v58, 1, v58
	s_delay_alu instid0(VALU_DEP_1) | instskip(NEXT) | instid1(VALU_DEP_1)
	v_add_co_u32 v64, s0, s0, v58
	v_add_co_ci_u32_e64 v65, null, s1, 0, s0
	v_lshlrev_b64 v[58:59], 1, v[82:83]
	s_delay_alu instid0(VALU_DEP_3) | instskip(NEXT) | instid1(VALU_DEP_3)
	v_add_co_u32 v56, vcc_lo, v64, v56
	v_add_co_ci_u32_e32 v57, vcc_lo, v65, v57, vcc_lo
	s_mul_hi_i32 s1, s12, s2
	s_delay_alu instid0(VALU_DEP_3) | instskip(NEXT) | instid1(VALU_DEP_4)
	v_add_co_u32 v58, vcc_lo, v64, v58
	v_add_co_ci_u32_e32 v59, vcc_lo, v65, v59, vcc_lo
	v_add_co_u32 v60, vcc_lo, v64, v60
	v_add_co_ci_u32_e32 v61, vcc_lo, v65, v61, vcc_lo
	;; [unrolled: 2-line block ×3, first 2 shown]
	s_clause 0x3
	global_load_b32 v56, v[56:57], off
	global_load_b32 v57, v[58:59], off
	;; [unrolled: 1-line block ×4, first 2 shown]
	v_add_nc_u32_e32 v60, v120, v81
	v_mov_b32_e32 v242, v240
	s_mul_i32 s0, s12, s2
	v_mov_b32_e32 v240, v238
	s_lshl_b64 s[0:1], s[0:1], 2
	v_add_nc_u32_e32 v61, 0x3c00, v60
	s_add_u32 s0, s97, s0
	s_addc_u32 s1, s98, s1
	s_waitcnt vmcnt(2)
	ds_store_2addr_b32 v61, v56, v57 offset1:144
	v_add_nc_u32_e32 v56, 0x4000, v60
	s_waitcnt vmcnt(0)
	ds_store_2addr_b32 v56, v58, v59 offset0:32 offset1:176
	v_add_co_u32 v56, vcc_lo, s0, v66
	v_add_co_ci_u32_e32 v57, vcc_lo, s1, v67, vcc_lo
	s_delay_alu instid0(VALU_DEP_2) | instskip(NEXT) | instid1(VALU_DEP_2)
	v_add_co_u32 v56, vcc_lo, v56, v175
	v_add_co_ci_u32_e32 v57, vcc_lo, 0, v57, vcc_lo
	v_add_co_u32 v58, vcc_lo, s0, v68
	v_add_co_ci_u32_e32 v59, vcc_lo, s1, v69, vcc_lo
	s_delay_alu instid0(VALU_DEP_2) | instskip(NEXT) | instid1(VALU_DEP_2)
	v_add_co_u32 v60, vcc_lo, v58, v180
	v_add_co_ci_u32_e32 v61, vcc_lo, 0, v59, vcc_lo
	s_clause 0x1
	global_load_b128 v[56:59], v[56:57], off offset:192
	global_load_b128 v[60:63], v[60:61], off offset:128
	s_waitcnt vmcnt(1)
	ds_store_b128 v231, v[56:59]
	v_add_co_u32 v56, vcc_lo, s0, v70
	v_add_co_ci_u32_e32 v57, vcc_lo, s1, v71, vcc_lo
	s_delay_alu instid0(VALU_DEP_2) | instskip(NEXT) | instid1(VALU_DEP_2)
	v_add_co_u32 v56, vcc_lo, v56, v180
	v_add_co_ci_u32_e32 v57, vcc_lo, 0, v57, vcc_lo
	v_add_co_u32 v58, vcc_lo, s0, v72
	v_add_co_ci_u32_e32 v59, vcc_lo, s1, v73, vcc_lo
	s_delay_alu instid0(VALU_DEP_2) | instskip(NEXT) | instid1(VALU_DEP_2)
	v_add_co_u32 v64, vcc_lo, v58, v194
	v_add_co_ci_u32_e32 v65, vcc_lo, 0, v59, vcc_lo
	s_clause 0x1
	global_load_b128 v[56:59], v[56:57], off offset:128
	global_load_b128 v[64:67], v[64:65], off
	s_waitcnt vmcnt(2)
	ds_store_b128 v168, v[60:63]
	s_waitcnt vmcnt(1)
	ds_store_b128 v169, v[56:59]
	v_add_co_u32 v56, vcc_lo, s0, v74
	v_add_co_ci_u32_e32 v57, vcc_lo, s1, v75, vcc_lo
	s_delay_alu instid0(VALU_DEP_2) | instskip(NEXT) | instid1(VALU_DEP_2)
	v_add_co_u32 v56, vcc_lo, v56, v194
	v_add_co_ci_u32_e32 v57, vcc_lo, 0, v57, vcc_lo
	v_add_co_u32 v58, vcc_lo, s0, v76
	v_add_co_ci_u32_e32 v59, vcc_lo, s1, v77, vcc_lo
	s_delay_alu instid0(VALU_DEP_2) | instskip(NEXT) | instid1(VALU_DEP_2)
	v_add_co_u32 v60, vcc_lo, v58, v194
	v_add_co_ci_u32_e32 v61, vcc_lo, 0, v59, vcc_lo
	s_clause 0x1
	global_load_b128 v[56:59], v[56:57], off
	global_load_b128 v[60:63], v[60:61], off
	s_waitcnt vmcnt(2)
	ds_store_b128 v172, v[64:67]
	s_waitcnt vmcnt(1)
	ds_store_b128 v174, v[56:59]
	v_add_co_u32 v56, vcc_lo, s0, v78
	v_add_co_ci_u32_e32 v57, vcc_lo, s1, v79, vcc_lo
	s_mul_hi_i32 s1, s10, s2
	s_delay_alu instid0(VALU_DEP_2) | instskip(NEXT) | instid1(VALU_DEP_2)
	v_add_co_u32 v56, vcc_lo, v56, v194
	v_add_co_ci_u32_e32 v57, vcc_lo, 0, v57, vcc_lo
	v_cmp_lt_i32_e32 vcc_lo, v90, v96
	s_mul_i32 s0, s10, s2
	v_cmp_eq_u32_e64 s2, 0, v253
	global_load_b128 v[56:59], v[56:57], off
	s_lshl_b64 s[0:1], s[0:1], 2
	s_waitcnt vmcnt(1)
	ds_store_b128 v196, v[60:63]
	s_waitcnt vmcnt(0)
	ds_store_b128 v197, v[56:59]
	s_waitcnt lgkmcnt(0)
	s_waitcnt_vscnt null, 0x0
	s_barrier
	buffer_gl0_inv
	ds_load_b128 v[112:115], v233
	ds_load_b128 v[116:119], v233 offset:16
	ds_load_b128 v[120:123], v233 offset:3840
	;; [unrolled: 1-line block ×7, first 2 shown]
	s_clause 0x1
	scratch_load_b128 v[215:218], off, off offset:368
	scratch_load_b128 v[219:222], off, off offset:384
	v_dual_mov_b32 v63, s43 :: v_dual_mov_b32 v62, s42
	v_dual_mov_b32 v61, s41 :: v_dual_mov_b32 v60, s40
	v_dual_mov_b32 v59, s39 :: v_dual_mov_b32 v58, s38
	v_dual_mov_b32 v57, s37 :: v_dual_mov_b32 v56, s36
	s_add_u32 s0, s95, s0
	s_addc_u32 s1, s96, s1
	s_cmp_eq_u64 s[72:73], 0
	s_waitcnt vmcnt(0) lgkmcnt(6)
	v_wmma_f32_16x16x16_f16 v[64:71], v[112:119], v[215:222], v[56:63]
	s_waitcnt lgkmcnt(4)
	v_wmma_f32_16x16x16_f16 v[72:79], v[120:127], v[215:222], v[56:63]
	s_waitcnt lgkmcnt(2)
	;; [unrolled: 2-line block ×3, first 2 shown]
	v_wmma_f32_16x16x16_f16 v[112:119], v[136:143], v[215:222], v[56:63]
	ds_load_b128 v[56:59], v233 offset:32
	ds_load_b128 v[60:63], v233 offset:48
	s_clause 0x1
	scratch_load_b128 v[120:123], off, off offset:336
	scratch_load_b128 v[124:127], off, off offset:352
	v_dual_mov_b32 v135, v99 :: v_dual_mov_b32 v134, v94
	s_waitcnt vmcnt(0) lgkmcnt(0)
	v_wmma_f32_16x16x16_f16 v[64:71], v[56:63], v[120:127], v[64:71]
	ds_load_b128 v[56:59], v233 offset:3872
	ds_load_b128 v[60:63], v233 offset:3888
	s_waitcnt lgkmcnt(0)
	v_wmma_f32_16x16x16_f16 v[72:79], v[56:63], v[120:127], v[72:79]
	ds_load_b128 v[56:59], v233 offset:7712
	ds_load_b128 v[60:63], v233 offset:7728
	s_waitcnt lgkmcnt(0)
	;; [unrolled: 4-line block ×3, first 2 shown]
	v_wmma_f32_16x16x16_f16 v[112:119], v[56:63], v[120:127], v[112:119]
	ds_load_b128 v[56:59], v233 offset:64
	ds_load_b128 v[60:63], v233 offset:80
	s_clause 0x1
	scratch_load_b128 v[120:123], off, off offset:304
	scratch_load_b128 v[124:127], off, off offset:320
	s_waitcnt vmcnt(0) lgkmcnt(0)
	v_wmma_f32_16x16x16_f16 v[64:71], v[56:63], v[120:127], v[64:71]
	ds_load_b128 v[56:59], v233 offset:3904
	ds_load_b128 v[60:63], v233 offset:3920
	s_waitcnt lgkmcnt(0)
	v_wmma_f32_16x16x16_f16 v[72:79], v[56:63], v[120:127], v[72:79]
	ds_load_b128 v[56:59], v233 offset:7744
	ds_load_b128 v[60:63], v233 offset:7760
	s_waitcnt lgkmcnt(0)
	;; [unrolled: 4-line block ×19, first 2 shown]
	s_barrier
	buffer_gl0_inv
	v_wmma_f32_16x16x16_f16 v[112:119], v[56:63], v[207:214], v[112:119]
	s_clause 0x1
	scratch_load_b32 v56, off, off offset:976
	scratch_load_b32 v57, off, off offset:980
	s_waitcnt vmcnt(0)
	v_add_nc_u32_e32 v57, v57, v56
	ds_load_u16 v56, v57 offset:15360
	ds_load_u16 v58, v57 offset:15364
	;; [unrolled: 1-line block ×8, first 2 shown]
	s_waitcnt lgkmcnt(7)
	v_cvt_f32_f16_e32 v56, v56
	s_waitcnt lgkmcnt(6)
	v_cvt_f32_f16_e32 v58, v58
	;; [unrolled: 2-line block ×8, first 2 shown]
	v_dual_add_f32 v56, v64, v56 :: v_dual_add_f32 v89, v65, v58
	v_dual_add_f32 v58, v66, v59 :: v_dual_add_f32 v59, v67, v60
	;; [unrolled: 1-line block ×3, first 2 shown]
	s_delay_alu instid0(VALU_DEP_4)
	v_dual_add_f32 v62, v70, v63 :: v_dual_add_f32 v63, v71, v88
	ds_load_u16 v64, v57 offset:15392
	ds_load_u16 v65, v57 offset:15396
	;; [unrolled: 1-line block ×8, first 2 shown]
	s_waitcnt lgkmcnt(7)
	v_cvt_f32_f16_e32 v64, v64
	s_waitcnt lgkmcnt(6)
	v_cvt_f32_f16_e32 v65, v65
	s_waitcnt lgkmcnt(5)
	v_cvt_f32_f16_e32 v66, v66
	s_waitcnt lgkmcnt(4)
	v_cvt_f32_f16_e32 v67, v67
	s_waitcnt lgkmcnt(3)
	v_cvt_f32_f16_e32 v68, v68
	s_waitcnt lgkmcnt(2)
	v_cvt_f32_f16_e32 v69, v69
	s_waitcnt lgkmcnt(1)
	v_cvt_f32_f16_e32 v70, v70
	s_waitcnt lgkmcnt(0)
	v_cvt_f32_f16_e32 v71, v71
	v_add_f32_e32 v128, v72, v64
	v_dual_add_f32 v132, v73, v65 :: v_dual_add_f32 v127, v74, v66
	v_dual_add_f32 v126, v75, v67 :: v_dual_add_f32 v125, v76, v68
	;; [unrolled: 1-line block ×3, first 2 shown]
	v_add_f32_e32 v122, v79, v71
	ds_load_u16 v64, v57 offset:15424
	ds_load_u16 v65, v57 offset:15428
	;; [unrolled: 1-line block ×8, first 2 shown]
	s_waitcnt lgkmcnt(7)
	v_cvt_f32_f16_e32 v64, v64
	s_waitcnt lgkmcnt(6)
	v_cvt_f32_f16_e32 v65, v65
	;; [unrolled: 2-line block ×7, first 2 shown]
	v_dual_add_f32 v176, v80, v64 :: v_dual_add_f32 v177, v81, v65
	v_add_f32_e32 v173, v82, v66
	v_dual_add_f32 v171, v83, v67 :: v_dual_add_f32 v170, v84, v68
	s_delay_alu instid0(VALU_DEP_4)
	v_dual_add_f32 v167, v85, v69 :: v_dual_add_f32 v154, v86, v70
	ds_load_u16 v64, v57 offset:15456
	ds_load_u16 v65, v57 offset:15460
	;; [unrolled: 1-line block ×8, first 2 shown]
	s_waitcnt lgkmcnt(8)
	v_cvt_f32_f16_e32 v71, v71
	v_mov_b32_e32 v84, v103
	s_delay_alu instid0(VALU_DEP_2)
	v_add_f32_e32 v153, v87, v71
	s_waitcnt lgkmcnt(7)
	v_cvt_f32_f16_e32 v64, v64
	s_waitcnt lgkmcnt(6)
	v_cvt_f32_f16_e32 v65, v65
	;; [unrolled: 2-line block ×5, first 2 shown]
	v_dual_add_f32 v165, v112, v64 :: v_dual_add_f32 v64, 0x40051340, v89
	s_waitcnt lgkmcnt(0)
	v_cvt_f32_f16_e32 v57, v57
	v_cvt_f32_f16_e32 v69, v69
	v_dual_add_f32 v166, v113, v65 :: v_dual_add_f32 v65, 0x40051340, v59
	s_delay_alu instid0(VALU_DEP_3) | instskip(SKIP_1) | instid1(VALU_DEP_4)
	v_dual_add_f32 v164, v114, v66 :: v_dual_add_f32 v155, v119, v57
	v_add_f32_e32 v57, 0x40051340, v56
	v_add_f32_e32 v157, v117, v69
	v_cvt_f32_f16_e32 v70, v70
	v_dual_add_f32 v158, v116, v68 :: v_dual_add_f32 v159, v115, v67
	s_delay_alu instid0(VALU_DEP_4) | instskip(SKIP_1) | instid1(VALU_DEP_4)
	v_max3_f32 v57, v247, v57, v64
	v_add_f32_e32 v64, 0x40051340, v58
	v_add_f32_e32 v156, v118, v70
	s_delay_alu instid0(VALU_DEP_2) | instskip(SKIP_1) | instid1(VALU_DEP_1)
	v_max3_f32 v57, v57, v64, v65
	v_dual_add_f32 v64, 0x40051340, v60 :: v_dual_add_f32 v65, 0x40051340, v61
	v_max3_f32 v57, v57, v64, v65
	v_dual_add_f32 v64, 0x40051340, v62 :: v_dual_add_f32 v65, 0x40051340, v63
	s_delay_alu instid0(VALU_DEP_1) | instskip(SKIP_2) | instid1(VALU_DEP_1)
	v_max3_f32 v57, v57, v64, v65
	v_add_f32_e32 v64, 0x40051340, v128
	v_add_f32_e32 v65, 0x40051340, v132
	v_max3_f32 v57, v57, v64, v65
	v_dual_add_f32 v64, 0x40051340, v127 :: v_dual_add_f32 v65, 0x40051340, v126
	s_delay_alu instid0(VALU_DEP_1) | instskip(SKIP_1) | instid1(VALU_DEP_1)
	v_max3_f32 v57, v57, v64, v65
	v_dual_add_f32 v64, 0x40051340, v125 :: v_dual_add_f32 v65, 0x40051340, v124
	v_max3_f32 v57, v57, v64, v65
	v_dual_add_f32 v64, 0x40051340, v123 :: v_dual_add_f32 v65, 0x40051340, v122
	s_delay_alu instid0(VALU_DEP_1) | instskip(SKIP_1) | instid1(VALU_DEP_1)
	v_max3_f32 v57, v57, v64, v65
	v_dual_add_f32 v64, 0x40051340, v176 :: v_dual_add_f32 v65, 0x40051340, v177
	;; [unrolled: 5-line block ×5, first 2 shown]
	v_max3_f32 v57, v57, v64, v65
	v_dual_add_f32 v64, 0x40051340, v156 :: v_dual_add_f32 v65, 0x40051340, v155
	s_delay_alu instid0(VALU_DEP_1) | instskip(SKIP_3) | instid1(VALU_DEP_1)
	v_max3_f32 v57, v57, v64, v65
	scratch_load_b32 v64, off, off offset:904 ; 4-byte Folded Reload
	s_waitcnt vmcnt(0)
	v_cndmask_b32_e32 v64, v64, v90, vcc_lo
	v_lshlrev_b32_e32 v162, 2, v64
	ds_bpermute_b32 v64, v162, v57
	s_waitcnt lgkmcnt(0)
	v_max_f32_e32 v64, v64, v64
	s_delay_alu instid0(VALU_DEP_1) | instskip(NEXT) | instid1(VALU_DEP_1)
	v_max_f32_e32 v161, v57, v64
	v_sub_f32_e32 v57, v247, v161
	s_delay_alu instid0(VALU_DEP_1)
	v_mul_f32_e32 v64, 0x3fb8aa3b, v57
	v_cmp_ngt_f32_e32 vcc_lo, 0xc2ce8ed0, v57
	v_sub_f32_e32 v56, v56, v161
	v_sub_f32_e32 v58, v58, v161
	;; [unrolled: 1-line block ×3, first 2 shown]
	v_fma_f32 v65, 0x3fb8aa3b, v57, -v64
	v_rndne_f32_e32 v66, v64
	v_sub_f32_e32 v60, v60, v161
	v_cmp_ngt_f32_e64 s4, 0xc2ce8ed0, v58
	v_sub_f32_e32 v61, v61, v161
	s_delay_alu instid0(VALU_DEP_4) | instskip(SKIP_2) | instid1(VALU_DEP_3)
	v_dual_fmac_f32 v65, 0x32a5705f, v57 :: v_dual_sub_f32 v64, v64, v66
	v_sub_f32_e32 v62, v62, v161
	v_sub_f32_e32 v63, v63, v161
	v_add_f32_e32 v64, v64, v65
	v_cvt_i32_f32_e32 v65, v66
	s_delay_alu instid0(VALU_DEP_2) | instskip(SKIP_2) | instid1(VALU_DEP_1)
	v_exp_f32_e32 v64, v64
	s_waitcnt_depctr 0xfff
	v_ldexp_f32 v64, v64, v65
	v_cndmask_b32_e32 v64, 0, v64, vcc_lo
	v_cmp_nlt_f32_e32 vcc_lo, 0x42b17218, v57
	s_delay_alu instid0(VALU_DEP_2) | instskip(SKIP_1) | instid1(VALU_DEP_2)
	v_cndmask_b32_e32 v64, 0x7f800000, v64, vcc_lo
	v_cmp_le_f32_e32 vcc_lo, 0xc1a00000, v57
	v_cndmask_b32_e32 v163, 0, v64, vcc_lo
	v_add_co_u32 v57, vcc_lo, s0, v178
	v_add_co_ci_u32_e32 v65, vcc_lo, s1, v179, vcc_lo
	s_delay_alu instid0(VALU_DEP_2) | instskip(NEXT) | instid1(VALU_DEP_2)
	v_add_co_u32 v64, vcc_lo, v57, v175
	v_add_co_ci_u32_e32 v65, vcc_lo, 0, v65, vcc_lo
	v_add_co_u32 v57, vcc_lo, s0, v182
	v_add_co_ci_u32_e32 v66, vcc_lo, s1, v183, vcc_lo
	s_delay_alu instid0(VALU_DEP_2) | instskip(NEXT) | instid1(VALU_DEP_2)
	v_add_co_u32 v68, vcc_lo, v57, v180
	v_add_co_ci_u32_e32 v69, vcc_lo, 0, v66, vcc_lo
	s_clause 0x1
	global_load_b128 v[64:67], v[64:65], off offset:192
	global_load_b128 v[68:71], v[68:69], off offset:128
	v_add_co_u32 v57, vcc_lo, s0, v184
	s_waitcnt vmcnt(1)
	ds_store_b128 v231, v[64:67]
	v_add_co_ci_u32_e32 v65, vcc_lo, s1, v185, vcc_lo
	v_add_co_u32 v64, vcc_lo, v57, v180
	s_delay_alu instid0(VALU_DEP_2) | instskip(SKIP_2) | instid1(VALU_DEP_2)
	v_add_co_ci_u32_e32 v65, vcc_lo, 0, v65, vcc_lo
	v_add_co_u32 v57, vcc_lo, s0, v186
	v_add_co_ci_u32_e32 v66, vcc_lo, s1, v187, vcc_lo
	v_add_co_u32 v72, vcc_lo, v57, v194
	s_delay_alu instid0(VALU_DEP_2)
	v_add_co_ci_u32_e32 v73, vcc_lo, 0, v66, vcc_lo
	s_clause 0x1
	global_load_b128 v[64:67], v[64:65], off offset:128
	global_load_b128 v[72:75], v[72:73], off
	v_add_co_u32 v57, vcc_lo, s0, v188
	s_waitcnt vmcnt(2)
	ds_store_b128 v168, v[68:71]
	s_waitcnt vmcnt(1)
	ds_store_b128 v169, v[64:67]
	v_add_co_ci_u32_e32 v65, vcc_lo, s1, v189, vcc_lo
	v_add_co_u32 v64, vcc_lo, v57, v194
	s_delay_alu instid0(VALU_DEP_2) | instskip(SKIP_2) | instid1(VALU_DEP_2)
	v_add_co_ci_u32_e32 v65, vcc_lo, 0, v65, vcc_lo
	v_add_co_u32 v57, vcc_lo, s0, v190
	v_add_co_ci_u32_e32 v66, vcc_lo, s1, v191, vcc_lo
	v_add_co_u32 v68, vcc_lo, v57, v194
	s_delay_alu instid0(VALU_DEP_2)
	v_add_co_ci_u32_e32 v69, vcc_lo, 0, v66, vcc_lo
	s_clause 0x1
	global_load_b128 v[64:67], v[64:65], off
	global_load_b128 v[68:71], v[68:69], off
	v_add_co_u32 v57, vcc_lo, s0, v192
	s_waitcnt vmcnt(2)
	ds_store_b128 v172, v[72:75]
	s_waitcnt vmcnt(1)
	ds_store_b128 v174, v[64:67]
	v_add_co_ci_u32_e32 v65, vcc_lo, s1, v193, vcc_lo
	v_add_co_u32 v64, vcc_lo, v57, v194
	v_sub_f32_e32 v57, v89, v161
	s_delay_alu instid0(VALU_DEP_3) | instskip(SKIP_1) | instid1(VALU_DEP_3)
	v_add_co_ci_u32_e32 v65, vcc_lo, 0, v65, vcc_lo
	v_cmp_ngt_f32_e64 s1, 0xc2ce8ed0, v56
	v_cmp_ngt_f32_e32 vcc_lo, 0xc2ce8ed0, v57
	global_load_b128 v[64:67], v[64:65], off
	s_waitcnt vmcnt(1)
	ds_store_b128 v196, v[68:71]
	s_waitcnt vmcnt(0)
	ds_store_b128 v197, v[64:67]
	v_dual_mul_f32 v64, 0x3fb8aa3b, v57 :: v_dual_mul_f32 v25, v25, v163
	v_mul_f32_e32 v50, v50, v163
	v_mul_f32_e32 v41, v41, v163
	;; [unrolled: 1-line block ×3, first 2 shown]
	s_delay_alu instid0(VALU_DEP_4) | instskip(SKIP_4) | instid1(VALU_DEP_4)
	v_fma_f32 v65, 0x3fb8aa3b, v57, -v64
	v_rndne_f32_e32 v66, v64
	v_mul_f32_e32 v48, v48, v163
	v_mul_f32_e32 v37, v37, v163
	;; [unrolled: 1-line block ×3, first 2 shown]
	v_dual_fmac_f32 v65, 0x32a5705f, v57 :: v_dual_sub_f32 v64, v64, v66
	v_mul_f32_e32 v39, v39, v163
	v_cvt_i32_f32_e32 v66, v66
	v_mul_f32_e32 v44, v44, v163
	s_delay_alu instid0(VALU_DEP_4) | instskip(SKIP_3) | instid1(VALU_DEP_4)
	v_dual_mul_f32 v11, v11, v163 :: v_dual_add_f32 v64, v64, v65
	v_dual_mul_f32 v65, 0x3fb8aa3b, v56 :: v_dual_mul_f32 v32, v32, v163
	v_mul_f32_e32 v38, v38, v163
	v_mul_f32_e32 v24, v24, v163
	v_exp_f32_e32 v64, v64
	s_delay_alu instid0(VALU_DEP_3)
	v_fma_f32 v67, 0x3fb8aa3b, v56, -v65
	v_rndne_f32_e32 v68, v65
	v_mul_f32_e32 v52, v52, v163
	v_mul_f32_e32 v54, v54, v163
	;; [unrolled: 1-line block ×3, first 2 shown]
	v_fmac_f32_e32 v67, 0x32a5705f, v56
	v_dual_sub_f32 v65, v65, v68 :: v_dual_mul_f32 v30, v30, v163
	v_mul_f32_e32 v20, v20, v163
	s_delay_alu instid0(TRANS32_DEP_1) | instskip(SKIP_1) | instid1(VALU_DEP_4)
	v_ldexp_f32 v64, v64, v66
	v_cvt_i32_f32_e32 v66, v68
	v_add_f32_e32 v65, v65, v67
	v_mul_f32_e32 v27, v27, v163
	s_waitcnt lgkmcnt(0)
	v_cndmask_b32_e32 v64, 0, v64, vcc_lo
	v_cmp_nlt_f32_e32 vcc_lo, 0x42b17218, v57
	v_exp_f32_e32 v65, v65
	v_mul_f32_e32 v40, v40, v163
	s_barrier
	buffer_gl0_inv
	v_cndmask_b32_e32 v169, 0x7f800000, v64, vcc_lo
	v_cmp_eq_u32_e32 vcc_lo, 1, v195
	v_mul_f32_e32 v8, v8, v163
	v_mul_f32_e32 v7, v7, v163
	;; [unrolled: 1-line block ×3, first 2 shown]
	ds_bpermute_b32 v64, v162, v169
	v_ldexp_f32 v65, v65, v66
	v_mul_f32_e32 v51, v51, v163
	v_mul_f32_e32 v53, v53, v163
	;; [unrolled: 1-line block ×4, first 2 shown]
	v_cndmask_b32_e64 v57, 0, v65, s1
	v_cmp_nlt_f32_e64 s1, 0x42b17218, v56
	v_mul_f32_e32 v45, v45, v163
	v_mul_f32_e32 v47, v47, v163
	;; [unrolled: 1-line block ×4, first 2 shown]
	v_cndmask_b32_e64 v168, 0x7f800000, v57, s1
	v_cmp_eq_u32_e64 s1, 0, v195
	v_mul_f32_e32 v10, v10, v163
	v_mul_f32_e32 v12, v12, v163
	;; [unrolled: 1-line block ×3, first 2 shown]
	ds_bpermute_b32 v56, v162, v168
	v_mul_f32_e32 v29, v29, v163
	v_mul_f32_e32 v0, v0, v163
	;; [unrolled: 1-line block ×5, first 2 shown]
	s_waitcnt lgkmcnt(0)
	v_cndmask_b32_e64 v57, v168, v56, s1
	v_cndmask_b32_e32 v56, v168, v56, vcc_lo
	s_delay_alu instid0(VALU_DEP_2) | instskip(NEXT) | instid1(VALU_DEP_2)
	v_cndmask_b32_e64 v65, v57, v169, s2
	v_cndmask_b32_e64 v66, v56, v169, s3
	v_mul_f32_e32 v31, v31, v163
	v_cvt_f16_f32_e32 v57, v57
	v_cvt_f16_f32_e32 v56, v56
	v_cndmask_b32_e64 v65, v65, v64, s1
	v_cndmask_b32_e32 v64, v66, v64, vcc_lo
	s_delay_alu instid0(VALU_DEP_3) | instskip(NEXT) | instid1(VALU_DEP_3)
	v_pack_b32_f16 v56, v57, v56
	v_cvt_f16_f32_e32 v66, v65
	s_delay_alu instid0(VALU_DEP_3) | instskip(NEXT) | instid1(VALU_DEP_1)
	v_cvt_f16_f32_e32 v67, v64
	v_pack_b32_f16 v57, v66, v67
	v_mul_f32_e32 v66, 0x3fb8aa3b, v58
	s_delay_alu instid0(VALU_DEP_1) | instskip(SKIP_3) | instid1(VALU_DEP_3)
	v_fma_f32 v67, 0x3fb8aa3b, v58, -v66
	v_rndne_f32_e32 v68, v66
	v_mul_f32_e32 v42, v42, v163
	v_mul_f32_e32 v21, v21, v163
	v_dual_fmac_f32 v67, 0x32a5705f, v58 :: v_dual_sub_f32 v66, v66, v68
	s_delay_alu instid0(VALU_DEP_1) | instskip(SKIP_1) | instid1(VALU_DEP_2)
	v_add_f32_e32 v66, v66, v67
	v_cvt_i32_f32_e32 v67, v68
	v_exp_f32_e32 v66, v66
	s_waitcnt_depctr 0xfff
	v_ldexp_f32 v66, v66, v67
	s_delay_alu instid0(VALU_DEP_1) | instskip(SKIP_1) | instid1(VALU_DEP_1)
	v_cndmask_b32_e64 v66, 0, v66, s4
	v_cmp_nlt_f32_e64 s4, 0x42b17218, v58
	v_cndmask_b32_e64 v172, 0x7f800000, v66, s4
	v_cmp_ngt_f32_e64 s4, 0xc2ce8ed0, v59
	s_delay_alu instid0(VALU_DEP_2) | instskip(SKIP_3) | instid1(VALU_DEP_1)
	v_cndmask_b32_e64 v58, v65, v172, s2
	ds_bpermute_b32 v65, v162, v172
	v_cndmask_b32_e64 v64, v64, v172, s3
	s_waitcnt lgkmcnt(0)
	v_dual_mul_f32 v23, v23, v163 :: v_dual_cndmask_b32 v64, v64, v65
	v_cndmask_b32_e64 v66, v58, v65, s1
	s_delay_alu instid0(VALU_DEP_2) | instskip(NEXT) | instid1(VALU_DEP_2)
	v_cvt_f16_f32_e32 v65, v64
	v_cvt_f16_f32_e32 v58, v66
	s_delay_alu instid0(VALU_DEP_1) | instskip(SKIP_1) | instid1(VALU_DEP_1)
	v_pack_b32_f16 v58, v58, v65
	v_mul_f32_e32 v65, 0x3fb8aa3b, v59
	v_fma_f32 v67, 0x3fb8aa3b, v59, -v65
	v_rndne_f32_e32 v68, v65
	v_mul_f32_e32 v46, v46, v163
	s_delay_alu instid0(VALU_DEP_3) | instskip(NEXT) | instid1(VALU_DEP_3)
	v_fmac_f32_e32 v67, 0x32a5705f, v59
	v_sub_f32_e32 v65, v65, v68
	s_delay_alu instid0(VALU_DEP_1) | instskip(SKIP_1) | instid1(VALU_DEP_2)
	v_add_f32_e32 v65, v65, v67
	v_cvt_i32_f32_e32 v67, v68
	v_exp_f32_e32 v65, v65
	s_waitcnt_depctr 0xfff
	v_ldexp_f32 v65, v65, v67
	s_delay_alu instid0(VALU_DEP_1) | instskip(SKIP_1) | instid1(VALU_DEP_1)
	v_cndmask_b32_e64 v65, 0, v65, s4
	v_cmp_nlt_f32_e64 s4, 0x42b17218, v59
	v_cndmask_b32_e64 v174, 0x7f800000, v65, s4
	v_cmp_ngt_f32_e64 s4, 0xc2ce8ed0, v60
	ds_bpermute_b32 v65, v162, v174
	v_cndmask_b32_e64 v59, v66, v174, s2
	v_cndmask_b32_e64 v64, v64, v174, s3
	s_waitcnt lgkmcnt(0)
	s_delay_alu instid0(VALU_DEP_1) | instskip(NEXT) | instid1(VALU_DEP_3)
	v_dual_mul_f32 v9, v9, v163 :: v_dual_cndmask_b32 v64, v64, v65
	v_cndmask_b32_e64 v66, v59, v65, s1
	s_delay_alu instid0(VALU_DEP_2) | instskip(NEXT) | instid1(VALU_DEP_2)
	v_cvt_f16_f32_e32 v65, v64
	v_cvt_f16_f32_e32 v59, v66
	s_delay_alu instid0(VALU_DEP_1) | instskip(SKIP_1) | instid1(VALU_DEP_1)
	v_pack_b32_f16 v59, v59, v65
	v_mul_f32_e32 v65, 0x3fb8aa3b, v60
	v_fma_f32 v67, 0x3fb8aa3b, v60, -v65
	v_rndne_f32_e32 v68, v65
	v_mul_f32_e32 v34, v34, v163
	s_delay_alu instid0(VALU_DEP_3) | instskip(NEXT) | instid1(VALU_DEP_3)
	v_dual_mul_f32 v36, v36, v163 :: v_dual_fmac_f32 v67, 0x32a5705f, v60
	v_sub_f32_e32 v65, v65, v68
	s_delay_alu instid0(VALU_DEP_1) | instskip(SKIP_1) | instid1(VALU_DEP_2)
	v_add_f32_e32 v65, v65, v67
	v_cvt_i32_f32_e32 v67, v68
	v_exp_f32_e32 v65, v65
	s_waitcnt_depctr 0xfff
	v_ldexp_f32 v65, v65, v67
	s_delay_alu instid0(VALU_DEP_1) | instskip(SKIP_1) | instid1(VALU_DEP_1)
	v_cndmask_b32_e64 v65, 0, v65, s4
	v_cmp_nlt_f32_e64 s4, 0x42b17218, v60
	v_cndmask_b32_e64 v175, 0x7f800000, v65, s4
	v_cmp_ngt_f32_e64 s4, 0xc2ce8ed0, v61
	ds_bpermute_b32 v65, v162, v175
	v_cndmask_b32_e64 v60, v66, v175, s2
	v_cndmask_b32_e64 v64, v64, v175, s3
	s_waitcnt lgkmcnt(0)
	s_delay_alu instid0(VALU_DEP_1) | instskip(NEXT) | instid1(VALU_DEP_3)
	v_dual_mul_f32 v13, v13, v163 :: v_dual_cndmask_b32 v64, v64, v65
	v_cndmask_b32_e64 v66, v60, v65, s1
	s_delay_alu instid0(VALU_DEP_2) | instskip(NEXT) | instid1(VALU_DEP_2)
	v_cvt_f16_f32_e32 v65, v64
	v_cvt_f16_f32_e32 v60, v66
	s_delay_alu instid0(VALU_DEP_1) | instskip(SKIP_1) | instid1(VALU_DEP_1)
	v_pack_b32_f16 v60, v60, v65
	v_mul_f32_e32 v65, 0x3fb8aa3b, v61
	v_fma_f32 v67, 0x3fb8aa3b, v61, -v65
	v_rndne_f32_e32 v68, v65
	v_mul_f32_e32 v26, v26, v163
	s_delay_alu instid0(VALU_DEP_3) | instskip(NEXT) | instid1(VALU_DEP_3)
	v_dual_mul_f32 v28, v28, v163 :: v_dual_fmac_f32 v67, 0x32a5705f, v61
	v_sub_f32_e32 v65, v65, v68
	s_delay_alu instid0(VALU_DEP_1) | instskip(SKIP_1) | instid1(VALU_DEP_2)
	v_add_f32_e32 v65, v65, v67
	v_cvt_i32_f32_e32 v67, v68
	v_exp_f32_e32 v65, v65
	s_waitcnt_depctr 0xfff
	v_ldexp_f32 v65, v65, v67
	s_delay_alu instid0(VALU_DEP_1) | instskip(SKIP_1) | instid1(VALU_DEP_1)
	v_cndmask_b32_e64 v65, 0, v65, s4
	v_cmp_nlt_f32_e64 s4, 0x42b17218, v61
	v_cndmask_b32_e64 v178, 0x7f800000, v65, s4
	v_cmp_ngt_f32_e64 s4, 0xc2ce8ed0, v62
	ds_bpermute_b32 v65, v162, v178
	v_cndmask_b32_e64 v61, v66, v178, s2
	v_cndmask_b32_e64 v64, v64, v178, s3
	s_waitcnt lgkmcnt(0)
	s_delay_alu instid0(VALU_DEP_1) | instskip(NEXT) | instid1(VALU_DEP_3)
	v_dual_mul_f32 v15, v15, v163 :: v_dual_cndmask_b32 v64, v64, v65
	v_cndmask_b32_e64 v66, v61, v65, s1
	s_delay_alu instid0(VALU_DEP_2) | instskip(NEXT) | instid1(VALU_DEP_2)
	v_cvt_f16_f32_e32 v65, v64
	v_cvt_f16_f32_e32 v61, v66
	s_delay_alu instid0(VALU_DEP_1) | instskip(SKIP_1) | instid1(VALU_DEP_1)
	v_pack_b32_f16 v61, v61, v65
	v_mul_f32_e32 v65, 0x3fb8aa3b, v62
	v_fma_f32 v67, 0x3fb8aa3b, v62, -v65
	v_rndne_f32_e32 v68, v65
	v_mul_f32_e32 v16, v16, v163
	s_delay_alu instid0(VALU_DEP_3) | instskip(NEXT) | instid1(VALU_DEP_3)
	v_dual_mul_f32 v18, v18, v163 :: v_dual_fmac_f32 v67, 0x32a5705f, v62
	v_sub_f32_e32 v65, v65, v68
	s_delay_alu instid0(VALU_DEP_1) | instskip(SKIP_1) | instid1(VALU_DEP_2)
	v_add_f32_e32 v65, v65, v67
	v_cvt_i32_f32_e32 v67, v68
	v_exp_f32_e32 v65, v65
	s_waitcnt_depctr 0xfff
	v_ldexp_f32 v65, v65, v67
	s_delay_alu instid0(VALU_DEP_1) | instskip(SKIP_1) | instid1(VALU_DEP_1)
	v_cndmask_b32_e64 v65, 0, v65, s4
	v_cmp_nlt_f32_e64 s4, 0x42b17218, v62
	v_cndmask_b32_e64 v179, 0x7f800000, v65, s4
	v_cmp_ngt_f32_e64 s4, 0xc2ce8ed0, v63
	ds_bpermute_b32 v65, v162, v179
	v_cndmask_b32_e64 v62, v66, v179, s2
	v_cndmask_b32_e64 v64, v64, v179, s3
	s_waitcnt lgkmcnt(0)
	s_delay_alu instid0(VALU_DEP_1) | instskip(NEXT) | instid1(VALU_DEP_3)
	v_dual_mul_f32 v3, v3, v163 :: v_dual_cndmask_b32 v64, v64, v65
	v_cndmask_b32_e64 v66, v62, v65, s1
	s_delay_alu instid0(VALU_DEP_2) | instskip(NEXT) | instid1(VALU_DEP_2)
	v_cvt_f16_f32_e32 v65, v64
	v_cvt_f16_f32_e32 v62, v66
	s_delay_alu instid0(VALU_DEP_1) | instskip(SKIP_1) | instid1(VALU_DEP_1)
	v_pack_b32_f16 v62, v62, v65
	v_mul_f32_e32 v65, 0x3fb8aa3b, v63
	v_fma_f32 v67, 0x3fb8aa3b, v63, -v65
	v_rndne_f32_e32 v68, v65
	v_mul_f32_e32 v22, v22, v163
	s_delay_alu instid0(VALU_DEP_3) | instskip(NEXT) | instid1(VALU_DEP_3)
	v_fmac_f32_e32 v67, 0x32a5705f, v63
	v_sub_f32_e32 v65, v65, v68
	s_delay_alu instid0(VALU_DEP_1) | instskip(SKIP_1) | instid1(VALU_DEP_2)
	v_add_f32_e32 v65, v65, v67
	v_cvt_i32_f32_e32 v67, v68
	v_exp_f32_e32 v65, v65
	s_waitcnt_depctr 0xfff
	v_ldexp_f32 v65, v65, v67
	s_delay_alu instid0(VALU_DEP_1) | instskip(SKIP_1) | instid1(VALU_DEP_1)
	v_cndmask_b32_e64 v65, 0, v65, s4
	v_cmp_nlt_f32_e64 s4, 0x42b17218, v63
	v_cndmask_b32_e64 v180, 0x7f800000, v65, s4
	ds_bpermute_b32 v65, v162, v180
	v_cndmask_b32_e64 v63, v66, v180, s2
	v_cndmask_b32_e64 v64, v64, v180, s3
	s_waitcnt lgkmcnt(0)
	s_delay_alu instid0(VALU_DEP_1) | instskip(NEXT) | instid1(VALU_DEP_3)
	v_dual_mul_f32 v5, v5, v163 :: v_dual_cndmask_b32 v64, v64, v65
	v_cndmask_b32_e64 v63, v63, v65, s1
	s_delay_alu instid0(VALU_DEP_2) | instskip(NEXT) | instid1(VALU_DEP_2)
	v_cvt_f16_f32_e32 v64, v64
	v_cvt_f16_f32_e32 v63, v63
	s_delay_alu instid0(VALU_DEP_1)
	v_pack_b32_f16 v63, v63, v64
	ds_load_u16 v64, v235
	ds_load_u16 v65, v235 offset:480
	ds_load_u16 v70, v235 offset:2880
	;; [unrolled: 1-line block ×14, first 2 shown]
	s_waitcnt lgkmcnt(14)
	ds_load_u16_d16_hi v64, v235 offset:240
	ds_load_u16 v75, v250 offset:1440
	s_waitcnt lgkmcnt(15)
	ds_load_u16_d16_hi v65, v235 offset:720
	ds_load_u16 v76, v250 offset:1920
	ds_load_u16 v121, v237 offset:480
	;; [unrolled: 1-line block ×3, first 2 shown]
	s_waitcnt lgkmcnt(16)
	ds_load_u16_d16_hi v78, v235 offset:3152
	ds_load_u16 v87, v103 offset:3360
	ds_load_u16 v129, v99 offset:480
	;; [unrolled: 1-line block ×5, first 2 shown]
	s_waitcnt lgkmcnt(19)
	ds_load_u16_d16_hi v85, v235 offset:2832
	ds_load_u16_d16_hi v70, v235 offset:3120
	;; [unrolled: 1-line block ×3, first 2 shown]
	s_waitcnt lgkmcnt(21)
	ds_load_u16_d16_hi v86, v235 offset:3312
	ds_load_u16_d16_hi v71, v235 offset:3600
	ds_load_u16 v73, v250 offset:480
	ds_load_u16 v66, v235 offset:960
	ds_load_u16_d16_hi v74, v235 offset:1232
	ds_load_u16 v67, v235 offset:1440
	s_waitcnt lgkmcnt(19)
	ds_load_u16_d16_hi v75, v235 offset:1712
	ds_load_u16 v68, v235 offset:1920
	s_waitcnt lgkmcnt(19)
	;; [unrolled: 3-line block ×3, first 2 shown]
	ds_load_u16_d16_hi v77, v235 offset:2672
	ds_load_u16 v115, v198 offset:1440
	ds_load_u16 v116, v198 offset:1920
	;; [unrolled: 1-line block ×34, first 2 shown]
	scratch_load_b32 v251, off, off         ; 4-byte Folded Reload
	s_waitcnt vmcnt(0)
	ds_load_u16 v152, v251 offset:3360
	s_waitcnt lgkmcnt(19)
	ds_load_u16_d16_hi v81, v235 offset:912
	ds_load_u16_d16_hi v66, v235 offset:1200
	;; [unrolled: 1-line block ×4, first 2 shown]
	s_waitcnt lgkmcnt(22)
	ds_load_u16_d16_hi v98, v235 offset:1328
	s_waitcnt lgkmcnt(20)
	ds_load_u16_d16_hi v90, v235 offset:1360
	;; [unrolled: 2-line block ×3, first 2 shown]
	ds_load_u16_d16_hi v67, v235 offset:1680
	ds_load_u16_d16_hi v115, v235 offset:1744
	;; [unrolled: 1-line block ×4, first 2 shown]
	s_waitcnt lgkmcnt(19)
	ds_load_u16_d16_hi v91, v235 offset:1840
	ds_load_u16_d16_hi v83, v235 offset:1872
	;; [unrolled: 1-line block ×6, first 2 shown]
	s_waitcnt lgkmcnt(24)
	ds_load_u16_d16_hi v92, v235 offset:2320
	s_waitcnt lgkmcnt(19)
	ds_load_u16_d16_hi v84, v235 offset:2352
	scratch_load_b32 v136, off, off offset:684 ; 4-byte Folded Reload
	s_waitcnt vmcnt(0)
	ds_load_u16 v184, v136 offset:1440
	ds_load_u16 v185, v136 offset:1920
	;; [unrolled: 1-line block ×6, first 2 shown]
	ds_load_u16_d16_hi v69, v235 offset:2640
	ds_load_u16_d16_hi v117, v235 offset:2704
	;; [unrolled: 1-line block ×15, first 2 shown]
	ds_load_u16 v120, v235 offset:3872
	ds_load_u16_d16_hi v119, v235 offset:3664
	ds_load_u16_d16_hi v111, v235 offset:3696
	ds_load_u16_d16_hi v103, v235 offset:3728
	ds_load_u16_d16_hi v95, v235 offset:3760
	ds_load_u16_d16_hi v87, v235 offset:3792
	ds_load_u16 v195, v235 offset:3840
	s_waitcnt lgkmcnt(21)
	v_wmma_f32_16x16x16_f16 v[48:55], v[64:71], v[56:63], v[48:55]
	ds_load_u16_d16_hi v73, v235 offset:752
	ds_load_u16 v160, v232 offset:3360
	ds_load_u16_d16_hi v113, v235 offset:784
	ds_load_u16_d16_hi v105, v235 offset:816
	ds_load_u16 v64, v252 offset:3360
	ds_load_u16_d16_hi v97, v235 offset:848
	ds_load_u16_d16_hi v89, v235 offset:880
	scratch_load_b32 v247, off, off offset:292 ; 4-byte Folded Reload
	s_waitcnt lgkmcnt(6)
	v_wmma_f32_16x16x16_f16 v[40:47], v[72:79], v[56:63], v[40:47]
	s_waitcnt lgkmcnt(4)
	v_wmma_f32_16x16x16_f16 v[32:39], v[112:119], v[56:63], v[32:39]
	;; [unrolled: 2-line block ×3, first 2 shown]
	v_wmma_f32_16x16x16_f16 v[0:7], v[80:87], v[56:63], v[0:7]
	s_waitcnt lgkmcnt(1)
	v_wmma_f32_16x16x16_f16 v[16:23], v[96:103], v[56:63], v[16:23]
	s_waitcnt lgkmcnt(0)
	v_wmma_f32_16x16x16_f16 v[8:15], v[88:95], v[56:63], v[8:15]
	v_sub_f32_e32 v56, v132, v161
	s_waitcnt vmcnt(0)
	ds_load_u16 v199, v247 offset:1920
	ds_load_u16 v201, v247 offset:2880
	;; [unrolled: 1-line block ×11, first 2 shown]
	v_mul_f32_e32 v57, 0x3fb8aa3b, v56
	v_cmp_ngt_f32_e64 s4, 0xc2ce8ed0, v56
	s_delay_alu instid0(VALU_DEP_2) | instskip(SKIP_1) | instid1(VALU_DEP_1)
	v_fma_f32 v58, 0x3fb8aa3b, v56, -v57
	v_rndne_f32_e32 v59, v57
	v_dual_fmac_f32 v58, 0x32a5705f, v56 :: v_dual_sub_f32 v57, v57, v59
	v_cvt_i32_f32_e32 v59, v59
	s_delay_alu instid0(VALU_DEP_2) | instskip(NEXT) | instid1(VALU_DEP_1)
	v_dual_add_f32 v57, v57, v58 :: v_dual_sub_f32 v58, v128, v161
	v_exp_f32_e32 v57, v57
	s_delay_alu instid0(VALU_DEP_1) | instskip(SKIP_1) | instid1(VALU_DEP_2)
	v_mul_f32_e32 v60, 0x3fb8aa3b, v58
	v_cmp_ngt_f32_e64 s5, 0xc2ce8ed0, v58
	v_fma_f32 v61, 0x3fb8aa3b, v58, -v60
	v_rndne_f32_e32 v62, v60
	s_waitcnt_depctr 0xfff
	v_ldexp_f32 v57, v57, v59
	v_fmac_f32_e32 v61, 0x32a5705f, v58
	v_sub_f32_e32 v60, v60, v62
	s_delay_alu instid0(VALU_DEP_3) | instskip(SKIP_1) | instid1(VALU_DEP_3)
	v_cndmask_b32_e64 v57, 0, v57, s4
	v_cmp_nlt_f32_e64 s4, 0x42b17218, v56
	v_add_f32_e32 v60, v60, v61
	s_delay_alu instid0(VALU_DEP_2) | instskip(NEXT) | instid1(VALU_DEP_2)
	v_cndmask_b32_e64 v73, 0x7f800000, v57, s4
	v_exp_f32_e32 v59, v60
	v_cvt_i32_f32_e32 v60, v62
	s_waitcnt_depctr 0xfff
	v_ldexp_f32 v59, v59, v60
	s_delay_alu instid0(VALU_DEP_1)
	v_cndmask_b32_e64 v56, 0, v59, s5
	v_cmp_nlt_f32_e64 s5, 0x42b17218, v58
	ds_bpermute_b32 v59, v162, v73
	v_cndmask_b32_e64 v56, 0x7f800000, v56, s5
	ds_bpermute_b32 v57, v162, v56
	s_waitcnt lgkmcnt(0)
	v_cndmask_b32_e32 v58, v56, v57, vcc_lo
	v_cndmask_b32_e64 v57, v56, v57, s1
	s_delay_alu instid0(VALU_DEP_2) | instskip(NEXT) | instid1(VALU_DEP_2)
	v_cndmask_b32_e64 v61, v58, v73, s3
	v_cndmask_b32_e64 v60, v57, v73, s2
	v_cvt_f16_f32_e32 v57, v57
	v_cvt_f16_f32_e32 v58, v58
	s_delay_alu instid0(VALU_DEP_3) | instskip(SKIP_1) | instid1(VALU_DEP_3)
	v_cndmask_b32_e64 v60, v60, v59, s1
	v_cndmask_b32_e32 v59, v61, v59, vcc_lo
	v_pack_b32_f16 v80, v57, v58
	v_sub_f32_e32 v57, v127, v161
	s_delay_alu instid0(VALU_DEP_4) | instskip(NEXT) | instid1(VALU_DEP_4)
	v_cvt_f16_f32_e32 v61, v60
	v_cvt_f16_f32_e32 v62, v59
	s_delay_alu instid0(VALU_DEP_3) | instskip(SKIP_1) | instid1(VALU_DEP_3)
	v_mul_f32_e32 v58, 0x3fb8aa3b, v57
	v_cmp_ngt_f32_e64 s4, 0xc2ce8ed0, v57
	v_pack_b32_f16 v81, v61, v62
	s_delay_alu instid0(VALU_DEP_3) | instskip(SKIP_1) | instid1(VALU_DEP_1)
	v_fma_f32 v61, 0x3fb8aa3b, v57, -v58
	v_rndne_f32_e32 v62, v58
	v_dual_fmac_f32 v61, 0x32a5705f, v57 :: v_dual_sub_f32 v58, v58, v62
	s_delay_alu instid0(VALU_DEP_1) | instskip(SKIP_1) | instid1(VALU_DEP_2)
	v_add_f32_e32 v58, v58, v61
	v_cvt_i32_f32_e32 v61, v62
	v_exp_f32_e32 v58, v58
	s_waitcnt_depctr 0xfff
	v_ldexp_f32 v58, v58, v61
	s_delay_alu instid0(VALU_DEP_1) | instskip(SKIP_1) | instid1(VALU_DEP_1)
	v_cndmask_b32_e64 v58, 0, v58, s4
	v_cmp_nlt_f32_e64 s4, 0x42b17218, v57
	v_cndmask_b32_e64 v74, 0x7f800000, v58, s4
	s_delay_alu instid0(VALU_DEP_1) | instskip(SKIP_3) | instid1(VALU_DEP_1)
	v_cndmask_b32_e64 v57, v59, v74, s3
	ds_bpermute_b32 v59, v162, v74
	v_cndmask_b32_e64 v58, v60, v74, s2
	s_waitcnt lgkmcnt(0)
	v_cndmask_b32_e64 v58, v58, v59, s1
	v_cndmask_b32_e32 v57, v57, v59, vcc_lo
	s_delay_alu instid0(VALU_DEP_2) | instskip(NEXT) | instid1(VALU_DEP_2)
	v_cvt_f16_f32_e32 v59, v58
	v_cvt_f16_f32_e32 v60, v57
	s_delay_alu instid0(VALU_DEP_1) | instskip(SKIP_1) | instid1(VALU_DEP_1)
	v_pack_b32_f16 v82, v59, v60
	v_sub_f32_e32 v59, v126, v161
	v_mul_f32_e32 v60, 0x3fb8aa3b, v59
	v_cmp_ngt_f32_e64 s4, 0xc2ce8ed0, v59
	s_delay_alu instid0(VALU_DEP_2) | instskip(SKIP_1) | instid1(VALU_DEP_1)
	v_fma_f32 v61, 0x3fb8aa3b, v59, -v60
	v_rndne_f32_e32 v62, v60
	v_dual_fmac_f32 v61, 0x32a5705f, v59 :: v_dual_sub_f32 v60, v60, v62
	s_delay_alu instid0(VALU_DEP_1) | instskip(SKIP_1) | instid1(VALU_DEP_2)
	v_add_f32_e32 v60, v60, v61
	v_cvt_i32_f32_e32 v61, v62
	v_exp_f32_e32 v60, v60
	s_waitcnt_depctr 0xfff
	v_ldexp_f32 v60, v60, v61
	s_delay_alu instid0(VALU_DEP_1) | instskip(SKIP_1) | instid1(VALU_DEP_1)
	v_cndmask_b32_e64 v60, 0, v60, s4
	v_cmp_nlt_f32_e64 s4, 0x42b17218, v59
	v_cndmask_b32_e64 v75, 0x7f800000, v60, s4
	ds_bpermute_b32 v59, v162, v75
	v_cndmask_b32_e64 v57, v57, v75, s3
	v_cndmask_b32_e64 v58, v58, v75, s2
	s_waitcnt lgkmcnt(0)
	s_delay_alu instid0(VALU_DEP_1) | instskip(NEXT) | instid1(VALU_DEP_3)
	v_cndmask_b32_e64 v58, v58, v59, s1
	v_cndmask_b32_e32 v57, v57, v59, vcc_lo
	s_delay_alu instid0(VALU_DEP_2) | instskip(NEXT) | instid1(VALU_DEP_2)
	v_cvt_f16_f32_e32 v59, v58
	v_cvt_f16_f32_e32 v60, v57
	s_delay_alu instid0(VALU_DEP_1) | instskip(SKIP_1) | instid1(VALU_DEP_1)
	v_pack_b32_f16 v83, v59, v60
	v_sub_f32_e32 v59, v125, v161
	v_mul_f32_e32 v60, 0x3fb8aa3b, v59
	v_cmp_ngt_f32_e64 s4, 0xc2ce8ed0, v59
	s_delay_alu instid0(VALU_DEP_2) | instskip(SKIP_1) | instid1(VALU_DEP_1)
	v_fma_f32 v61, 0x3fb8aa3b, v59, -v60
	v_rndne_f32_e32 v62, v60
	v_dual_fmac_f32 v61, 0x32a5705f, v59 :: v_dual_sub_f32 v60, v60, v62
	s_delay_alu instid0(VALU_DEP_1) | instskip(SKIP_1) | instid1(VALU_DEP_2)
	v_add_f32_e32 v60, v60, v61
	v_cvt_i32_f32_e32 v61, v62
	v_exp_f32_e32 v60, v60
	s_waitcnt_depctr 0xfff
	v_ldexp_f32 v60, v60, v61
	s_delay_alu instid0(VALU_DEP_1) | instskip(SKIP_1) | instid1(VALU_DEP_1)
	v_cndmask_b32_e64 v60, 0, v60, s4
	v_cmp_nlt_f32_e64 s4, 0x42b17218, v59
	v_cndmask_b32_e64 v76, 0x7f800000, v60, s4
	ds_bpermute_b32 v59, v162, v76
	v_cndmask_b32_e64 v57, v57, v76, s3
	v_cndmask_b32_e64 v58, v58, v76, s2
	s_waitcnt lgkmcnt(0)
	s_delay_alu instid0(VALU_DEP_1) | instskip(NEXT) | instid1(VALU_DEP_3)
	v_cndmask_b32_e64 v58, v58, v59, s1
	v_cndmask_b32_e32 v57, v57, v59, vcc_lo
	s_delay_alu instid0(VALU_DEP_2) | instskip(NEXT) | instid1(VALU_DEP_2)
	v_cvt_f16_f32_e32 v59, v58
	v_cvt_f16_f32_e32 v60, v57
	s_delay_alu instid0(VALU_DEP_1) | instskip(SKIP_1) | instid1(VALU_DEP_1)
	v_pack_b32_f16 v84, v59, v60
	v_sub_f32_e32 v59, v124, v161
	v_mul_f32_e32 v60, 0x3fb8aa3b, v59
	v_cmp_ngt_f32_e64 s4, 0xc2ce8ed0, v59
	s_delay_alu instid0(VALU_DEP_2) | instskip(SKIP_1) | instid1(VALU_DEP_1)
	v_fma_f32 v61, 0x3fb8aa3b, v59, -v60
	v_rndne_f32_e32 v62, v60
	v_dual_fmac_f32 v61, 0x32a5705f, v59 :: v_dual_sub_f32 v60, v60, v62
	s_delay_alu instid0(VALU_DEP_1) | instskip(SKIP_1) | instid1(VALU_DEP_2)
	v_add_f32_e32 v60, v60, v61
	v_cvt_i32_f32_e32 v61, v62
	v_exp_f32_e32 v60, v60
	s_waitcnt_depctr 0xfff
	v_ldexp_f32 v60, v60, v61
	s_delay_alu instid0(VALU_DEP_1) | instskip(SKIP_1) | instid1(VALU_DEP_1)
	v_cndmask_b32_e64 v60, 0, v60, s4
	v_cmp_nlt_f32_e64 s4, 0x42b17218, v59
	v_cndmask_b32_e64 v77, 0x7f800000, v60, s4
	ds_bpermute_b32 v59, v162, v77
	v_cndmask_b32_e64 v58, v58, v77, s2
	v_cndmask_b32_e64 v57, v57, v77, s3
	s_waitcnt lgkmcnt(0)
	s_delay_alu instid0(VALU_DEP_2) | instskip(NEXT) | instid1(VALU_DEP_2)
	v_cndmask_b32_e64 v58, v58, v59, s1
	v_cndmask_b32_e32 v57, v57, v59, vcc_lo
	s_delay_alu instid0(VALU_DEP_2) | instskip(NEXT) | instid1(VALU_DEP_2)
	v_cvt_f16_f32_e32 v59, v58
	v_cvt_f16_f32_e32 v60, v57
	s_delay_alu instid0(VALU_DEP_1) | instskip(SKIP_1) | instid1(VALU_DEP_1)
	v_pack_b32_f16 v85, v59, v60
	v_sub_f32_e32 v59, v123, v161
	v_mul_f32_e32 v60, 0x3fb8aa3b, v59
	v_cmp_ngt_f32_e64 s4, 0xc2ce8ed0, v59
	s_delay_alu instid0(VALU_DEP_2) | instskip(SKIP_1) | instid1(VALU_DEP_1)
	v_fma_f32 v61, 0x3fb8aa3b, v59, -v60
	v_rndne_f32_e32 v62, v60
	v_dual_fmac_f32 v61, 0x32a5705f, v59 :: v_dual_sub_f32 v60, v60, v62
	s_delay_alu instid0(VALU_DEP_1) | instskip(SKIP_1) | instid1(VALU_DEP_2)
	v_add_f32_e32 v60, v60, v61
	v_cvt_i32_f32_e32 v61, v62
	v_exp_f32_e32 v60, v60
	s_waitcnt_depctr 0xfff
	v_ldexp_f32 v60, v60, v61
	s_delay_alu instid0(VALU_DEP_1) | instskip(SKIP_1) | instid1(VALU_DEP_1)
	v_cndmask_b32_e64 v60, 0, v60, s4
	v_cmp_nlt_f32_e64 s4, 0x42b17218, v59
	v_cndmask_b32_e64 v78, 0x7f800000, v60, s4
	ds_bpermute_b32 v59, v162, v78
	v_cndmask_b32_e64 v58, v58, v78, s2
	v_cndmask_b32_e64 v57, v57, v78, s3
	s_waitcnt lgkmcnt(0)
	s_delay_alu instid0(VALU_DEP_2) | instskip(NEXT) | instid1(VALU_DEP_2)
	v_cndmask_b32_e64 v58, v58, v59, s1
	v_cndmask_b32_e32 v57, v57, v59, vcc_lo
	s_delay_alu instid0(VALU_DEP_2) | instskip(NEXT) | instid1(VALU_DEP_2)
	v_cvt_f16_f32_e32 v59, v58
	v_cvt_f16_f32_e32 v60, v57
	s_delay_alu instid0(VALU_DEP_1)
	v_pack_b32_f16 v86, v59, v60
	v_sub_f32_e32 v59, v122, v161
	ds_load_u16_d16_hi v199, v235 offset:6000
	ds_load_u16 v92, v144 offset:1920
	ds_load_u16 v93, v144 offset:2400
	;; [unrolled: 1-line block ×6, first 2 shown]
	ds_load_u16_d16_hi v201, v235 offset:6960
	ds_load_u16_d16_hi v195, v235 offset:4080
	ds_load_u16 v127, v237 offset:3360
	ds_load_u16 v122, v237 offset:960
	;; [unrolled: 1-line block ×8, first 2 shown]
	scratch_load_b32 v238, off, off offset:708 ; 4-byte Folded Reload
	s_waitcnt vmcnt(0)
	ds_load_u16 v72, v238 offset:3360
	ds_load_u16 v71, v238 offset:2880
	s_waitcnt lgkmcnt(1)
	ds_load_u16_d16_hi v72, v235 offset:15312
	ds_load_u16_d16_hi v196, v235 offset:4560
	;; [unrolled: 1-line block ×5, first 2 shown]
	ds_load_u16 v139, v134 offset:1440
	ds_load_u16 v147, v146 offset:1440
	ds_load_u16 v141, v134 offset:2400
	ds_load_u16 v142, v134 offset:2880
	ds_load_u16 v143, v134 offset:3360
	scratch_load_b32 v66, off, off offset:696 ; 4-byte Folded Reload
	s_waitcnt vmcnt(0)
	ds_load_u16 v104, v66 offset:480
	ds_load_u16 v140, v134 offset:1920
	;; [unrolled: 1-line block ×3, first 2 shown]
	ds_load_u16_d16_hi v197, v235 offset:5040
	ds_load_u16_d16_hi v122, v235 offset:5072
	;; [unrolled: 1-line block ×5, first 2 shown]
	ds_load_u16 v150, v146 offset:2880
	ds_load_u16 v151, v146 offset:3360
	scratch_load_b32 v68, off, off offset:700 ; 4-byte Folded Reload
	s_waitcnt vmcnt(0)
	ds_load_u16 v112, v68 offset:480
	ds_load_u16 v148, v146 offset:1920
	;; [unrolled: 1-line block ×3, first 2 shown]
	ds_load_u16_d16_hi v198, v235 offset:5520
	ds_load_u16_d16_hi v123, v235 offset:5552
	;; [unrolled: 1-line block ×3, first 2 shown]
	s_waitcnt lgkmcnt(20)
	ds_load_u16_d16_hi v139, v235 offset:5616
	ds_load_u16_d16_hi v192, v235 offset:5648
	s_waitcnt lgkmcnt(21)
	ds_load_u16_d16_hi v147, v235 offset:5680
	ds_load_u16 v134, v135 offset:2880
	ds_load_u16_d16_hi v200, v235 offset:6480
	ds_load_u16_d16_hi v125, v235 offset:6512
	;; [unrolled: 1-line block ×3, first 2 shown]
	s_waitcnt lgkmcnt(25)
	ds_load_u16_d16_hi v141, v235 offset:6576
	ds_load_u16_d16_hi v194, v235 offset:6608
	s_waitcnt lgkmcnt(22)
	ds_load_u16_d16_hi v149, v235 offset:6640
	ds_load_u16 v128, v235 offset:4032
	ds_load_u16_d16_hi v129, v235 offset:4752
	ds_load_u16_d16_hi v130, v235 offset:5232
	;; [unrolled: 1-line block ×6, first 2 shown]
	s_waitcnt lgkmcnt(21)
	ds_load_u16_d16_hi v148, v235 offset:6160
	ds_load_u16_d16_hi v132, v235 offset:6192
	;; [unrolled: 1-line block ×4, first 2 shown]
	ds_load_u16 v135, v135 offset:3360
	scratch_load_b32 v69, off, off offset:704 ; 4-byte Folded Reload
	v_mul_f32_e32 v60, 0x3fb8aa3b, v59
	v_cmp_ngt_f32_e64 s4, 0xc2ce8ed0, v59
	s_waitcnt vmcnt(0)
	ds_load_u16 v203, v69 offset:480
	ds_load_u16 v206, v69 offset:1920
	;; [unrolled: 1-line block ×5, first 2 shown]
	s_waitcnt lgkmcnt(23)
	ds_load_u16_d16_hi v134, v235 offset:7152
	v_fma_f32 v61, 0x3fb8aa3b, v59, -v60
	v_rndne_f32_e32 v62, v60
	s_delay_alu instid0(VALU_DEP_1) | instskip(NEXT) | instid1(VALU_DEP_1)
	v_dual_fmac_f32 v61, 0x32a5705f, v59 :: v_dual_sub_f32 v60, v60, v62
	v_add_f32_e32 v60, v60, v61
	v_cvt_i32_f32_e32 v61, v62
	s_delay_alu instid0(VALU_DEP_2) | instskip(SKIP_2) | instid1(VALU_DEP_1)
	v_exp_f32_e32 v60, v60
	s_waitcnt_depctr 0xfff
	v_ldexp_f32 v60, v60, v61
	v_cndmask_b32_e64 v60, 0, v60, s4
	v_cmp_nlt_f32_e64 s4, 0x42b17218, v59
	s_delay_alu instid0(VALU_DEP_1) | instskip(SKIP_4) | instid1(VALU_DEP_2)
	v_cndmask_b32_e64 v79, 0x7f800000, v60, s4
	ds_bpermute_b32 v59, v162, v79
	v_cndmask_b32_e64 v58, v58, v79, s2
	v_cndmask_b32_e64 v57, v57, v79, s3
	s_waitcnt lgkmcnt(0)
	v_cndmask_b32_e64 v58, v58, v59, s1
	s_delay_alu instid0(VALU_DEP_2) | instskip(NEXT) | instid1(VALU_DEP_2)
	v_cndmask_b32_e32 v57, v57, v59, vcc_lo
	v_cvt_f16_f32_e32 v58, v58
	s_delay_alu instid0(VALU_DEP_2) | instskip(NEXT) | instid1(VALU_DEP_1)
	v_cvt_f16_f32_e32 v57, v57
	v_pack_b32_f16 v87, v58, v57
	v_sub_f32_e32 v57, v177, v161
	s_delay_alu instid0(VALU_DEP_2)
	v_wmma_f32_16x16x16_f16 v[48:55], v[195:202], v[80:87], v[48:55]
	ds_load_u16 v187, v136 offset:2880
	ds_load_u16 v195, v181 offset:2880
	ds_load_u16_d16_hi v121, v235 offset:4592
	ds_load_u16_d16_hi v126, v235 offset:6992
	ds_load_u16 v188, v136 offset:3360
	ds_load_u16 v196, v181 offset:3360
	scratch_load_b32 v65, off, off offset:688 ; 4-byte Folded Reload
	s_waitcnt vmcnt(0)
	ds_load_u16 v214, v65 offset:2400
	ds_load_u16 v215, v65 offset:2880
	;; [unrolled: 1-line block ×4, first 2 shown]
	scratch_load_b32 v67, off, off offset:244 ; 4-byte Folded Reload
	v_mul_f32_e32 v58, 0x3fb8aa3b, v57
	s_waitcnt vmcnt(0)
	ds_load_u16 v221, v67 offset:2400
	ds_load_u16 v222, v67 offset:2880
	;; [unrolled: 1-line block ×4, first 2 shown]
	s_waitcnt lgkmcnt(13)
	ds_load_u16_d16_hi v187, v235 offset:7024
	ds_load_u16_d16_hi v142, v235 offset:7056
	s_waitcnt lgkmcnt(14)
	ds_load_u16_d16_hi v195, v235 offset:7088
	ds_load_u16_d16_hi v150, v235 offset:7120
	;; [unrolled: 1-line block ×5, first 2 shown]
	v_fma_f32 v59, 0x3fb8aa3b, v57, -v58
	v_rndne_f32_e32 v60, v58
	ds_load_u16 v181, v235 offset:3904
	ds_load_u16 v136, v235 offset:3936
	;; [unrolled: 1-line block ×4, first 2 shown]
	s_waitcnt lgkmcnt(20)
	ds_load_u16_d16_hi v188, v235 offset:7504
	ds_load_u16_d16_hi v143, v235 offset:7536
	s_waitcnt lgkmcnt(5)
	ds_load_u16_d16_hi v181, v235 offset:4144
	s_waitcnt lgkmcnt(5)
	;; [unrolled: 2-line block ×4, first 2 shown]
	ds_load_u16_d16_hi v144, v235 offset:4240
	ds_load_u16_d16_hi v196, v235 offset:7568
	;; [unrolled: 1-line block ×4, first 2 shown]
	ds_load_u16 v88, v235 offset:7680
	ds_load_u16 v96, v235 offset:7712
	;; [unrolled: 1-line block ×3, first 2 shown]
	v_dual_fmac_f32 v59, 0x32a5705f, v57 :: v_dual_sub_f32 v58, v58, v60
	v_cvt_i32_f32_e32 v60, v60
	ds_load_u16_d16_hi v190, v235 offset:4688
	ds_load_u16_d16_hi v145, v235 offset:4720
	;; [unrolled: 1-line block ×3, first 2 shown]
	v_cmp_ngt_f32_e64 s4, 0xc2ce8ed0, v57
	v_dual_add_f32 v58, v58, v59 :: v_dual_sub_f32 v59, v176, v161
	v_wmma_f32_16x16x16_f16 v[40:47], v[120:127], v[80:87], v[40:47]
	s_waitcnt lgkmcnt(12)
	v_wmma_f32_16x16x16_f16 v[32:39], v[181:188], v[80:87], v[32:39]
	s_waitcnt lgkmcnt(11)
	v_wmma_f32_16x16x16_f16 v[24:31], v[136:143], v[80:87], v[24:31]
	v_mul_f32_e32 v61, 0x3fb8aa3b, v59
	v_cmp_ngt_f32_e64 s5, 0xc2ce8ed0, v59
	s_waitcnt lgkmcnt(6)
	v_wmma_f32_16x16x16_f16 v[0:7], v[128:135], v[80:87], v[0:7]
	s_delay_alu instid0(VALU_DEP_3) | instskip(SKIP_1) | instid1(VALU_DEP_2)
	v_fma_f32 v62, 0x3fb8aa3b, v59, -v61
	v_rndne_f32_e32 v63, v61
	v_fmac_f32_e32 v62, 0x32a5705f, v59
	s_delay_alu instid0(VALU_DEP_2)
	v_sub_f32_e32 v61, v61, v63
	s_waitcnt lgkmcnt(2)
	v_wmma_f32_16x16x16_f16 v[16:23], v[189:196], v[80:87], v[16:23]
	s_waitcnt lgkmcnt(0)
	v_wmma_f32_16x16x16_f16 v[8:15], v[144:151], v[80:87], v[8:15]
	scratch_load_b32 v144, off, off offset:984 ; 4-byte Folded Reload
	s_waitcnt vmcnt(0)
	ds_load_u16 v91, v144 offset:1440
	ds_load_u16 v211, v65 offset:960
	;; [unrolled: 1-line block ×12, first 2 shown]
	v_add_f32_e32 v61, v61, v62
	v_exp_f32_e32 v58, v58
	s_waitcnt_depctr 0xfff
	v_ldexp_f32 v58, v58, v60
	v_exp_f32_e32 v60, v61
	v_cvt_i32_f32_e32 v61, v63
	s_delay_alu instid0(VALU_DEP_2) | instskip(SKIP_4) | instid1(VALU_DEP_2)
	v_cndmask_b32_e64 v58, 0, v58, s4
	v_cmp_nlt_f32_e64 s4, 0x42b17218, v57
	s_waitcnt_depctr 0xfff
	v_ldexp_f32 v60, v60, v61
	v_cndmask_b32_e64 v81, 0x7f800000, v58, s4
	v_cndmask_b32_e64 v57, 0, v60, s5
	v_cmp_nlt_f32_e64 s5, 0x42b17218, v59
	ds_bpermute_b32 v59, v162, v81
	v_cndmask_b32_e64 v80, 0x7f800000, v57, s5
	ds_bpermute_b32 v57, v162, v80
	s_waitcnt lgkmcnt(0)
	v_cndmask_b32_e32 v58, v80, v57, vcc_lo
	v_cndmask_b32_e64 v57, v80, v57, s1
	s_delay_alu instid0(VALU_DEP_2) | instskip(NEXT) | instid1(VALU_DEP_2)
	v_cndmask_b32_e64 v61, v58, v81, s3
	v_cndmask_b32_e64 v60, v57, v81, s2
	v_cvt_f16_f32_e32 v57, v57
	v_cvt_f16_f32_e32 v58, v58
	s_delay_alu instid0(VALU_DEP_3) | instskip(NEXT) | instid1(VALU_DEP_2)
	v_cndmask_b32_e64 v60, v60, v59, s1
	v_pack_b32_f16 v119, v57, v58
	v_sub_f32_e32 v57, v173, v161
	v_cndmask_b32_e32 v59, v61, v59, vcc_lo
	s_delay_alu instid0(VALU_DEP_4) | instskip(NEXT) | instid1(VALU_DEP_3)
	v_cvt_f16_f32_e32 v61, v60
	v_mul_f32_e32 v58, 0x3fb8aa3b, v57
	s_delay_alu instid0(VALU_DEP_3) | instskip(SKIP_1) | instid1(VALU_DEP_2)
	v_cvt_f16_f32_e32 v62, v59
	v_cmp_ngt_f32_e64 s4, 0xc2ce8ed0, v57
	v_pack_b32_f16 v120, v61, v62
	s_delay_alu instid0(VALU_DEP_4) | instskip(SKIP_1) | instid1(VALU_DEP_1)
	v_fma_f32 v61, 0x3fb8aa3b, v57, -v58
	v_rndne_f32_e32 v62, v58
	v_dual_fmac_f32 v61, 0x32a5705f, v57 :: v_dual_sub_f32 v58, v58, v62
	s_delay_alu instid0(VALU_DEP_1) | instskip(SKIP_1) | instid1(VALU_DEP_2)
	v_add_f32_e32 v58, v58, v61
	v_cvt_i32_f32_e32 v61, v62
	v_exp_f32_e32 v58, v58
	s_waitcnt_depctr 0xfff
	v_ldexp_f32 v58, v58, v61
	s_delay_alu instid0(VALU_DEP_1) | instskip(SKIP_1) | instid1(VALU_DEP_1)
	v_cndmask_b32_e64 v58, 0, v58, s4
	v_cmp_nlt_f32_e64 s4, 0x42b17218, v57
	v_cndmask_b32_e64 v82, 0x7f800000, v58, s4
	s_delay_alu instid0(VALU_DEP_1) | instskip(SKIP_3) | instid1(VALU_DEP_1)
	v_cndmask_b32_e64 v58, v59, v82, s3
	ds_bpermute_b32 v59, v162, v82
	v_cndmask_b32_e64 v57, v60, v82, s2
	s_waitcnt lgkmcnt(0)
	v_cndmask_b32_e64 v57, v57, v59, s1
	v_cndmask_b32_e32 v58, v58, v59, vcc_lo
	s_delay_alu instid0(VALU_DEP_2) | instskip(NEXT) | instid1(VALU_DEP_2)
	v_cvt_f16_f32_e32 v59, v57
	v_cvt_f16_f32_e32 v60, v58
	s_delay_alu instid0(VALU_DEP_1) | instskip(SKIP_1) | instid1(VALU_DEP_1)
	v_pack_b32_f16 v121, v59, v60
	v_sub_f32_e32 v59, v171, v161
	v_mul_f32_e32 v60, 0x3fb8aa3b, v59
	v_cmp_ngt_f32_e64 s4, 0xc2ce8ed0, v59
	s_delay_alu instid0(VALU_DEP_2) | instskip(SKIP_1) | instid1(VALU_DEP_1)
	v_fma_f32 v61, 0x3fb8aa3b, v59, -v60
	v_rndne_f32_e32 v62, v60
	v_dual_fmac_f32 v61, 0x32a5705f, v59 :: v_dual_sub_f32 v60, v60, v62
	s_delay_alu instid0(VALU_DEP_1) | instskip(SKIP_1) | instid1(VALU_DEP_2)
	v_add_f32_e32 v60, v60, v61
	v_cvt_i32_f32_e32 v61, v62
	v_exp_f32_e32 v60, v60
	s_waitcnt_depctr 0xfff
	v_ldexp_f32 v60, v60, v61
	s_delay_alu instid0(VALU_DEP_1) | instskip(SKIP_1) | instid1(VALU_DEP_1)
	v_cndmask_b32_e64 v60, 0, v60, s4
	v_cmp_nlt_f32_e64 s4, 0x42b17218, v59
	v_cndmask_b32_e64 v135, 0x7f800000, v60, s4
	ds_bpermute_b32 v59, v162, v135
	v_cndmask_b32_e64 v57, v57, v135, s2
	v_cndmask_b32_e64 v58, v58, v135, s3
	s_waitcnt lgkmcnt(0)
	s_delay_alu instid0(VALU_DEP_2) | instskip(NEXT) | instid1(VALU_DEP_2)
	v_cndmask_b32_e64 v57, v57, v59, s1
	v_cndmask_b32_e32 v58, v58, v59, vcc_lo
	s_delay_alu instid0(VALU_DEP_2) | instskip(NEXT) | instid1(VALU_DEP_2)
	v_cvt_f16_f32_e32 v59, v57
	v_cvt_f16_f32_e32 v60, v58
	s_delay_alu instid0(VALU_DEP_1) | instskip(SKIP_1) | instid1(VALU_DEP_1)
	v_pack_b32_f16 v122, v59, v60
	v_sub_f32_e32 v59, v170, v161
	v_mul_f32_e32 v60, 0x3fb8aa3b, v59
	v_cmp_ngt_f32_e64 s4, 0xc2ce8ed0, v59
	s_delay_alu instid0(VALU_DEP_2) | instskip(SKIP_1) | instid1(VALU_DEP_1)
	v_fma_f32 v61, 0x3fb8aa3b, v59, -v60
	v_rndne_f32_e32 v62, v60
	v_dual_fmac_f32 v61, 0x32a5705f, v59 :: v_dual_sub_f32 v60, v60, v62
	s_delay_alu instid0(VALU_DEP_1) | instskip(SKIP_1) | instid1(VALU_DEP_2)
	v_add_f32_e32 v60, v60, v61
	v_cvt_i32_f32_e32 v61, v62
	v_exp_f32_e32 v60, v60
	s_waitcnt_depctr 0xfff
	v_ldexp_f32 v60, v60, v61
	s_delay_alu instid0(VALU_DEP_1) | instskip(SKIP_1) | instid1(VALU_DEP_1)
	v_cndmask_b32_e64 v60, 0, v60, s4
	v_cmp_nlt_f32_e64 s4, 0x42b17218, v59
	v_cndmask_b32_e64 v136, 0x7f800000, v60, s4
	ds_bpermute_b32 v59, v162, v136
	v_cndmask_b32_e64 v57, v57, v136, s2
	v_cndmask_b32_e64 v58, v58, v136, s3
	s_waitcnt lgkmcnt(0)
	s_delay_alu instid0(VALU_DEP_2) | instskip(NEXT) | instid1(VALU_DEP_2)
	;; [unrolled: 29-line block ×5, first 2 shown]
	v_cndmask_b32_e64 v57, v57, v59, s1
	v_cndmask_b32_e32 v58, v58, v59, vcc_lo
	v_sub_f32_e32 v59, v166, v161
	s_delay_alu instid0(VALU_DEP_3) | instskip(NEXT) | instid1(VALU_DEP_3)
	v_cvt_f16_f32_e32 v57, v57
	v_cvt_f16_f32_e32 v58, v58
	s_delay_alu instid0(VALU_DEP_3) | instskip(SKIP_1) | instid1(VALU_DEP_3)
	v_mul_f32_e32 v60, 0x3fb8aa3b, v59
	v_cmp_ngt_f32_e64 s4, 0xc2ce8ed0, v59
	v_pack_b32_f16 v126, v57, v58
	ds_load_u16_d16_hi v91, v235 offset:9360
	ds_load_u16_d16_hi v92, v235 offset:9840
	;; [unrolled: 1-line block ×3, first 2 shown]
	ds_load_u16 v154, v232 offset:480
	ds_load_u16 v101, v249 offset:2400
	;; [unrolled: 1-line block ×4, first 2 shown]
	ds_load_u16_d16_hi v88, v235 offset:7920
	ds_load_u16_d16_hi v96, v235 offset:7952
	;; [unrolled: 1-line block ×4, first 2 shown]
	ds_load_u16 v216, v65 offset:3360
	ds_load_u16 v130, v234 offset:1440
	;; [unrolled: 1-line block ×7, first 2 shown]
	ds_load_u16_d16_hi v95, v235 offset:11280
	ds_load_u16_d16_hi v103, v235 offset:11312
	;; [unrolled: 1-line block ×4, first 2 shown]
	ds_load_u16 v107, v66 offset:1920
	ds_load_u16 v108, v66 offset:2400
	;; [unrolled: 1-line block ×12, first 2 shown]
	scratch_load_b32 v85, off, off offset:692 ; 4-byte Folded Reload
	s_waitcnt vmcnt(0)
	ds_load_u16 v84, v85 offset:480
	s_waitcnt lgkmcnt(23)
	ds_load_u16_d16_hi v216, v235 offset:11344
	ds_load_u16_d16_hi v90, v235 offset:8880
	;; [unrolled: 1-line block ×9, first 2 shown]
	s_waitcnt lgkmcnt(21)
	ds_load_u16_d16_hi v107, v235 offset:9936
	ds_load_u16_d16_hi v220, v235 offset:9968
	s_waitcnt lgkmcnt(19)
	ds_load_u16_d16_hi v115, v235 offset:10000
	ds_load_u16 v202, v235 offset:7872
	ds_load_u16_d16_hi v203, v235 offset:8592
	ds_load_u16_d16_hi v99, v235 offset:9392
	;; [unrolled: 1-line block ×3, first 2 shown]
	s_waitcnt lgkmcnt(22)
	ds_load_u16_d16_hi v106, v235 offset:9456
	ds_load_u16_d16_hi v219, v235 offset:9488
	s_waitcnt lgkmcnt(19)
	ds_load_u16_d16_hi v114, v235 offset:9520
	ds_load_u16_d16_hi v205, v235 offset:9552
	ds_load_u16_d16_hi v204, v235 offset:9072
	ds_load_u16_d16_hi v206, v235 offset:10032
	ds_load_u16_d16_hi v207, v235 offset:10512
	ds_load_u16_d16_hi v208, v235 offset:10992
	ds_load_u16_d16_hi v97, v235 offset:8432
	ds_load_u16_d16_hi v101, v235 offset:10352
	ds_load_u16_d16_hi v214, v235 offset:10384
	ds_load_u16_d16_hi v108, v235 offset:10416
	ds_load_u16_d16_hi v221, v235 offset:10448
	ds_load_u16_d16_hi v116, v235 offset:10480
	ds_load_u16_d16_hi v210, v235 offset:8464
	ds_load_u16_d16_hi v104, v235 offset:8496
	ds_load_u16_d16_hi v217, v235 offset:8528
	s_waitcnt lgkmcnt(20)
	ds_load_u16_d16_hi v202, v235 offset:8112
	ds_load_u16_d16_hi v215, v235 offset:10864
	;; [unrolled: 1-line block ×5, first 2 shown]
	v_wmma_f32_16x16x16_f16 v[48:55], v[88:95], v[119:126], v[48:55]
	v_fma_f32 v61, 0x3fb8aa3b, v59, -v60
	v_rndne_f32_e32 v62, v60
	s_delay_alu instid0(VALU_DEP_1) | instskip(SKIP_3) | instid1(VALU_DEP_3)
	v_dual_fmac_f32 v61, 0x32a5705f, v59 :: v_dual_sub_f32 v60, v60, v62
	v_cvt_i32_f32_e32 v62, v62
	s_waitcnt lgkmcnt(12)
	v_wmma_f32_16x16x16_f16 v[40:47], v[96:103], v[119:126], v[40:47]
	v_add_f32_e32 v60, v60, v61
	v_sub_f32_e32 v61, v165, v161
	s_waitcnt lgkmcnt(3)
	v_wmma_f32_16x16x16_f16 v[32:39], v[209:216], v[119:126], v[32:39]
	ds_load_u16 v223, v67 offset:3360
	ds_load_u16 v103, v235 offset:7776
	;; [unrolled: 1-line block ×5, first 2 shown]
	ds_load_u16_d16_hi v110, v235 offset:11376
	scratch_load_b32 v92, off, off offset:252 ; 4-byte Folded Reload
	v_mul_f32_e32 v63, 0x3fb8aa3b, v61
	v_exp_f32_e32 v60, v60
	v_cmp_ngt_f32_e64 s5, 0xc2ce8ed0, v61
	s_waitcnt vmcnt(0)
	ds_load_u16 v91, v92 offset:480
	s_waitcnt lgkmcnt(6)
	ds_load_u16_d16_hi v223, v235 offset:11408
	s_waitcnt lgkmcnt(6)
	ds_load_u16_d16_hi v103, v235 offset:8016
	;; [unrolled: 2-line block ×4, first 2 shown]
	ds_load_u16 v68, v238 offset:1440
	ds_load_u16 v69, v238 offset:1920
	;; [unrolled: 1-line block ×4, first 2 shown]
	ds_load_u16_d16_hi v118, v235 offset:11440
	s_waitcnt lgkmcnt(11)
	ds_load_u16_d16_hi v209, v235 offset:11472
	ds_load_u16 v127, v235 offset:11520
	ds_load_u16 v153, v235 offset:11552
	;; [unrolled: 1-line block ×4, first 2 shown]
	v_fma_f32 v65, 0x3fb8aa3b, v61, -v63
	v_rndne_f32_e32 v67, v63
	v_ldexp_f32 v60, v60, v62
	ds_load_u16_d16_hi v112, v235 offset:8560
	v_fmac_f32_e32 v65, 0x32a5705f, v61
	v_sub_f32_e32 v63, v63, v67
	v_cndmask_b32_e64 v60, 0, v60, s4
	v_cmp_nlt_f32_e64 s4, 0x42b17218, v59
	s_waitcnt lgkmcnt(13)
	v_wmma_f32_16x16x16_f16 v[24:31], v[103:110], v[119:126], v[24:31]
	s_waitcnt lgkmcnt(12)
	v_wmma_f32_16x16x16_f16 v[16:23], v[216:223], v[119:126], v[16:23]
	v_add_f32_e32 v63, v63, v65
	v_cndmask_b32_e64 v107, 0x7f800000, v60, s4
	s_waitcnt lgkmcnt(5)
	v_wmma_f32_16x16x16_f16 v[0:7], v[202:209], v[119:126], v[0:7]
	s_delay_alu instid0(VALU_DEP_3)
	v_exp_f32_e32 v62, v63
	v_cvt_i32_f32_e32 v63, v67
	s_waitcnt lgkmcnt(0)
	v_wmma_f32_16x16x16_f16 v[8:15], v[111:118], v[119:126], v[8:15]
	s_waitcnt_depctr 0xfff
	v_ldexp_f32 v62, v62, v63
	s_delay_alu instid0(VALU_DEP_1)
	v_cndmask_b32_e64 v59, 0, v62, s5
	v_cmp_nlt_f32_e64 s5, 0x42b17218, v61
	ds_bpermute_b32 v61, v162, v107
	v_cndmask_b32_e64 v106, 0x7f800000, v59, s5
	ds_bpermute_b32 v59, v162, v106
	s_waitcnt lgkmcnt(0)
	v_cndmask_b32_e32 v60, v106, v59, vcc_lo
	v_cndmask_b32_e64 v59, v106, v59, s1
	s_delay_alu instid0(VALU_DEP_2) | instskip(NEXT) | instid1(VALU_DEP_2)
	v_cndmask_b32_e64 v63, v60, v107, s3
	v_cndmask_b32_e64 v62, v59, v107, s2
	v_cvt_f16_f32_e32 v59, v59
	v_cvt_f16_f32_e32 v60, v60
	s_delay_alu instid0(VALU_DEP_3) | instskip(SKIP_1) | instid1(VALU_DEP_3)
	v_cndmask_b32_e64 v62, v62, v61, s1
	v_cndmask_b32_e32 v61, v63, v61, vcc_lo
	v_pack_b32_f16 v98, v59, v60
	v_sub_f32_e32 v59, v164, v161
	s_delay_alu instid0(VALU_DEP_4) | instskip(NEXT) | instid1(VALU_DEP_4)
	v_cvt_f16_f32_e32 v63, v62
	v_cvt_f16_f32_e32 v65, v61
	s_delay_alu instid0(VALU_DEP_3) | instskip(SKIP_1) | instid1(VALU_DEP_3)
	v_mul_f32_e32 v60, 0x3fb8aa3b, v59
	v_cmp_ngt_f32_e64 s4, 0xc2ce8ed0, v59
	v_pack_b32_f16 v99, v63, v65
	s_delay_alu instid0(VALU_DEP_3) | instskip(SKIP_1) | instid1(VALU_DEP_1)
	v_fma_f32 v63, 0x3fb8aa3b, v59, -v60
	v_rndne_f32_e32 v65, v60
	v_dual_fmac_f32 v63, 0x32a5705f, v59 :: v_dual_sub_f32 v60, v60, v65
	s_delay_alu instid0(VALU_DEP_1) | instskip(SKIP_1) | instid1(VALU_DEP_2)
	v_add_f32_e32 v60, v60, v63
	v_cvt_i32_f32_e32 v63, v65
	v_exp_f32_e32 v60, v60
	s_waitcnt_depctr 0xfff
	v_ldexp_f32 v60, v60, v63
	s_delay_alu instid0(VALU_DEP_1) | instskip(SKIP_1) | instid1(VALU_DEP_1)
	v_cndmask_b32_e64 v60, 0, v60, s4
	v_cmp_nlt_f32_e64 s4, 0x42b17218, v59
	v_cndmask_b32_e64 v108, 0x7f800000, v60, s4
	s_delay_alu instid0(VALU_DEP_1) | instskip(SKIP_3) | instid1(VALU_DEP_1)
	v_cndmask_b32_e64 v60, v61, v108, s3
	ds_bpermute_b32 v61, v162, v108
	v_cndmask_b32_e64 v59, v62, v108, s2
	s_waitcnt lgkmcnt(0)
	v_cndmask_b32_e64 v59, v59, v61, s1
	v_cndmask_b32_e32 v60, v60, v61, vcc_lo
	s_delay_alu instid0(VALU_DEP_2) | instskip(NEXT) | instid1(VALU_DEP_2)
	v_cvt_f16_f32_e32 v61, v59
	v_cvt_f16_f32_e32 v62, v60
	s_delay_alu instid0(VALU_DEP_1) | instskip(SKIP_1) | instid1(VALU_DEP_1)
	v_pack_b32_f16 v100, v61, v62
	v_sub_f32_e32 v61, v159, v161
	v_mul_f32_e32 v62, 0x3fb8aa3b, v61
	v_cmp_ngt_f32_e64 s4, 0xc2ce8ed0, v61
	s_delay_alu instid0(VALU_DEP_2) | instskip(SKIP_1) | instid1(VALU_DEP_2)
	v_fma_f32 v63, 0x3fb8aa3b, v61, -v62
	v_rndne_f32_e32 v65, v62
	v_fmac_f32_e32 v63, 0x32a5705f, v61
	s_delay_alu instid0(VALU_DEP_2) | instskip(NEXT) | instid1(VALU_DEP_1)
	v_sub_f32_e32 v62, v62, v65
	v_add_f32_e32 v62, v62, v63
	v_cvt_i32_f32_e32 v63, v65
	s_delay_alu instid0(VALU_DEP_2) | instskip(SKIP_2) | instid1(VALU_DEP_1)
	v_exp_f32_e32 v62, v62
	s_waitcnt_depctr 0xfff
	v_ldexp_f32 v62, v62, v63
	v_cndmask_b32_e64 v62, 0, v62, s4
	v_cmp_nlt_f32_e64 s4, 0x42b17218, v61
	s_delay_alu instid0(VALU_DEP_1) | instskip(SKIP_4) | instid1(VALU_DEP_2)
	v_cndmask_b32_e64 v109, 0x7f800000, v62, s4
	ds_bpermute_b32 v61, v162, v109
	v_cndmask_b32_e64 v59, v59, v109, s2
	v_cndmask_b32_e64 v60, v60, v109, s3
	s_waitcnt lgkmcnt(0)
	v_cndmask_b32_e64 v59, v59, v61, s1
	s_delay_alu instid0(VALU_DEP_2) | instskip(NEXT) | instid1(VALU_DEP_2)
	v_cndmask_b32_e32 v60, v60, v61, vcc_lo
	v_cvt_f16_f32_e32 v61, v59
	s_delay_alu instid0(VALU_DEP_2) | instskip(NEXT) | instid1(VALU_DEP_1)
	v_cvt_f16_f32_e32 v62, v60
	v_pack_b32_f16 v101, v61, v62
	v_sub_f32_e32 v61, v158, v161
	s_delay_alu instid0(VALU_DEP_1) | instskip(SKIP_1) | instid1(VALU_DEP_2)
	v_mul_f32_e32 v62, 0x3fb8aa3b, v61
	v_cmp_ngt_f32_e64 s4, 0xc2ce8ed0, v61
	v_fma_f32 v63, 0x3fb8aa3b, v61, -v62
	v_rndne_f32_e32 v65, v62
	s_delay_alu instid0(VALU_DEP_2) | instskip(NEXT) | instid1(VALU_DEP_2)
	v_fmac_f32_e32 v63, 0x32a5705f, v61
	v_sub_f32_e32 v62, v62, v65
	s_delay_alu instid0(VALU_DEP_1) | instskip(SKIP_1) | instid1(VALU_DEP_2)
	v_add_f32_e32 v62, v62, v63
	v_cvt_i32_f32_e32 v63, v65
	v_exp_f32_e32 v62, v62
	s_waitcnt_depctr 0xfff
	v_ldexp_f32 v62, v62, v63
	s_delay_alu instid0(VALU_DEP_1) | instskip(SKIP_1) | instid1(VALU_DEP_1)
	v_cndmask_b32_e64 v62, 0, v62, s4
	v_cmp_nlt_f32_e64 s4, 0x42b17218, v61
	v_cndmask_b32_e64 v110, 0x7f800000, v62, s4
	ds_bpermute_b32 v61, v162, v110
	v_cndmask_b32_e64 v59, v59, v110, s2
	v_cndmask_b32_e64 v60, v60, v110, s3
	s_waitcnt lgkmcnt(0)
	s_delay_alu instid0(VALU_DEP_2) | instskip(NEXT) | instid1(VALU_DEP_2)
	v_cndmask_b32_e64 v59, v59, v61, s1
	v_cndmask_b32_e32 v60, v60, v61, vcc_lo
	s_delay_alu instid0(VALU_DEP_2) | instskip(NEXT) | instid1(VALU_DEP_2)
	v_cvt_f16_f32_e32 v61, v59
	v_cvt_f16_f32_e32 v62, v60
	s_delay_alu instid0(VALU_DEP_1) | instskip(SKIP_1) | instid1(VALU_DEP_1)
	v_pack_b32_f16 v102, v61, v62
	v_sub_f32_e32 v61, v157, v161
	v_mul_f32_e32 v62, 0x3fb8aa3b, v61
	v_cmp_ngt_f32_e64 s4, 0xc2ce8ed0, v61
	s_delay_alu instid0(VALU_DEP_2) | instskip(SKIP_1) | instid1(VALU_DEP_2)
	v_fma_f32 v63, 0x3fb8aa3b, v61, -v62
	v_rndne_f32_e32 v65, v62
	v_fmac_f32_e32 v63, 0x32a5705f, v61
	s_delay_alu instid0(VALU_DEP_2) | instskip(NEXT) | instid1(VALU_DEP_1)
	v_sub_f32_e32 v62, v62, v65
	v_add_f32_e32 v62, v62, v63
	v_cvt_i32_f32_e32 v63, v65
	s_delay_alu instid0(VALU_DEP_2) | instskip(SKIP_2) | instid1(VALU_DEP_1)
	v_exp_f32_e32 v62, v62
	s_waitcnt_depctr 0xfff
	v_ldexp_f32 v62, v62, v63
	v_cndmask_b32_e64 v62, 0, v62, s4
	v_cmp_nlt_f32_e64 s4, 0x42b17218, v61
	s_delay_alu instid0(VALU_DEP_1) | instskip(SKIP_4) | instid1(VALU_DEP_2)
	v_cndmask_b32_e64 v111, 0x7f800000, v62, s4
	ds_bpermute_b32 v61, v162, v111
	v_cndmask_b32_e64 v59, v59, v111, s2
	v_cndmask_b32_e64 v60, v60, v111, s3
	s_waitcnt lgkmcnt(0)
	v_cndmask_b32_e64 v59, v59, v61, s1
	s_delay_alu instid0(VALU_DEP_2) | instskip(NEXT) | instid1(VALU_DEP_2)
	v_cndmask_b32_e32 v60, v60, v61, vcc_lo
	v_cvt_f16_f32_e32 v61, v59
	s_delay_alu instid0(VALU_DEP_2) | instskip(NEXT) | instid1(VALU_DEP_1)
	v_cvt_f16_f32_e32 v62, v60
	v_pack_b32_f16 v103, v61, v62
	v_sub_f32_e32 v61, v156, v161
	s_delay_alu instid0(VALU_DEP_1) | instskip(SKIP_1) | instid1(VALU_DEP_2)
	v_mul_f32_e32 v62, 0x3fb8aa3b, v61
	v_cmp_ngt_f32_e64 s4, 0xc2ce8ed0, v61
	v_fma_f32 v63, 0x3fb8aa3b, v61, -v62
	v_rndne_f32_e32 v65, v62
	s_delay_alu instid0(VALU_DEP_2) | instskip(NEXT) | instid1(VALU_DEP_2)
	v_fmac_f32_e32 v63, 0x32a5705f, v61
	v_sub_f32_e32 v62, v62, v65
	s_delay_alu instid0(VALU_DEP_1) | instskip(SKIP_1) | instid1(VALU_DEP_2)
	v_add_f32_e32 v62, v62, v63
	v_cvt_i32_f32_e32 v63, v65
	v_exp_f32_e32 v62, v62
	s_waitcnt_depctr 0xfff
	v_ldexp_f32 v62, v62, v63
	s_delay_alu instid0(VALU_DEP_1) | instskip(SKIP_1) | instid1(VALU_DEP_1)
	v_cndmask_b32_e64 v62, 0, v62, s4
	v_cmp_nlt_f32_e64 s4, 0x42b17218, v61
	v_cndmask_b32_e64 v112, 0x7f800000, v62, s4
	ds_bpermute_b32 v61, v162, v112
	v_cndmask_b32_e64 v59, v59, v112, s2
	v_cndmask_b32_e64 v60, v60, v112, s3
	s_waitcnt lgkmcnt(0)
	s_delay_alu instid0(VALU_DEP_2) | instskip(NEXT) | instid1(VALU_DEP_2)
	v_cndmask_b32_e64 v59, v59, v61, s1
	v_cndmask_b32_e32 v60, v60, v61, vcc_lo
	s_delay_alu instid0(VALU_DEP_2) | instskip(NEXT) | instid1(VALU_DEP_2)
	v_cvt_f16_f32_e32 v61, v59
	v_cvt_f16_f32_e32 v62, v60
	s_delay_alu instid0(VALU_DEP_1) | instskip(SKIP_1) | instid1(VALU_DEP_1)
	v_pack_b32_f16 v104, v61, v62
	v_sub_f32_e32 v61, v155, v161
	v_mul_f32_e32 v62, 0x3fb8aa3b, v61
	v_cmp_ngt_f32_e64 s4, 0xc2ce8ed0, v61
	s_delay_alu instid0(VALU_DEP_2) | instskip(SKIP_1) | instid1(VALU_DEP_2)
	v_fma_f32 v63, 0x3fb8aa3b, v61, -v62
	v_rndne_f32_e32 v65, v62
	v_fmac_f32_e32 v63, 0x32a5705f, v61
	s_delay_alu instid0(VALU_DEP_2) | instskip(NEXT) | instid1(VALU_DEP_1)
	v_sub_f32_e32 v62, v62, v65
	v_add_f32_e32 v62, v62, v63
	v_cvt_i32_f32_e32 v63, v65
	s_delay_alu instid0(VALU_DEP_2) | instskip(SKIP_2) | instid1(VALU_DEP_1)
	v_exp_f32_e32 v62, v62
	s_waitcnt_depctr 0xfff
	v_ldexp_f32 v62, v62, v63
	v_cndmask_b32_e64 v62, 0, v62, s4
	v_cmp_nlt_f32_e64 s4, 0x42b17218, v61
	s_delay_alu instid0(VALU_DEP_1) | instskip(SKIP_4) | instid1(VALU_DEP_2)
	v_cndmask_b32_e64 v113, 0x7f800000, v62, s4
	ds_bpermute_b32 v61, v162, v113
	v_cndmask_b32_e64 v59, v59, v113, s2
	v_cndmask_b32_e64 v60, v60, v113, s3
	s_waitcnt lgkmcnt(0)
	v_cndmask_b32_e64 v59, v59, v61, s1
	s_delay_alu instid0(VALU_DEP_2) | instskip(NEXT) | instid1(VALU_DEP_2)
	v_cndmask_b32_e32 v60, v60, v61, vcc_lo
	v_cvt_f16_f32_e32 v59, v59
	s_delay_alu instid0(VALU_DEP_2) | instskip(NEXT) | instid1(VALU_DEP_1)
	v_cvt_f16_f32_e32 v60, v60
	v_pack_b32_f16 v105, v59, v60
	ds_load_u16 v129, v234 offset:960
	ds_load_u16 v67, v238 offset:960
	;; [unrolled: 1-line block ×22, first 2 shown]
	s_waitcnt lgkmcnt(21)
	ds_load_u16_d16_hi v129, v235 offset:12720
	ds_load_u16_d16_hi v130, v235 offset:13200
	;; [unrolled: 1-line block ×3, first 2 shown]
	ds_load_u16 v157, v232 offset:1920
	ds_load_u16_d16_hi v132, v235 offset:14160
	s_waitcnt lgkmcnt(24)
	ds_load_u16_d16_hi v158, v235 offset:14192
	ds_load_u16_d16_hi v127, v235 offset:11760
	;; [unrolled: 1-line block ×5, first 2 shown]
	s_waitcnt lgkmcnt(28)
	ds_load_u16_d16_hi v159, v235 offset:14672
	s_waitcnt lgkmcnt(24)
	ds_load_u16_d16_hi v89, v235 offset:14704
	ds_load_u16 v63, v252 offset:2880
	ds_load_u16_d16_hi v128, v235 offset:12240
	ds_load_u16_d16_hi v57, v235 offset:11856
	;; [unrolled: 1-line block ×7, first 2 shown]
	s_waitcnt lgkmcnt(31)
	ds_load_u16_d16_hi v86, v235 offset:13264
	s_waitcnt lgkmcnt(30)
	ds_load_u16_d16_hi v60, v235 offset:13296
	;; [unrolled: 2-line block ×4, first 2 shown]
	ds_load_u16 v65, v235 offset:11712
	ds_load_u16_d16_hi v155, v235 offset:12752
	ds_load_u16_d16_hi v85, v235 offset:12784
	;; [unrolled: 1-line block ×4, first 2 shown]
	s_waitcnt lgkmcnt(29)
	ds_load_u16_d16_hi v147, v235 offset:12880
	ds_load_u16_d16_hi v67, v235 offset:12912
	;; [unrolled: 1-line block ×7, first 2 shown]
	ds_load_u16 v61, v252 offset:1920
	ds_load_u16 v149, v251 offset:1920
	ds_load_u16_d16_hi v154, v235 offset:12272
	s_waitcnt lgkmcnt(35)
	ds_load_u16_d16_hi v157, v235 offset:13712
	ds_load_u16 v62, v252 offset:2400
	ds_load_u16 v150, v251 offset:2400
	;; [unrolled: 1-line block ×3, first 2 shown]
	ds_load_u16_d16_hi v87, v235 offset:13744
	s_waitcnt lgkmcnt(7)
	ds_load_u16_d16_hi v61, v235 offset:13776
	ds_load_u16_d16_hi v94, v235 offset:13808
	s_waitcnt lgkmcnt(8)
	ds_load_u16_d16_hi v149, v235 offset:13840
	ds_load_u16_d16_hi v84, v235 offset:12304
	;; [unrolled: 1-line block ×7, first 2 shown]
	s_waitcnt lgkmcnt(12)
	ds_load_u16_d16_hi v62, v235 offset:14256
	ds_load_u16_d16_hi v95, v235 offset:14288
	s_waitcnt lgkmcnt(13)
	ds_load_u16_d16_hi v150, v235 offset:14320
	ds_load_u16_d16_hi v63, v235 offset:14736
	;; [unrolled: 1-line block ×3, first 2 shown]
	s_waitcnt lgkmcnt(15)
	ds_load_u16_d16_hi v151, v235 offset:14800
	v_wmma_f32_16x16x16_f16 v[48:55], v[127:134], v[98:105], v[48:55]
	v_wmma_f32_16x16x16_f16 v[40:47], v[153:160], v[98:105], v[40:47]
	s_waitcnt lgkmcnt(7)
	v_wmma_f32_16x16x16_f16 v[0:7], v[65:72], v[98:105], v[0:7]
	s_waitcnt lgkmcnt(6)
	v_wmma_f32_16x16x16_f16 v[32:39], v[83:90], v[98:105], v[32:39]
	ds_load_u16 v90, v235 offset:11648
	ds_load_u16 v145, v235 offset:11680
	s_waitcnt lgkmcnt(4)
	v_wmma_f32_16x16x16_f16 v[24:31], v[57:64], v[98:105], v[24:31]
	v_add_f32_e32 v57, v168, v169
	s_waitcnt lgkmcnt(1)
	ds_load_u16_d16_hi v90, v235 offset:11888
	s_waitcnt lgkmcnt(1)
	ds_load_u16_d16_hi v145, v235 offset:11920
	ds_load_u16_d16_hi v97, v235 offset:15248
	;; [unrolled: 1-line block ×3, first 2 shown]
	v_add_f32_e32 v57, v172, v57
	s_waitcnt lgkmcnt(0)
	s_barrier
	buffer_gl0_inv
	v_add_f32_e32 v57, v174, v57
	s_delay_alu instid0(VALU_DEP_1) | instskip(NEXT) | instid1(VALU_DEP_1)
	v_add_f32_e32 v57, v175, v57
	v_add_f32_e32 v57, v178, v57
	v_wmma_f32_16x16x16_f16 v[16:23], v[90:97], v[98:105], v[16:23]
	v_wmma_f32_16x16x16_f16 v[8:15], v[145:152], v[98:105], v[8:15]
	s_delay_alu instid0(VALU_DEP_3) | instskip(NEXT) | instid1(VALU_DEP_1)
	v_add_f32_e32 v57, v179, v57
	v_add_f32_e32 v57, v180, v57
	s_delay_alu instid0(VALU_DEP_1) | instskip(NEXT) | instid1(VALU_DEP_1)
	v_add_f32_e32 v56, v56, v57
	v_add_f32_e32 v56, v73, v56
	s_delay_alu instid0(VALU_DEP_1) | instskip(NEXT) | instid1(VALU_DEP_1)
	;; [unrolled: 3-line block ×12, first 2 shown]
	v_add_f32_e32 v56, v112, v56
	v_add_f32_e32 v56, v113, v56
	s_delay_alu instid0(VALU_DEP_1)
	v_fmac_f32_e32 v56, v230, v163
	ds_bpermute_b32 v57, v162, v56
	s_waitcnt lgkmcnt(0)
	v_add_f32_e32 v162, v56, v57
	s_cbranch_scc1 .LBB19_141
; %bb.140:                              ;   in Loop: Header=BB19_15 Depth=1
	scratch_load_b32 v56, off, off offset:1184 ; 4-byte Folded Reload
	s_waitcnt vmcnt(0)
	v_dual_max_f32 v57, v161, v161 :: v_dual_lshlrev_b32 v56, 2, v56
	global_load_b32 v56, v56, s[72:73]
	s_waitcnt vmcnt(0)
	v_max_f32_e32 v58, v56, v56
	s_delay_alu instid0(VALU_DEP_1) | instskip(NEXT) | instid1(VALU_DEP_1)
	v_max_f32_e32 v57, v57, v58
	v_sub_f32_e32 v56, v56, v57
	s_delay_alu instid0(VALU_DEP_1) | instskip(NEXT) | instid1(VALU_DEP_1)
	v_mul_f32_e32 v60, 0x3fb8aa3b, v56
	v_fma_f32 v63, 0x3fb8aa3b, v56, -v60
	v_sub_f32_e32 v58, v161, v57
	v_rndne_f32_e32 v64, v60
	v_mov_b32_e32 v161, v57
	s_delay_alu instid0(VALU_DEP_4) | instskip(NEXT) | instid1(VALU_DEP_3)
	v_fmac_f32_e32 v63, 0x32a5705f, v56
	v_dual_mul_f32 v59, 0x3fb8aa3b, v58 :: v_dual_sub_f32 v60, v60, v64
	v_cmp_ngt_f32_e32 vcc_lo, 0xc2ce8ed0, v58
	s_delay_alu instid0(VALU_DEP_2) | instskip(SKIP_1) | instid1(VALU_DEP_2)
	v_fma_f32 v61, 0x3fb8aa3b, v58, -v59
	v_rndne_f32_e32 v62, v59
	v_dual_add_f32 v60, v60, v63 :: v_dual_fmac_f32 v61, 0x32a5705f, v58
	s_delay_alu instid0(VALU_DEP_2) | instskip(NEXT) | instid1(VALU_DEP_2)
	v_sub_f32_e32 v59, v59, v62
	v_exp_f32_e32 v60, v60
	s_delay_alu instid0(VALU_DEP_1) | instskip(SKIP_2) | instid1(VALU_DEP_3)
	v_add_f32_e32 v59, v59, v61
	v_cvt_i32_f32_e32 v61, v62
	v_cvt_i32_f32_e32 v62, v64
	v_exp_f32_e32 v59, v59
	s_waitcnt_depctr 0xfff
	v_ldexp_f32 v60, v60, v62
	v_ldexp_f32 v59, v59, v61
	s_delay_alu instid0(VALU_DEP_1) | instskip(SKIP_1) | instid1(VALU_DEP_4)
	v_cndmask_b32_e32 v59, 0, v59, vcc_lo
	v_cmp_ngt_f32_e32 vcc_lo, 0xc2ce8ed0, v56
	v_cndmask_b32_e32 v60, 0, v60, vcc_lo
	v_cmp_nlt_f32_e32 vcc_lo, 0x42b17218, v58
	s_delay_alu instid0(VALU_DEP_4) | instskip(SKIP_1) | instid1(VALU_DEP_4)
	v_cndmask_b32_e32 v59, 0x7f800000, v59, vcc_lo
	v_cmp_nlt_f32_e32 vcc_lo, 0x42b17218, v56
	v_cndmask_b32_e32 v56, 0x7f800000, v60, vcc_lo
	v_cmp_le_f32_e32 vcc_lo, 0xc1a00000, v58
	s_delay_alu instid0(VALU_DEP_4) | instskip(NEXT) | instid1(VALU_DEP_1)
	v_cndmask_b32_e32 v58, 0, v59, vcc_lo
	v_mul_f32_e32 v49, v49, v58
	s_delay_alu instid0(VALU_DEP_4)
	v_fmac_f32_e32 v56, v162, v58
	v_mul_f32_e32 v48, v48, v58
	v_mul_f32_e32 v50, v50, v58
	;; [unrolled: 1-line block ×4, first 2 shown]
	v_dual_mov_b32 v162, v56 :: v_dual_mul_f32 v53, v53, v58
	v_mul_f32_e32 v54, v54, v58
	v_mul_f32_e32 v55, v55, v58
	;; [unrolled: 1-line block ×50, first 2 shown]
.LBB19_141:                             ;   in Loop: Header=BB19_15 Depth=1
	s_clause 0x5
	scratch_load_b32 v230, off, off offset:1168
	scratch_load_b32 v65, off, off offset:992
	;; [unrolled: 1-line block ×3, first 2 shown]
	scratch_load_b64 v[83:84], off, off offset:1080
	scratch_load_b32 v90, off, off offset:736
	scratch_load_b32 v96, off, off offset:740
	s_waitcnt vmcnt(0)
	s_barrier
	buffer_gl0_inv
	s_mov_b32 s0, exec_lo
	s_clause 0x1f
	scratch_load_b32 v168, off, off offset:212
	scratch_load_b32 v169, off, off offset:220
	;; [unrolled: 1-line block ×16, first 2 shown]
	scratch_load_b32 v173, off, off
	scratch_load_b32 v103, off, off offset:732
	scratch_load_b32 v99, off, off offset:8
	;; [unrolled: 1-line block ×5, first 2 shown]
	scratch_load_b64 v[178:179], off, off offset:464
	scratch_load_b64 v[182:183], off, off offset:472
	;; [unrolled: 1-line block ×10, first 2 shown]
	s_clause 0xd
	scratch_load_b64 v[72:73], off, off offset:544
	scratch_load_b64 v[74:75], off, off offset:552
	;; [unrolled: 1-line block ×4, first 2 shown]
	scratch_load_b32 v175, off, off offset:576
	scratch_load_b32 v180, off, off offset:580
	;; [unrolled: 1-line block ×7, first 2 shown]
	scratch_load_b64 v[84:85], off, off offset:1092
	scratch_load_b64 v[56:57], off, off offset:912
	;; [unrolled: 1-line block ×3, first 2 shown]
	v_readlane_b32 s1, v254, 20
	v_dual_mov_b32 v80, 0 :: v_dual_mov_b32 v217, v241
	v_dual_mov_b32 v216, v239 :: v_dual_mov_b32 v239, v226
	v_mov_b32_e32 v218, v244
	v_mov_b32_e32 v238, v240
	v_dual_mov_b32 v240, v242 :: v_dual_mov_b32 v241, v248
	v_dual_mov_b32 v242, v246 :: v_dual_mov_b32 v219, v224
	;; [unrolled: 1-line block ×3, first 2 shown]
	v_mov_b32_e32 v220, v229
	s_and_b32 s1, s0, s1
	s_waitcnt vmcnt(1)
	v_mov_b32_e32 v236, v56
	s_mov_b32 exec_lo, s1
	s_cbranch_execz .LBB19_143
; %bb.142:                              ;   in Loop: Header=BB19_15 Depth=1
	scratch_load_b64 v[56:57], off, off offset:1328 ; 8-byte Folded Reload
	s_waitcnt vmcnt(0)
	global_store_b64 v[56:57], v[161:162], off
.LBB19_143:                             ;   in Loop: Header=BB19_15 Depth=1
	s_or_b32 exec_lo, exec_lo, s0
	scratch_load_b32 v56, off, off offset:1040 ; 4-byte Folded Reload
	v_cvt_f16_f32_e32 v48, v48
	v_cvt_f16_f32_e32 v40, v40
	;; [unrolled: 1-line block ×56, first 2 shown]
	s_waitcnt vmcnt(0)
	ds_store_b16 v56, v48
	ds_store_b16 v56, v49 offset:4
	ds_store_b16 v56, v50 offset:8
	;; [unrolled: 1-line block ×55, first 2 shown]
	s_clause 0x1
	scratch_load_b32 v2, off, off offset:972
	scratch_load_b32 v6, off, off offset:744
	v_mov_b32_e32 v0, 50
	s_waitcnt vmcnt(0) lgkmcnt(0)
	s_waitcnt_vscnt null, 0x0
	s_barrier
	buffer_gl0_inv
	v_cmp_gt_i32_e64 s1, s8, v2
	v_cmp_gt_i32_e64 s2, s33, v6
	v_cmp_le_i32_e32 vcc_lo, s33, v6
	s_delay_alu instid0(VALU_DEP_2)
	s_and_b32 s1, s1, s2
	s_mov_b32 s0, exec_lo
	s_clause 0x2
	scratch_load_b64 v[16:17], off, off offset:1136
	scratch_load_b64 v[17:18], off, off offset:1144
	;; [unrolled: 1-line block ×3, first 2 shown]
	s_and_b32 s1, s0, s1
	s_delay_alu instid0(SALU_CYCLE_1)
	s_mov_b32 exec_lo, s1
	s_cbranch_execz .LBB19_145
; %bb.144:                              ;   in Loop: Header=BB19_15 Depth=1
	scratch_load_b32 v0, off, off offset:932 ; 4-byte Folded Reload
	s_waitcnt vmcnt(0)
	ds_load_b32 v3, v0
	v_mad_u64_u32 v[0:1], null, v2, s9, v[86:87]
	s_delay_alu instid0(VALU_DEP_1) | instskip(NEXT) | instid1(VALU_DEP_1)
	v_mad_u64_u32 v[1:2], null, v0, 56, v[236:237]
	v_ashrrev_i32_e32 v2, 31, v1
	s_waitcnt lgkmcnt(0)
	v_lshrrev_b32_e32 v0, 16, v3
	v_cvt_f32_f16_e32 v3, v3
	s_delay_alu instid0(VALU_DEP_2) | instskip(SKIP_1) | instid1(VALU_DEP_2)
	v_cvt_f32_f16_e32 v4, v0
	v_lshlrev_b64 v[0:1], 3, v[1:2]
	v_dual_add_f32 v2, 0, v3 :: v_dual_add_f32 v3, 0, v4
	s_delay_alu instid0(VALU_DEP_2) | instskip(NEXT) | instid1(VALU_DEP_1)
	v_add_co_u32 v4, s1, s35, v0
	v_add_co_ci_u32_e64 v5, s1, s67, v1, s1
	v_mov_b32_e32 v0, 0
	global_store_b64 v[4:5], v[2:3], off
.LBB19_145:                             ;   in Loop: Header=BB19_15 Depth=1
	s_or_b32 exec_lo, exec_lo, s0
	s_clause 0x4
	scratch_load_b32 v7, off, off offset:804
	scratch_load_b32 v8, off, off offset:836
	;; [unrolled: 1-line block ×5, first 2 shown]
	s_mov_b32 s2, -1
	s_mov_b32 s0, exec_lo
	v_cmpx_gt_i32_e32 50, v0
; %bb.146:                              ;   in Loop: Header=BB19_15 Depth=1
	v_cmp_eq_u32_e64 s1, 0, v0
	s_delay_alu instid0(VALU_DEP_1)
	s_or_not1_b32 s2, s1, exec_lo
; %bb.147:                              ;   in Loop: Header=BB19_15 Depth=1
	s_or_b32 exec_lo, exec_lo, s0
	s_and_saveexec_b32 s0, s2
	s_cbranch_execz .LBB19_220
; %bb.148:                              ;   in Loop: Header=BB19_15 Depth=1
	s_waitcnt vmcnt(0)
	v_cmp_gt_i32_e64 s1, s8, v2
	v_mov_b32_e32 v0, 50
	s_xor_b32 s2, vcc_lo, -1
	s_delay_alu instid0(VALU_DEP_2) | instid1(SALU_CYCLE_1)
	s_and_b32 s3, s1, s2
	s_delay_alu instid0(SALU_CYCLE_1)
	s_and_saveexec_b32 s1, s3
	s_cbranch_execz .LBB19_150
; %bb.149:                              ;   in Loop: Header=BB19_15 Depth=1
	scratch_load_b32 v0, off, off offset:948 ; 4-byte Folded Reload
	s_waitcnt vmcnt(0)
	ds_load_b32 v3, v0
	v_mad_u64_u32 v[0:1], null, v2, s9, v[86:87]
	s_delay_alu instid0(VALU_DEP_1) | instskip(NEXT) | instid1(VALU_DEP_1)
	v_mad_u64_u32 v[1:2], null, v0, 56, v[236:237]
	v_ashrrev_i32_e32 v2, 31, v1
	s_waitcnt lgkmcnt(0)
	v_lshrrev_b32_e32 v0, 16, v3
	v_cvt_f32_f16_e32 v3, v3
	s_delay_alu instid0(VALU_DEP_2) | instskip(SKIP_1) | instid1(VALU_DEP_2)
	v_cvt_f32_f16_e32 v4, v0
	v_lshlrev_b64 v[0:1], 3, v[1:2]
	v_dual_add_f32 v2, 0, v3 :: v_dual_add_f32 v3, 0, v4
	s_delay_alu instid0(VALU_DEP_2) | instskip(NEXT) | instid1(VALU_DEP_3)
	v_add_co_u32 v4, vcc_lo, s35, v0
	v_add_co_ci_u32_e32 v5, vcc_lo, s67, v1, vcc_lo
	v_mov_b32_e32 v0, 0
	global_store_b64 v[4:5], v[2:3], off
.LBB19_150:                             ;   in Loop: Header=BB19_15 Depth=1
	s_or_b32 exec_lo, exec_lo, s1
	s_mov_b32 s1, -1
	s_mov_b32 s3, exec_lo
	v_cmpx_gt_i32_e32 50, v0
; %bb.151:                              ;   in Loop: Header=BB19_15 Depth=1
	v_cmp_eq_u32_e32 vcc_lo, 0, v0
	s_or_not1_b32 s1, vcc_lo, exec_lo
; %bb.152:                              ;   in Loop: Header=BB19_15 Depth=1
	s_or_b32 exec_lo, exec_lo, s3
	s_delay_alu instid0(SALU_CYCLE_1)
	s_and_b32 exec_lo, exec_lo, s1
	s_cbranch_execz .LBB19_220
; %bb.153:                              ;   in Loop: Header=BB19_15 Depth=1
	scratch_load_b32 v2, off, off offset:1180 ; 4-byte Folded Reload
	v_mov_b32_e32 v0, 50
	s_waitcnt vmcnt(0)
	v_cmp_gt_i32_e32 vcc_lo, s8, v2
	s_and_b32 s3, vcc_lo, s2
	s_delay_alu instid0(SALU_CYCLE_1)
	s_and_saveexec_b32 s1, s3
	s_cbranch_execz .LBB19_155
; %bb.154:                              ;   in Loop: Header=BB19_15 Depth=1
	scratch_load_b32 v0, off, off offset:952 ; 4-byte Folded Reload
	s_waitcnt vmcnt(0)
	ds_load_b32 v3, v0
	v_mad_u64_u32 v[0:1], null, v2, s9, v[86:87]
	s_delay_alu instid0(VALU_DEP_1) | instskip(NEXT) | instid1(VALU_DEP_1)
	v_mad_u64_u32 v[1:2], null, v0, 56, v[236:237]
	v_ashrrev_i32_e32 v2, 31, v1
	s_waitcnt lgkmcnt(0)
	v_lshrrev_b32_e32 v0, 16, v3
	v_cvt_f32_f16_e32 v3, v3
	s_delay_alu instid0(VALU_DEP_2) | instskip(SKIP_1) | instid1(VALU_DEP_2)
	v_cvt_f32_f16_e32 v4, v0
	v_lshlrev_b64 v[0:1], 3, v[1:2]
	v_dual_add_f32 v2, 0, v3 :: v_dual_add_f32 v3, 0, v4
	s_delay_alu instid0(VALU_DEP_2) | instskip(NEXT) | instid1(VALU_DEP_3)
	v_add_co_u32 v4, vcc_lo, s35, v0
	v_add_co_ci_u32_e32 v5, vcc_lo, s67, v1, vcc_lo
	v_mov_b32_e32 v0, 0
	global_store_b64 v[4:5], v[2:3], off
.LBB19_155:                             ;   in Loop: Header=BB19_15 Depth=1
	s_or_b32 exec_lo, exec_lo, s1
	s_mov_b32 s1, -1
	s_mov_b32 s3, exec_lo
	v_cmpx_gt_i32_e32 50, v0
; %bb.156:                              ;   in Loop: Header=BB19_15 Depth=1
	v_cmp_eq_u32_e32 vcc_lo, 0, v0
	s_or_not1_b32 s1, vcc_lo, exec_lo
; %bb.157:                              ;   in Loop: Header=BB19_15 Depth=1
	s_or_b32 exec_lo, exec_lo, s3
	s_delay_alu instid0(SALU_CYCLE_1)
	s_and_b32 exec_lo, exec_lo, s1
	s_cbranch_execz .LBB19_220
; %bb.158:                              ;   in Loop: Header=BB19_15 Depth=1
	scratch_load_b32 v2, off, off offset:1192 ; 4-byte Folded Reload
	v_mov_b32_e32 v0, 50
	s_waitcnt vmcnt(0)
	v_cmp_gt_i32_e32 vcc_lo, s8, v2
	s_and_b32 s3, vcc_lo, s2
	s_delay_alu instid0(SALU_CYCLE_1)
	s_and_saveexec_b32 s1, s3
	s_cbranch_execz .LBB19_160
; %bb.159:                              ;   in Loop: Header=BB19_15 Depth=1
	ds_load_b32 v3, v82
	v_mad_u64_u32 v[0:1], null, v2, s9, v[86:87]
	s_delay_alu instid0(VALU_DEP_1) | instskip(NEXT) | instid1(VALU_DEP_1)
	v_mad_u64_u32 v[1:2], null, v0, 56, v[236:237]
	v_ashrrev_i32_e32 v2, 31, v1
	s_waitcnt lgkmcnt(0)
	v_lshrrev_b32_e32 v0, 16, v3
	v_cvt_f32_f16_e32 v3, v3
	s_delay_alu instid0(VALU_DEP_2) | instskip(SKIP_1) | instid1(VALU_DEP_2)
	v_cvt_f32_f16_e32 v4, v0
	v_lshlrev_b64 v[0:1], 3, v[1:2]
	v_dual_add_f32 v2, 0, v3 :: v_dual_add_f32 v3, 0, v4
	s_delay_alu instid0(VALU_DEP_2) | instskip(NEXT) | instid1(VALU_DEP_3)
	v_add_co_u32 v4, vcc_lo, s35, v0
	v_add_co_ci_u32_e32 v5, vcc_lo, s67, v1, vcc_lo
	v_mov_b32_e32 v0, 0
	global_store_b64 v[4:5], v[2:3], off
.LBB19_160:                             ;   in Loop: Header=BB19_15 Depth=1
	s_or_b32 exec_lo, exec_lo, s1
	s_mov_b32 s1, -1
	s_mov_b32 s3, exec_lo
	v_cmpx_gt_i32_e32 50, v0
; %bb.161:                              ;   in Loop: Header=BB19_15 Depth=1
	v_cmp_eq_u32_e32 vcc_lo, 0, v0
	s_or_not1_b32 s1, vcc_lo, exec_lo
; %bb.162:                              ;   in Loop: Header=BB19_15 Depth=1
	s_or_b32 exec_lo, exec_lo, s3
	s_delay_alu instid0(SALU_CYCLE_1)
	s_and_b32 exec_lo, exec_lo, s1
	s_cbranch_execz .LBB19_220
; %bb.163:                              ;   in Loop: Header=BB19_15 Depth=1
	scratch_load_b32 v2, off, off offset:1200 ; 4-byte Folded Reload
	v_mov_b32_e32 v0, 50
	s_waitcnt vmcnt(0)
	v_cmp_gt_i32_e32 vcc_lo, s8, v2
	s_and_b32 s3, vcc_lo, s2
	s_delay_alu instid0(SALU_CYCLE_1)
	s_and_saveexec_b32 s1, s3
	s_cbranch_execz .LBB19_165
; %bb.164:                              ;   in Loop: Header=BB19_15 Depth=1
	scratch_load_b32 v0, off, off offset:1508 ; 4-byte Folded Reload
	s_waitcnt vmcnt(0)
	ds_load_b32 v3, v0
	v_mad_u64_u32 v[0:1], null, v2, s9, v[86:87]
	s_delay_alu instid0(VALU_DEP_1) | instskip(NEXT) | instid1(VALU_DEP_1)
	v_mad_u64_u32 v[1:2], null, v0, 56, v[236:237]
	v_ashrrev_i32_e32 v2, 31, v1
	s_waitcnt lgkmcnt(0)
	v_lshrrev_b32_e32 v0, 16, v3
	v_cvt_f32_f16_e32 v3, v3
	s_delay_alu instid0(VALU_DEP_2) | instskip(SKIP_1) | instid1(VALU_DEP_2)
	v_cvt_f32_f16_e32 v4, v0
	v_lshlrev_b64 v[0:1], 3, v[1:2]
	v_dual_add_f32 v2, 0, v3 :: v_dual_add_f32 v3, 0, v4
	s_delay_alu instid0(VALU_DEP_2) | instskip(NEXT) | instid1(VALU_DEP_3)
	v_add_co_u32 v4, vcc_lo, s35, v0
	v_add_co_ci_u32_e32 v5, vcc_lo, s67, v1, vcc_lo
	v_mov_b32_e32 v0, 0
	global_store_b64 v[4:5], v[2:3], off
.LBB19_165:                             ;   in Loop: Header=BB19_15 Depth=1
	s_or_b32 exec_lo, exec_lo, s1
	s_mov_b32 s1, -1
	s_mov_b32 s3, exec_lo
	v_cmpx_gt_i32_e32 50, v0
; %bb.166:                              ;   in Loop: Header=BB19_15 Depth=1
	v_cmp_eq_u32_e32 vcc_lo, 0, v0
	s_or_not1_b32 s1, vcc_lo, exec_lo
; %bb.167:                              ;   in Loop: Header=BB19_15 Depth=1
	s_or_b32 exec_lo, exec_lo, s3
	s_delay_alu instid0(SALU_CYCLE_1)
	s_and_b32 exec_lo, exec_lo, s1
	s_cbranch_execz .LBB19_220
; %bb.168:                              ;   in Loop: Header=BB19_15 Depth=1
	scratch_load_b32 v2, off, off offset:1208 ; 4-byte Folded Reload
	v_mov_b32_e32 v0, 50
	s_waitcnt vmcnt(0)
	v_cmp_gt_i32_e32 vcc_lo, s8, v2
	s_and_b32 s3, vcc_lo, s2
	s_delay_alu instid0(SALU_CYCLE_1)
	s_and_saveexec_b32 s1, s3
	s_cbranch_execz .LBB19_170
; %bb.169:                              ;   in Loop: Header=BB19_15 Depth=1
	ds_load_b32 v3, v82 offset:1920
	v_mad_u64_u32 v[0:1], null, v2, s9, v[86:87]
	s_delay_alu instid0(VALU_DEP_1) | instskip(NEXT) | instid1(VALU_DEP_1)
	v_mad_u64_u32 v[1:2], null, v0, 56, v[236:237]
	v_ashrrev_i32_e32 v2, 31, v1
	s_waitcnt lgkmcnt(0)
	v_lshrrev_b32_e32 v0, 16, v3
	v_cvt_f32_f16_e32 v3, v3
	s_delay_alu instid0(VALU_DEP_2) | instskip(SKIP_1) | instid1(VALU_DEP_2)
	v_cvt_f32_f16_e32 v4, v0
	v_lshlrev_b64 v[0:1], 3, v[1:2]
	v_dual_add_f32 v2, 0, v3 :: v_dual_add_f32 v3, 0, v4
	s_delay_alu instid0(VALU_DEP_2) | instskip(NEXT) | instid1(VALU_DEP_3)
	v_add_co_u32 v4, vcc_lo, s35, v0
	v_add_co_ci_u32_e32 v5, vcc_lo, s67, v1, vcc_lo
	v_mov_b32_e32 v0, 0
	global_store_b64 v[4:5], v[2:3], off
.LBB19_170:                             ;   in Loop: Header=BB19_15 Depth=1
	s_or_b32 exec_lo, exec_lo, s1
	s_mov_b32 s1, -1
	s_mov_b32 s3, exec_lo
	v_cmpx_gt_i32_e32 50, v0
; %bb.171:                              ;   in Loop: Header=BB19_15 Depth=1
	v_cmp_eq_u32_e32 vcc_lo, 0, v0
	s_or_not1_b32 s1, vcc_lo, exec_lo
; %bb.172:                              ;   in Loop: Header=BB19_15 Depth=1
	s_or_b32 exec_lo, exec_lo, s3
	s_delay_alu instid0(SALU_CYCLE_1)
	s_and_b32 exec_lo, exec_lo, s1
	s_cbranch_execz .LBB19_220
; %bb.173:                              ;   in Loop: Header=BB19_15 Depth=1
	scratch_load_b32 v2, off, off offset:1232 ; 4-byte Folded Reload
	v_mov_b32_e32 v0, 50
	s_waitcnt vmcnt(0)
	v_cmp_gt_i32_e32 vcc_lo, s8, v2
	s_and_b32 s3, vcc_lo, s2
	s_delay_alu instid0(SALU_CYCLE_1)
	s_and_saveexec_b32 s1, s3
	s_cbranch_execz .LBB19_175
; %bb.174:                              ;   in Loop: Header=BB19_15 Depth=1
	ds_load_b32 v3, v82 offset:2880
	v_mad_u64_u32 v[0:1], null, v2, s9, v[86:87]
	s_delay_alu instid0(VALU_DEP_1) | instskip(NEXT) | instid1(VALU_DEP_1)
	v_mad_u64_u32 v[1:2], null, v0, 56, v[236:237]
	v_ashrrev_i32_e32 v2, 31, v1
	s_waitcnt lgkmcnt(0)
	v_lshrrev_b32_e32 v0, 16, v3
	v_cvt_f32_f16_e32 v3, v3
	s_delay_alu instid0(VALU_DEP_2) | instskip(SKIP_1) | instid1(VALU_DEP_2)
	v_cvt_f32_f16_e32 v4, v0
	v_lshlrev_b64 v[0:1], 3, v[1:2]
	v_dual_add_f32 v2, 0, v3 :: v_dual_add_f32 v3, 0, v4
	s_delay_alu instid0(VALU_DEP_2) | instskip(NEXT) | instid1(VALU_DEP_3)
	v_add_co_u32 v4, vcc_lo, s35, v0
	v_add_co_ci_u32_e32 v5, vcc_lo, s67, v1, vcc_lo
	v_mov_b32_e32 v0, 0
	global_store_b64 v[4:5], v[2:3], off
.LBB19_175:                             ;   in Loop: Header=BB19_15 Depth=1
	;; [unrolled: 40-line block ×3, first 2 shown]
	s_or_b32 exec_lo, exec_lo, s1
	s_mov_b32 s1, -1
	s_mov_b32 s3, exec_lo
	v_cmpx_gt_i32_e32 50, v0
; %bb.181:                              ;   in Loop: Header=BB19_15 Depth=1
	v_cmp_eq_u32_e32 vcc_lo, 0, v0
	s_or_not1_b32 s1, vcc_lo, exec_lo
; %bb.182:                              ;   in Loop: Header=BB19_15 Depth=1
	s_or_b32 exec_lo, exec_lo, s3
	s_delay_alu instid0(SALU_CYCLE_1)
	s_and_b32 exec_lo, exec_lo, s1
	s_cbranch_execz .LBB19_220
; %bb.183:                              ;   in Loop: Header=BB19_15 Depth=1
	scratch_load_b32 v2, off, off offset:1244 ; 4-byte Folded Reload
	v_mov_b32_e32 v0, 50
	s_waitcnt vmcnt(0)
	v_cmp_gt_i32_e32 vcc_lo, s8, v2
	s_and_b32 s3, vcc_lo, s2
	s_delay_alu instid0(SALU_CYCLE_1)
	s_and_saveexec_b32 s1, s3
	s_cbranch_execz .LBB19_185
; %bb.184:                              ;   in Loop: Header=BB19_15 Depth=1
	scratch_load_b32 v0, off, off offset:1532 ; 4-byte Folded Reload
	s_waitcnt vmcnt(0)
	ds_load_b32 v3, v0
	v_mad_u64_u32 v[0:1], null, v2, s9, v[86:87]
	s_delay_alu instid0(VALU_DEP_1) | instskip(NEXT) | instid1(VALU_DEP_1)
	v_mad_u64_u32 v[1:2], null, v0, 56, v[236:237]
	v_ashrrev_i32_e32 v2, 31, v1
	s_waitcnt lgkmcnt(0)
	v_lshrrev_b32_e32 v0, 16, v3
	v_cvt_f32_f16_e32 v3, v3
	s_delay_alu instid0(VALU_DEP_2) | instskip(SKIP_1) | instid1(VALU_DEP_2)
	v_cvt_f32_f16_e32 v4, v0
	v_lshlrev_b64 v[0:1], 3, v[1:2]
	v_dual_add_f32 v2, 0, v3 :: v_dual_add_f32 v3, 0, v4
	s_delay_alu instid0(VALU_DEP_2) | instskip(NEXT) | instid1(VALU_DEP_3)
	v_add_co_u32 v4, vcc_lo, s35, v0
	v_add_co_ci_u32_e32 v5, vcc_lo, s67, v1, vcc_lo
	v_mov_b32_e32 v0, 0
	global_store_b64 v[4:5], v[2:3], off
.LBB19_185:                             ;   in Loop: Header=BB19_15 Depth=1
	s_or_b32 exec_lo, exec_lo, s1
	s_mov_b32 s1, -1
	s_mov_b32 s3, exec_lo
	v_cmpx_gt_i32_e32 50, v0
; %bb.186:                              ;   in Loop: Header=BB19_15 Depth=1
	v_cmp_eq_u32_e32 vcc_lo, 0, v0
	s_or_not1_b32 s1, vcc_lo, exec_lo
; %bb.187:                              ;   in Loop: Header=BB19_15 Depth=1
	s_or_b32 exec_lo, exec_lo, s3
	s_delay_alu instid0(SALU_CYCLE_1)
	s_and_b32 exec_lo, exec_lo, s1
	s_cbranch_execz .LBB19_220
; %bb.188:                              ;   in Loop: Header=BB19_15 Depth=1
	scratch_load_b32 v2, off, off offset:1248 ; 4-byte Folded Reload
	v_mov_b32_e32 v0, 50
	s_waitcnt vmcnt(0)
	v_cmp_gt_i32_e32 vcc_lo, s8, v2
	s_and_b32 s3, vcc_lo, s2
	s_delay_alu instid0(SALU_CYCLE_1)
	s_and_saveexec_b32 s1, s3
	s_cbranch_execz .LBB19_190
; %bb.189:                              ;   in Loop: Header=BB19_15 Depth=1
	ds_load_b32 v3, v82 offset:5760
	v_mad_u64_u32 v[0:1], null, v2, s9, v[86:87]
	s_delay_alu instid0(VALU_DEP_1) | instskip(NEXT) | instid1(VALU_DEP_1)
	v_mad_u64_u32 v[1:2], null, v0, 56, v[236:237]
	v_ashrrev_i32_e32 v2, 31, v1
	s_waitcnt lgkmcnt(0)
	v_lshrrev_b32_e32 v0, 16, v3
	v_cvt_f32_f16_e32 v3, v3
	s_delay_alu instid0(VALU_DEP_2) | instskip(SKIP_1) | instid1(VALU_DEP_2)
	v_cvt_f32_f16_e32 v4, v0
	v_lshlrev_b64 v[0:1], 3, v[1:2]
	v_dual_add_f32 v2, 0, v3 :: v_dual_add_f32 v3, 0, v4
	s_delay_alu instid0(VALU_DEP_2) | instskip(NEXT) | instid1(VALU_DEP_3)
	v_add_co_u32 v4, vcc_lo, s35, v0
	v_add_co_ci_u32_e32 v5, vcc_lo, s67, v1, vcc_lo
	v_mov_b32_e32 v0, 0
	global_store_b64 v[4:5], v[2:3], off
.LBB19_190:                             ;   in Loop: Header=BB19_15 Depth=1
	s_or_b32 exec_lo, exec_lo, s1
	s_mov_b32 s1, -1
	s_mov_b32 s3, exec_lo
	v_cmpx_gt_i32_e32 50, v0
; %bb.191:                              ;   in Loop: Header=BB19_15 Depth=1
	v_cmp_eq_u32_e32 vcc_lo, 0, v0
	s_or_not1_b32 s1, vcc_lo, exec_lo
; %bb.192:                              ;   in Loop: Header=BB19_15 Depth=1
	s_or_b32 exec_lo, exec_lo, s3
	s_delay_alu instid0(SALU_CYCLE_1)
	s_and_b32 exec_lo, exec_lo, s1
	s_cbranch_execz .LBB19_220
; %bb.193:                              ;   in Loop: Header=BB19_15 Depth=1
	scratch_load_b32 v2, off, off offset:1252 ; 4-byte Folded Reload
	v_mov_b32_e32 v0, 50
	s_waitcnt vmcnt(0)
	v_cmp_gt_i32_e32 vcc_lo, s8, v2
	s_and_b32 s3, vcc_lo, s2
	s_delay_alu instid0(SALU_CYCLE_1)
	s_and_saveexec_b32 s1, s3
	s_cbranch_execz .LBB19_195
; %bb.194:                              ;   in Loop: Header=BB19_15 Depth=1
	ds_load_b32 v3, v82 offset:6720
	v_mad_u64_u32 v[0:1], null, v2, s9, v[86:87]
	s_delay_alu instid0(VALU_DEP_1) | instskip(NEXT) | instid1(VALU_DEP_1)
	v_mad_u64_u32 v[1:2], null, v0, 56, v[236:237]
	v_ashrrev_i32_e32 v2, 31, v1
	s_waitcnt lgkmcnt(0)
	v_lshrrev_b32_e32 v0, 16, v3
	v_cvt_f32_f16_e32 v3, v3
	s_delay_alu instid0(VALU_DEP_2) | instskip(SKIP_1) | instid1(VALU_DEP_2)
	v_cvt_f32_f16_e32 v4, v0
	v_lshlrev_b64 v[0:1], 3, v[1:2]
	v_dual_add_f32 v2, 0, v3 :: v_dual_add_f32 v3, 0, v4
	s_delay_alu instid0(VALU_DEP_2) | instskip(NEXT) | instid1(VALU_DEP_3)
	v_add_co_u32 v4, vcc_lo, s35, v0
	v_add_co_ci_u32_e32 v5, vcc_lo, s67, v1, vcc_lo
	v_mov_b32_e32 v0, 0
	global_store_b64 v[4:5], v[2:3], off
.LBB19_195:                             ;   in Loop: Header=BB19_15 Depth=1
	s_or_b32 exec_lo, exec_lo, s1
	s_mov_b32 s1, -1
	s_mov_b32 s3, exec_lo
	v_cmpx_gt_i32_e32 50, v0
; %bb.196:                              ;   in Loop: Header=BB19_15 Depth=1
	v_cmp_eq_u32_e32 vcc_lo, 0, v0
	s_or_not1_b32 s1, vcc_lo, exec_lo
; %bb.197:                              ;   in Loop: Header=BB19_15 Depth=1
	s_or_b32 exec_lo, exec_lo, s3
	s_delay_alu instid0(SALU_CYCLE_1)
	s_and_b32 exec_lo, exec_lo, s1
	s_cbranch_execz .LBB19_220
; %bb.198:                              ;   in Loop: Header=BB19_15 Depth=1
	scratch_load_b32 v2, off, off offset:1256 ; 4-byte Folded Reload
	v_mov_b32_e32 v0, 50
	s_waitcnt vmcnt(0)
	v_cmp_gt_i32_e32 vcc_lo, s8, v2
	s_and_b32 s3, vcc_lo, s2
	s_delay_alu instid0(SALU_CYCLE_1)
	s_and_saveexec_b32 s1, s3
	s_cbranch_execz .LBB19_200
; %bb.199:                              ;   in Loop: Header=BB19_15 Depth=1
	ds_load_b32 v3, v82 offset:7680
	v_mad_u64_u32 v[0:1], null, v2, s9, v[86:87]
	s_delay_alu instid0(VALU_DEP_1) | instskip(NEXT) | instid1(VALU_DEP_1)
	v_mad_u64_u32 v[1:2], null, v0, 56, v[236:237]
	v_ashrrev_i32_e32 v2, 31, v1
	s_waitcnt lgkmcnt(0)
	v_lshrrev_b32_e32 v0, 16, v3
	v_cvt_f32_f16_e32 v3, v3
	s_delay_alu instid0(VALU_DEP_2) | instskip(SKIP_1) | instid1(VALU_DEP_2)
	v_cvt_f32_f16_e32 v4, v0
	v_lshlrev_b64 v[0:1], 3, v[1:2]
	v_dual_add_f32 v2, 0, v3 :: v_dual_add_f32 v3, 0, v4
	s_delay_alu instid0(VALU_DEP_2) | instskip(NEXT) | instid1(VALU_DEP_3)
	v_add_co_u32 v4, vcc_lo, s35, v0
	v_add_co_ci_u32_e32 v5, vcc_lo, s67, v1, vcc_lo
	v_mov_b32_e32 v0, 0
	global_store_b64 v[4:5], v[2:3], off
.LBB19_200:                             ;   in Loop: Header=BB19_15 Depth=1
	s_or_b32 exec_lo, exec_lo, s1
	s_mov_b32 s1, -1
	s_mov_b32 s3, exec_lo
	v_cmpx_gt_i32_e32 50, v0
; %bb.201:                              ;   in Loop: Header=BB19_15 Depth=1
	v_cmp_eq_u32_e32 vcc_lo, 0, v0
	s_or_not1_b32 s1, vcc_lo, exec_lo
; %bb.202:                              ;   in Loop: Header=BB19_15 Depth=1
	s_or_b32 exec_lo, exec_lo, s3
	s_delay_alu instid0(SALU_CYCLE_1)
	s_and_b32 exec_lo, exec_lo, s1
	s_cbranch_execz .LBB19_220
; %bb.203:                              ;   in Loop: Header=BB19_15 Depth=1
	scratch_load_b32 v2, off, off offset:1260 ; 4-byte Folded Reload
	v_mov_b32_e32 v0, 50
	s_waitcnt vmcnt(0)
	v_cmp_gt_i32_e32 vcc_lo, s8, v2
	s_and_b32 s3, vcc_lo, s2
	s_delay_alu instid0(SALU_CYCLE_1)
	s_and_saveexec_b32 s1, s3
	s_cbranch_execz .LBB19_205
; %bb.204:                              ;   in Loop: Header=BB19_15 Depth=1
	scratch_load_b32 v0, off, off offset:1540 ; 4-byte Folded Reload
	s_waitcnt vmcnt(0)
	ds_load_b32 v3, v0
	v_mad_u64_u32 v[0:1], null, v2, s9, v[86:87]
	s_delay_alu instid0(VALU_DEP_1) | instskip(NEXT) | instid1(VALU_DEP_1)
	v_mad_u64_u32 v[1:2], null, v0, 56, v[236:237]
	v_ashrrev_i32_e32 v2, 31, v1
	s_waitcnt lgkmcnt(0)
	v_lshrrev_b32_e32 v0, 16, v3
	v_cvt_f32_f16_e32 v3, v3
	s_delay_alu instid0(VALU_DEP_2) | instskip(SKIP_1) | instid1(VALU_DEP_2)
	v_cvt_f32_f16_e32 v4, v0
	v_lshlrev_b64 v[0:1], 3, v[1:2]
	v_dual_add_f32 v2, 0, v3 :: v_dual_add_f32 v3, 0, v4
	s_delay_alu instid0(VALU_DEP_2) | instskip(NEXT) | instid1(VALU_DEP_3)
	v_add_co_u32 v4, vcc_lo, s35, v0
	v_add_co_ci_u32_e32 v5, vcc_lo, s67, v1, vcc_lo
	v_mov_b32_e32 v0, 0
	global_store_b64 v[4:5], v[2:3], off
.LBB19_205:                             ;   in Loop: Header=BB19_15 Depth=1
	s_or_b32 exec_lo, exec_lo, s1
	s_mov_b32 s1, -1
	s_mov_b32 s3, exec_lo
	v_cmpx_gt_i32_e32 50, v0
; %bb.206:                              ;   in Loop: Header=BB19_15 Depth=1
	v_cmp_eq_u32_e32 vcc_lo, 0, v0
	s_or_not1_b32 s1, vcc_lo, exec_lo
; %bb.207:                              ;   in Loop: Header=BB19_15 Depth=1
	s_or_b32 exec_lo, exec_lo, s3
	s_delay_alu instid0(SALU_CYCLE_1)
	s_and_b32 exec_lo, exec_lo, s1
	s_cbranch_execz .LBB19_220
; %bb.208:                              ;   in Loop: Header=BB19_15 Depth=1
	scratch_load_b32 v2, off, off offset:1264 ; 4-byte Folded Reload
	v_mov_b32_e32 v0, 50
	s_waitcnt vmcnt(0)
	v_cmp_gt_i32_e32 vcc_lo, s8, v2
	s_and_b32 s3, vcc_lo, s2
	s_delay_alu instid0(SALU_CYCLE_1)
	s_and_saveexec_b32 s1, s3
	s_cbranch_execz .LBB19_210
; %bb.209:                              ;   in Loop: Header=BB19_15 Depth=1
	ds_load_b32 v3, v82 offset:9600
	v_mad_u64_u32 v[0:1], null, v2, s9, v[86:87]
	s_delay_alu instid0(VALU_DEP_1) | instskip(NEXT) | instid1(VALU_DEP_1)
	v_mad_u64_u32 v[1:2], null, v0, 56, v[236:237]
	v_ashrrev_i32_e32 v2, 31, v1
	s_waitcnt lgkmcnt(0)
	v_lshrrev_b32_e32 v0, 16, v3
	v_cvt_f32_f16_e32 v3, v3
	s_delay_alu instid0(VALU_DEP_2) | instskip(SKIP_1) | instid1(VALU_DEP_2)
	v_cvt_f32_f16_e32 v4, v0
	v_lshlrev_b64 v[0:1], 3, v[1:2]
	v_dual_add_f32 v2, 0, v3 :: v_dual_add_f32 v3, 0, v4
	s_delay_alu instid0(VALU_DEP_2) | instskip(NEXT) | instid1(VALU_DEP_3)
	v_add_co_u32 v4, vcc_lo, s35, v0
	v_add_co_ci_u32_e32 v5, vcc_lo, s67, v1, vcc_lo
	v_mov_b32_e32 v0, 0
	global_store_b64 v[4:5], v[2:3], off
.LBB19_210:                             ;   in Loop: Header=BB19_15 Depth=1
	s_or_b32 exec_lo, exec_lo, s1
	s_mov_b32 s1, -1
	s_mov_b32 s3, exec_lo
	v_cmpx_gt_i32_e32 50, v0
; %bb.211:                              ;   in Loop: Header=BB19_15 Depth=1
	v_cmp_eq_u32_e32 vcc_lo, 0, v0
	s_or_not1_b32 s1, vcc_lo, exec_lo
; %bb.212:                              ;   in Loop: Header=BB19_15 Depth=1
	s_or_b32 exec_lo, exec_lo, s3
	s_delay_alu instid0(SALU_CYCLE_1)
	s_and_b32 exec_lo, exec_lo, s1
	s_cbranch_execz .LBB19_220
; %bb.213:                              ;   in Loop: Header=BB19_15 Depth=1
	scratch_load_b32 v2, off, off offset:1268 ; 4-byte Folded Reload
	v_mov_b32_e32 v0, 50
	s_waitcnt vmcnt(0)
	v_cmp_gt_i32_e32 vcc_lo, s8, v2
	s_and_b32 s3, vcc_lo, s2
	s_delay_alu instid0(SALU_CYCLE_1)
	s_and_saveexec_b32 s1, s3
	s_cbranch_execz .LBB19_215
; %bb.214:                              ;   in Loop: Header=BB19_15 Depth=1
	ds_load_b32 v3, v82 offset:10560
	v_mad_u64_u32 v[0:1], null, v2, s9, v[86:87]
	s_delay_alu instid0(VALU_DEP_1) | instskip(NEXT) | instid1(VALU_DEP_1)
	v_mad_u64_u32 v[1:2], null, v0, 56, v[236:237]
	v_ashrrev_i32_e32 v2, 31, v1
	s_waitcnt lgkmcnt(0)
	v_lshrrev_b32_e32 v0, 16, v3
	v_cvt_f32_f16_e32 v3, v3
	s_delay_alu instid0(VALU_DEP_2) | instskip(SKIP_1) | instid1(VALU_DEP_2)
	v_cvt_f32_f16_e32 v4, v0
	v_lshlrev_b64 v[0:1], 3, v[1:2]
	v_dual_add_f32 v2, 0, v3 :: v_dual_add_f32 v3, 0, v4
	s_delay_alu instid0(VALU_DEP_2) | instskip(NEXT) | instid1(VALU_DEP_3)
	v_add_co_u32 v4, vcc_lo, s35, v0
	v_add_co_ci_u32_e32 v5, vcc_lo, s67, v1, vcc_lo
	v_mov_b32_e32 v0, 0
	global_store_b64 v[4:5], v[2:3], off
.LBB19_215:                             ;   in Loop: Header=BB19_15 Depth=1
	s_or_b32 exec_lo, exec_lo, s1
	s_mov_b32 s1, -1
	s_mov_b32 s3, exec_lo
	v_cmpx_gt_i32_e32 50, v0
; %bb.216:                              ;   in Loop: Header=BB19_15 Depth=1
	v_cmp_eq_u32_e32 vcc_lo, 0, v0
	s_or_not1_b32 s1, vcc_lo, exec_lo
; %bb.217:                              ;   in Loop: Header=BB19_15 Depth=1
	s_or_b32 exec_lo, exec_lo, s3
	s_delay_alu instid0(SALU_CYCLE_1)
	s_and_b32 exec_lo, exec_lo, s1
	s_cbranch_execz .LBB19_220
; %bb.218:                              ;   in Loop: Header=BB19_15 Depth=1
	scratch_load_b32 v0, off, off offset:1272 ; 4-byte Folded Reload
	s_waitcnt vmcnt(0)
	v_cmp_gt_i32_e32 vcc_lo, s8, v0
	s_and_b32 s1, vcc_lo, s2
	s_delay_alu instid0(SALU_CYCLE_1)
	s_and_b32 exec_lo, exec_lo, s1
	s_cbranch_execz .LBB19_220
; %bb.219:                              ;   in Loop: Header=BB19_15 Depth=1
	scratch_load_b32 v2, off, off offset:1272 ; 4-byte Folded Reload
	ds_load_b32 v3, v82 offset:11520
	s_waitcnt vmcnt(0)
	v_mad_u64_u32 v[0:1], null, v2, s9, v[86:87]
	s_delay_alu instid0(VALU_DEP_1) | instskip(SKIP_3) | instid1(VALU_DEP_2)
	v_mad_u64_u32 v[1:2], null, v0, 56, v[236:237]
	s_waitcnt lgkmcnt(0)
	v_lshrrev_b32_e32 v0, 16, v3
	v_cvt_f32_f16_e32 v3, v3
	v_cvt_f32_f16_e32 v4, v0
	s_delay_alu instid0(VALU_DEP_4) | instskip(NEXT) | instid1(VALU_DEP_1)
	v_ashrrev_i32_e32 v2, 31, v1
	v_lshlrev_b64 v[0:1], 3, v[1:2]
	s_delay_alu instid0(VALU_DEP_3) | instskip(NEXT) | instid1(VALU_DEP_2)
	v_dual_add_f32 v2, 0, v3 :: v_dual_add_f32 v3, 0, v4
	v_add_co_u32 v0, vcc_lo, s35, v0
	s_delay_alu instid0(VALU_DEP_3)
	v_add_co_ci_u32_e32 v1, vcc_lo, s67, v1, vcc_lo
	global_store_b64 v[0:1], v[2:3], off
.LBB19_220:                             ;   in Loop: Header=BB19_15 Depth=1
	s_or_b32 exec_lo, exec_lo, s0
	scratch_load_b32 v0, off, off offset:964 ; 4-byte Folded Reload
	s_waitcnt vmcnt(2)
	v_cmp_gt_i32_e64 s1, s8, v10
	s_waitcnt vmcnt(0)
	v_cmp_gt_i32_e64 s2, s33, v0
	v_cmp_le_i32_e32 vcc_lo, s33, v0
	v_mov_b32_e32 v0, 50
	s_delay_alu instid0(VALU_DEP_3) | instskip(NEXT) | instid1(SALU_CYCLE_1)
	s_and_b32 s1, s1, s2
	s_and_saveexec_b32 s0, s1
	s_cbranch_execz .LBB19_222
; %bb.221:                              ;   in Loop: Header=BB19_15 Depth=1
	scratch_load_b32 v4, off, off offset:1160 ; 4-byte Folded Reload
	v_mad_u64_u32 v[0:1], null, v10, s9, v[83:84]
	ds_load_b32 v2, v65 offset:128
	v_mul_lo_u32 v0, v0, 56
	s_delay_alu instid0(VALU_DEP_1) | instskip(SKIP_3) | instid1(VALU_DEP_2)
	v_ashrrev_i32_e32 v1, 31, v0
	s_waitcnt lgkmcnt(0)
	v_lshrrev_b32_e32 v3, 16, v2
	v_cvt_f32_f16_e32 v2, v2
	v_cvt_f32_f16_e32 v3, v3
	s_delay_alu instid0(VALU_DEP_1) | instskip(SKIP_2) | instid1(VALU_DEP_1)
	v_dual_add_f32 v2, 0, v2 :: v_dual_add_f32 v3, 0, v3
	s_waitcnt vmcnt(0)
	v_add_co_u32 v0, s1, v0, v4
	v_add_co_ci_u32_e64 v1, s1, 0, v1, s1
	s_delay_alu instid0(VALU_DEP_1) | instskip(NEXT) | instid1(VALU_DEP_1)
	v_lshlrev_b64 v[0:1], 3, v[0:1]
	v_add_co_u32 v4, s1, s35, v0
	s_delay_alu instid0(VALU_DEP_1)
	v_add_co_ci_u32_e64 v5, s1, s67, v1, s1
	v_mov_b32_e32 v0, 0
	global_store_b64 v[4:5], v[2:3], off offset:256
.LBB19_222:                             ;   in Loop: Header=BB19_15 Depth=1
	s_or_b32 exec_lo, exec_lo, s0
	s_mov_b32 s2, -1
	s_mov_b32 s0, exec_lo
	v_cmpx_gt_i32_e32 50, v0
; %bb.223:                              ;   in Loop: Header=BB19_15 Depth=1
	v_cmp_eq_u32_e64 s1, 0, v0
	s_delay_alu instid0(VALU_DEP_1)
	s_or_not1_b32 s2, s1, exec_lo
; %bb.224:                              ;   in Loop: Header=BB19_15 Depth=1
	s_or_b32 exec_lo, exec_lo, s0
	s_and_saveexec_b32 s0, s2
	s_cbranch_execz .LBB19_257
; %bb.225:                              ;   in Loop: Header=BB19_15 Depth=1
	v_cmp_gt_i32_e64 s1, s8, v9
	v_mov_b32_e32 v0, 50
	s_xor_b32 s2, vcc_lo, -1
	s_delay_alu instid0(VALU_DEP_2) | instid1(SALU_CYCLE_1)
	s_and_b32 s3, s1, s2
	s_delay_alu instid0(SALU_CYCLE_1)
	s_and_saveexec_b32 s1, s3
	s_cbranch_execz .LBB19_227
; %bb.226:                              ;   in Loop: Header=BB19_15 Depth=1
	scratch_load_b32 v4, off, off offset:1160 ; 4-byte Folded Reload
	v_mad_u64_u32 v[0:1], null, v9, s9, v[83:84]
	ds_load_b32 v2, v65 offset:2048
	v_mul_lo_u32 v0, v0, 56
	s_delay_alu instid0(VALU_DEP_1) | instskip(SKIP_3) | instid1(VALU_DEP_2)
	v_ashrrev_i32_e32 v1, 31, v0
	s_waitcnt lgkmcnt(0)
	v_lshrrev_b32_e32 v3, 16, v2
	v_cvt_f32_f16_e32 v2, v2
	v_cvt_f32_f16_e32 v3, v3
	s_delay_alu instid0(VALU_DEP_1) | instskip(SKIP_3) | instid1(VALU_DEP_1)
	v_dual_add_f32 v2, 0, v2 :: v_dual_add_f32 v3, 0, v3
	s_waitcnt vmcnt(0)
	v_add_co_u32 v0, vcc_lo, v0, v4
	v_add_co_ci_u32_e32 v1, vcc_lo, 0, v1, vcc_lo
	v_lshlrev_b64 v[0:1], 3, v[0:1]
	s_delay_alu instid0(VALU_DEP_1) | instskip(NEXT) | instid1(VALU_DEP_2)
	v_add_co_u32 v4, vcc_lo, s35, v0
	v_add_co_ci_u32_e32 v5, vcc_lo, s67, v1, vcc_lo
	v_mov_b32_e32 v0, 0
	global_store_b64 v[4:5], v[2:3], off offset:256
.LBB19_227:                             ;   in Loop: Header=BB19_15 Depth=1
	s_or_b32 exec_lo, exec_lo, s1
	s_mov_b32 s1, -1
	s_mov_b32 s3, exec_lo
	v_cmpx_gt_i32_e32 50, v0
; %bb.228:                              ;   in Loop: Header=BB19_15 Depth=1
	v_cmp_eq_u32_e32 vcc_lo, 0, v0
	s_or_not1_b32 s1, vcc_lo, exec_lo
; %bb.229:                              ;   in Loop: Header=BB19_15 Depth=1
	s_or_b32 exec_lo, exec_lo, s3
	s_delay_alu instid0(SALU_CYCLE_1)
	s_and_b32 exec_lo, exec_lo, s1
	s_cbranch_execz .LBB19_257
; %bb.230:                              ;   in Loop: Header=BB19_15 Depth=1
	scratch_load_b32 v3, off, off offset:1176 ; 4-byte Folded Reload
	v_mov_b32_e32 v0, 50
	s_waitcnt vmcnt(0)
	v_cmp_gt_i32_e32 vcc_lo, s8, v3
	s_and_b32 s3, vcc_lo, s2
	s_delay_alu instid0(SALU_CYCLE_1)
	s_and_saveexec_b32 s1, s3
	s_cbranch_execz .LBB19_232
; %bb.231:                              ;   in Loop: Header=BB19_15 Depth=1
	s_clause 0x1
	scratch_load_b32 v0, off, off offset:1460
	scratch_load_b32 v4, off, off offset:1160
	s_waitcnt vmcnt(1)
	ds_load_b32 v2, v0 offset:128
	v_mad_u64_u32 v[0:1], null, v3, s9, v[83:84]
	s_delay_alu instid0(VALU_DEP_1) | instskip(NEXT) | instid1(VALU_DEP_1)
	v_mul_lo_u32 v0, v0, 56
	v_ashrrev_i32_e32 v1, 31, v0
	s_waitcnt vmcnt(0)
	v_add_co_u32 v0, vcc_lo, v0, v4
	s_waitcnt lgkmcnt(0)
	v_lshrrev_b32_e32 v3, 16, v2
	v_cvt_f32_f16_e32 v2, v2
	v_add_co_ci_u32_e32 v1, vcc_lo, 0, v1, vcc_lo
	s_delay_alu instid0(VALU_DEP_3) | instskip(NEXT) | instid1(VALU_DEP_3)
	v_cvt_f32_f16_e32 v3, v3
	v_add_f32_e32 v2, 0, v2
	s_delay_alu instid0(VALU_DEP_3) | instskip(NEXT) | instid1(VALU_DEP_3)
	v_lshlrev_b64 v[0:1], 3, v[0:1]
	v_add_f32_e32 v3, 0, v3
	s_delay_alu instid0(VALU_DEP_2) | instskip(NEXT) | instid1(VALU_DEP_3)
	v_add_co_u32 v4, vcc_lo, s35, v0
	v_add_co_ci_u32_e32 v5, vcc_lo, s67, v1, vcc_lo
	v_mov_b32_e32 v0, 0
	global_store_b64 v[4:5], v[2:3], off offset:256
.LBB19_232:                             ;   in Loop: Header=BB19_15 Depth=1
	s_or_b32 exec_lo, exec_lo, s1
	s_mov_b32 s1, -1
	s_mov_b32 s3, exec_lo
	v_cmpx_gt_i32_e32 50, v0
; %bb.233:                              ;   in Loop: Header=BB19_15 Depth=1
	v_cmp_eq_u32_e32 vcc_lo, 0, v0
	s_or_not1_b32 s1, vcc_lo, exec_lo
; %bb.234:                              ;   in Loop: Header=BB19_15 Depth=1
	s_or_b32 exec_lo, exec_lo, s3
	s_delay_alu instid0(SALU_CYCLE_1)
	s_and_b32 exec_lo, exec_lo, s1
	s_cbranch_execz .LBB19_257
; %bb.235:                              ;   in Loop: Header=BB19_15 Depth=1
	scratch_load_b32 v3, off, off offset:1188 ; 4-byte Folded Reload
	v_mov_b32_e32 v0, 50
	s_waitcnt vmcnt(0)
	v_cmp_gt_i32_e32 vcc_lo, s8, v3
	s_and_b32 s3, vcc_lo, s2
	s_delay_alu instid0(SALU_CYCLE_1)
	s_and_saveexec_b32 s1, s3
	s_cbranch_execz .LBB19_237
; %bb.236:                              ;   in Loop: Header=BB19_15 Depth=1
	scratch_load_b32 v4, off, off offset:1160 ; 4-byte Folded Reload
	v_mad_u64_u32 v[0:1], null, v3, s9, v[83:84]
	ds_load_b32 v2, v65 offset:5888
	v_mul_lo_u32 v0, v0, 56
	s_delay_alu instid0(VALU_DEP_1) | instskip(SKIP_3) | instid1(VALU_DEP_2)
	v_ashrrev_i32_e32 v1, 31, v0
	s_waitcnt lgkmcnt(0)
	v_lshrrev_b32_e32 v3, 16, v2
	v_cvt_f32_f16_e32 v2, v2
	v_cvt_f32_f16_e32 v3, v3
	s_delay_alu instid0(VALU_DEP_1) | instskip(SKIP_3) | instid1(VALU_DEP_1)
	v_dual_add_f32 v2, 0, v2 :: v_dual_add_f32 v3, 0, v3
	s_waitcnt vmcnt(0)
	v_add_co_u32 v0, vcc_lo, v0, v4
	v_add_co_ci_u32_e32 v1, vcc_lo, 0, v1, vcc_lo
	v_lshlrev_b64 v[0:1], 3, v[0:1]
	s_delay_alu instid0(VALU_DEP_1) | instskip(NEXT) | instid1(VALU_DEP_2)
	v_add_co_u32 v4, vcc_lo, s35, v0
	v_add_co_ci_u32_e32 v5, vcc_lo, s67, v1, vcc_lo
	v_mov_b32_e32 v0, 0
	global_store_b64 v[4:5], v[2:3], off offset:256
.LBB19_237:                             ;   in Loop: Header=BB19_15 Depth=1
	s_or_b32 exec_lo, exec_lo, s1
	s_mov_b32 s1, -1
	s_mov_b32 s3, exec_lo
	v_cmpx_gt_i32_e32 50, v0
; %bb.238:                              ;   in Loop: Header=BB19_15 Depth=1
	v_cmp_eq_u32_e32 vcc_lo, 0, v0
	s_or_not1_b32 s1, vcc_lo, exec_lo
; %bb.239:                              ;   in Loop: Header=BB19_15 Depth=1
	s_or_b32 exec_lo, exec_lo, s3
	s_delay_alu instid0(SALU_CYCLE_1)
	s_and_b32 exec_lo, exec_lo, s1
	s_cbranch_execz .LBB19_257
; %bb.240:                              ;   in Loop: Header=BB19_15 Depth=1
	scratch_load_b32 v3, off, off offset:1196 ; 4-byte Folded Reload
	v_mov_b32_e32 v0, 50
	s_waitcnt vmcnt(0)
	v_cmp_gt_i32_e32 vcc_lo, s8, v3
	s_and_b32 s3, vcc_lo, s2
	s_delay_alu instid0(SALU_CYCLE_1)
	s_and_saveexec_b32 s1, s3
	s_cbranch_execz .LBB19_242
; %bb.241:                              ;   in Loop: Header=BB19_15 Depth=1
	s_clause 0x1
	scratch_load_b32 v0, off, off offset:1504
	scratch_load_b32 v4, off, off offset:1160
	s_waitcnt vmcnt(1)
	ds_load_b32 v2, v0 offset:128
	v_mad_u64_u32 v[0:1], null, v3, s9, v[83:84]
	s_delay_alu instid0(VALU_DEP_1) | instskip(NEXT) | instid1(VALU_DEP_1)
	v_mul_lo_u32 v0, v0, 56
	v_ashrrev_i32_e32 v1, 31, v0
	s_waitcnt vmcnt(0)
	v_add_co_u32 v0, vcc_lo, v0, v4
	s_waitcnt lgkmcnt(0)
	v_lshrrev_b32_e32 v3, 16, v2
	v_cvt_f32_f16_e32 v2, v2
	v_add_co_ci_u32_e32 v1, vcc_lo, 0, v1, vcc_lo
	s_delay_alu instid0(VALU_DEP_3) | instskip(NEXT) | instid1(VALU_DEP_3)
	v_cvt_f32_f16_e32 v3, v3
	v_add_f32_e32 v2, 0, v2
	s_delay_alu instid0(VALU_DEP_3) | instskip(NEXT) | instid1(VALU_DEP_3)
	v_lshlrev_b64 v[0:1], 3, v[0:1]
	v_add_f32_e32 v3, 0, v3
	s_delay_alu instid0(VALU_DEP_2) | instskip(NEXT) | instid1(VALU_DEP_3)
	v_add_co_u32 v4, vcc_lo, s35, v0
	v_add_co_ci_u32_e32 v5, vcc_lo, s67, v1, vcc_lo
	v_mov_b32_e32 v0, 0
	global_store_b64 v[4:5], v[2:3], off offset:256
.LBB19_242:                             ;   in Loop: Header=BB19_15 Depth=1
	s_or_b32 exec_lo, exec_lo, s1
	s_mov_b32 s1, -1
	s_mov_b32 s3, exec_lo
	v_cmpx_gt_i32_e32 50, v0
; %bb.243:                              ;   in Loop: Header=BB19_15 Depth=1
	v_cmp_eq_u32_e32 vcc_lo, 0, v0
	s_or_not1_b32 s1, vcc_lo, exec_lo
; %bb.244:                              ;   in Loop: Header=BB19_15 Depth=1
	s_or_b32 exec_lo, exec_lo, s3
	s_delay_alu instid0(SALU_CYCLE_1)
	s_and_b32 exec_lo, exec_lo, s1
	s_cbranch_execz .LBB19_257
; %bb.245:                              ;   in Loop: Header=BB19_15 Depth=1
	scratch_load_b32 v3, off, off offset:1204 ; 4-byte Folded Reload
	v_mov_b32_e32 v0, 50
	s_waitcnt vmcnt(0)
	v_cmp_gt_i32_e32 vcc_lo, s8, v3
	s_and_b32 s3, vcc_lo, s2
	s_delay_alu instid0(SALU_CYCLE_1)
	s_and_saveexec_b32 s1, s3
	s_cbranch_execz .LBB19_247
; %bb.246:                              ;   in Loop: Header=BB19_15 Depth=1
	scratch_load_b32 v4, off, off offset:1160 ; 4-byte Folded Reload
	v_mad_u64_u32 v[0:1], null, v3, s9, v[83:84]
	ds_load_b32 v2, v65 offset:9728
	v_mul_lo_u32 v0, v0, 56
	s_delay_alu instid0(VALU_DEP_1) | instskip(SKIP_3) | instid1(VALU_DEP_2)
	v_ashrrev_i32_e32 v1, 31, v0
	s_waitcnt lgkmcnt(0)
	v_lshrrev_b32_e32 v3, 16, v2
	v_cvt_f32_f16_e32 v2, v2
	v_cvt_f32_f16_e32 v3, v3
	s_delay_alu instid0(VALU_DEP_1) | instskip(SKIP_3) | instid1(VALU_DEP_1)
	v_dual_add_f32 v2, 0, v2 :: v_dual_add_f32 v3, 0, v3
	s_waitcnt vmcnt(0)
	v_add_co_u32 v0, vcc_lo, v0, v4
	v_add_co_ci_u32_e32 v1, vcc_lo, 0, v1, vcc_lo
	v_lshlrev_b64 v[0:1], 3, v[0:1]
	s_delay_alu instid0(VALU_DEP_1) | instskip(NEXT) | instid1(VALU_DEP_2)
	v_add_co_u32 v4, vcc_lo, s35, v0
	v_add_co_ci_u32_e32 v5, vcc_lo, s67, v1, vcc_lo
	v_mov_b32_e32 v0, 0
	global_store_b64 v[4:5], v[2:3], off offset:256
.LBB19_247:                             ;   in Loop: Header=BB19_15 Depth=1
	s_or_b32 exec_lo, exec_lo, s1
	s_mov_b32 s1, -1
	s_mov_b32 s3, exec_lo
	v_cmpx_gt_i32_e32 50, v0
; %bb.248:                              ;   in Loop: Header=BB19_15 Depth=1
	v_cmp_eq_u32_e32 vcc_lo, 0, v0
	s_or_not1_b32 s1, vcc_lo, exec_lo
; %bb.249:                              ;   in Loop: Header=BB19_15 Depth=1
	s_or_b32 exec_lo, exec_lo, s3
	s_delay_alu instid0(SALU_CYCLE_1)
	s_and_b32 exec_lo, exec_lo, s1
	s_cbranch_execz .LBB19_257
; %bb.250:                              ;   in Loop: Header=BB19_15 Depth=1
	scratch_load_b32 v3, off, off offset:1228 ; 4-byte Folded Reload
	v_mov_b32_e32 v0, 50
	s_waitcnt vmcnt(0)
	v_cmp_gt_i32_e32 vcc_lo, s8, v3
	s_and_b32 s3, vcc_lo, s2
	s_delay_alu instid0(SALU_CYCLE_1)
	s_and_saveexec_b32 s1, s3
	s_cbranch_execz .LBB19_252
; %bb.251:                              ;   in Loop: Header=BB19_15 Depth=1
	s_clause 0x1
	scratch_load_b32 v0, off, off offset:1524
	scratch_load_b32 v4, off, off offset:1160
	s_waitcnt vmcnt(1)
	ds_load_b32 v2, v0 offset:128
	v_mad_u64_u32 v[0:1], null, v3, s9, v[83:84]
	s_delay_alu instid0(VALU_DEP_1) | instskip(NEXT) | instid1(VALU_DEP_1)
	v_mul_lo_u32 v0, v0, 56
	v_ashrrev_i32_e32 v1, 31, v0
	s_waitcnt vmcnt(0)
	v_add_co_u32 v0, vcc_lo, v0, v4
	s_waitcnt lgkmcnt(0)
	v_lshrrev_b32_e32 v3, 16, v2
	v_cvt_f32_f16_e32 v2, v2
	v_add_co_ci_u32_e32 v1, vcc_lo, 0, v1, vcc_lo
	s_delay_alu instid0(VALU_DEP_3) | instskip(NEXT) | instid1(VALU_DEP_3)
	v_cvt_f32_f16_e32 v3, v3
	v_add_f32_e32 v2, 0, v2
	s_delay_alu instid0(VALU_DEP_3) | instskip(NEXT) | instid1(VALU_DEP_3)
	v_lshlrev_b64 v[0:1], 3, v[0:1]
	v_add_f32_e32 v3, 0, v3
	s_delay_alu instid0(VALU_DEP_2) | instskip(NEXT) | instid1(VALU_DEP_3)
	v_add_co_u32 v4, vcc_lo, s35, v0
	v_add_co_ci_u32_e32 v5, vcc_lo, s67, v1, vcc_lo
	v_mov_b32_e32 v0, 0
	global_store_b64 v[4:5], v[2:3], off offset:256
.LBB19_252:                             ;   in Loop: Header=BB19_15 Depth=1
	s_or_b32 exec_lo, exec_lo, s1
	s_mov_b32 s1, -1
	s_mov_b32 s3, exec_lo
	v_cmpx_gt_i32_e32 50, v0
; %bb.253:                              ;   in Loop: Header=BB19_15 Depth=1
	v_cmp_eq_u32_e32 vcc_lo, 0, v0
	s_or_not1_b32 s1, vcc_lo, exec_lo
; %bb.254:                              ;   in Loop: Header=BB19_15 Depth=1
	s_or_b32 exec_lo, exec_lo, s3
	s_delay_alu instid0(SALU_CYCLE_1)
	s_and_b32 exec_lo, exec_lo, s1
	s_cbranch_execz .LBB19_257
; %bb.255:                              ;   in Loop: Header=BB19_15 Depth=1
	scratch_load_b32 v0, off, off offset:1236 ; 4-byte Folded Reload
	s_waitcnt vmcnt(0)
	v_cmp_gt_i32_e32 vcc_lo, s8, v0
	s_and_b32 s1, vcc_lo, s2
	s_delay_alu instid0(SALU_CYCLE_1)
	s_and_b32 exec_lo, exec_lo, s1
	s_cbranch_execz .LBB19_257
; %bb.256:                              ;   in Loop: Header=BB19_15 Depth=1
	s_clause 0x1
	scratch_load_b32 v3, off, off offset:1236
	scratch_load_b32 v4, off, off offset:1160
	ds_load_b32 v2, v65 offset:13568
	s_waitcnt vmcnt(1)
	v_mad_u64_u32 v[0:1], null, v3, s9, v[83:84]
	s_waitcnt lgkmcnt(0)
	v_lshrrev_b32_e32 v3, 16, v2
	v_cvt_f32_f16_e32 v2, v2
	s_delay_alu instid0(VALU_DEP_2) | instskip(NEXT) | instid1(VALU_DEP_4)
	v_cvt_f32_f16_e32 v3, v3
	v_mul_lo_u32 v0, v0, 56
	s_delay_alu instid0(VALU_DEP_2) | instskip(NEXT) | instid1(VALU_DEP_2)
	v_dual_add_f32 v2, 0, v2 :: v_dual_add_f32 v3, 0, v3
	v_ashrrev_i32_e32 v1, 31, v0
	s_waitcnt vmcnt(0)
	v_add_co_u32 v0, vcc_lo, v0, v4
	s_delay_alu instid0(VALU_DEP_2) | instskip(NEXT) | instid1(VALU_DEP_1)
	v_add_co_ci_u32_e32 v1, vcc_lo, 0, v1, vcc_lo
	v_lshlrev_b64 v[0:1], 3, v[0:1]
	s_delay_alu instid0(VALU_DEP_1) | instskip(NEXT) | instid1(VALU_DEP_2)
	v_add_co_u32 v0, vcc_lo, s35, v0
	v_add_co_ci_u32_e32 v1, vcc_lo, s67, v1, vcc_lo
	global_store_b64 v[0:1], v[2:3], off offset:256
.LBB19_257:                             ;   in Loop: Header=BB19_15 Depth=1
	s_or_b32 exec_lo, exec_lo, s0
	scratch_load_b32 v0, off, off offset:868 ; 4-byte Folded Reload
	v_cmp_gt_i32_e64 s1, s8, v8
	s_waitcnt vmcnt(0)
	v_cmp_gt_i32_e64 s2, s33, v0
	v_cmp_le_i32_e32 vcc_lo, s33, v0
	v_mov_b32_e32 v0, 50
	s_delay_alu instid0(VALU_DEP_3) | instskip(NEXT) | instid1(SALU_CYCLE_1)
	s_and_b32 s1, s1, s2
	s_and_saveexec_b32 s0, s1
	s_cbranch_execz .LBB19_259
; %bb.258:                              ;   in Loop: Header=BB19_15 Depth=1
	v_mad_u64_u32 v[0:1], null, v8, s9, v[84:85]
	s_clause 0x1
	scratch_load_b32 v1, off, off offset:928
	scratch_load_b32 v3, off, off offset:940
	v_mul_lo_u32 v0, v0, 56
	s_waitcnt vmcnt(1)
	ds_load_b32 v2, v1 offset:192
	v_ashrrev_i32_e32 v1, 31, v0
	s_waitcnt vmcnt(0)
	v_or_b32_e32 v0, v0, v3
	s_delay_alu instid0(VALU_DEP_2) | instskip(NEXT) | instid1(VALU_DEP_1)
	v_or_b32_e32 v1, 0, v1
	v_lshlrev_b64 v[0:1], 3, v[0:1]
	s_delay_alu instid0(VALU_DEP_1) | instskip(NEXT) | instid1(VALU_DEP_1)
	v_add_co_u32 v4, s1, s35, v0
	v_add_co_ci_u32_e64 v5, s1, s67, v1, s1
	s_waitcnt lgkmcnt(0)
	v_lshrrev_b32_e32 v3, 16, v2
	v_cvt_f32_f16_e32 v2, v2
	v_mov_b32_e32 v0, 0
	s_delay_alu instid0(VALU_DEP_3) | instskip(NEXT) | instid1(VALU_DEP_1)
	v_cvt_f32_f16_e32 v3, v3
	v_dual_add_f32 v2, 0, v2 :: v_dual_add_f32 v3, 0, v3
	global_store_b64 v[4:5], v[2:3], off offset:384
.LBB19_259:                             ;   in Loop: Header=BB19_15 Depth=1
	s_or_b32 exec_lo, exec_lo, s0
	s_mov_b32 s3, -1
	s_mov_b32 s0, exec_lo
	v_cmpx_gt_i32_e32 50, v0
; %bb.260:                              ;   in Loop: Header=BB19_15 Depth=1
	v_cmp_eq_u32_e64 s1, 0, v0
	s_delay_alu instid0(VALU_DEP_1)
	s_or_not1_b32 s3, s1, exec_lo
; %bb.261:                              ;   in Loop: Header=BB19_15 Depth=1
	s_or_b32 exec_lo, exec_lo, s0
	s_mov_b32 s0, 0
	s_mov_b32 s75, 0
                                        ; implicit-def: $vgpr1
	s_and_saveexec_b32 s2, s3
	s_cbranch_execz .LBB19_277
; %bb.262:                              ;   in Loop: Header=BB19_15 Depth=1
	v_cmp_gt_i32_e64 s1, s8, v7
	v_mov_b32_e32 v0, 50
	s_xor_b32 s3, vcc_lo, -1
	s_delay_alu instid0(VALU_DEP_2) | instid1(SALU_CYCLE_1)
	s_and_b32 s4, s1, s3
	s_delay_alu instid0(SALU_CYCLE_1)
	s_and_saveexec_b32 s1, s4
	s_cbranch_execz .LBB19_264
; %bb.263:                              ;   in Loop: Header=BB19_15 Depth=1
	v_mad_u64_u32 v[0:1], null, v7, s9, v[84:85]
	s_clause 0x1
	scratch_load_b32 v1, off, off offset:1336
	scratch_load_b32 v3, off, off offset:940
	v_mul_lo_u32 v0, v0, 56
	s_waitcnt vmcnt(1)
	ds_load_b32 v2, v1 offset:192
	v_ashrrev_i32_e32 v1, 31, v0
	s_waitcnt vmcnt(0)
	v_or_b32_e32 v0, v0, v3
	s_delay_alu instid0(VALU_DEP_2) | instskip(NEXT) | instid1(VALU_DEP_1)
	v_or_b32_e32 v1, 0, v1
	v_lshlrev_b64 v[0:1], 3, v[0:1]
	s_delay_alu instid0(VALU_DEP_1) | instskip(NEXT) | instid1(VALU_DEP_2)
	v_add_co_u32 v4, vcc_lo, s35, v0
	v_add_co_ci_u32_e32 v5, vcc_lo, s67, v1, vcc_lo
	s_waitcnt lgkmcnt(0)
	v_lshrrev_b32_e32 v3, 16, v2
	v_cvt_f32_f16_e32 v2, v2
	v_mov_b32_e32 v0, 0
	s_delay_alu instid0(VALU_DEP_3) | instskip(NEXT) | instid1(VALU_DEP_1)
	v_cvt_f32_f16_e32 v3, v3
	v_dual_add_f32 v2, 0, v2 :: v_dual_add_f32 v3, 0, v3
	global_store_b64 v[4:5], v[2:3], off offset:384
.LBB19_264:                             ;   in Loop: Header=BB19_15 Depth=1
	s_or_b32 exec_lo, exec_lo, s1
	s_mov_b32 s5, -1
	s_mov_b32 s1, exec_lo
	v_cmpx_gt_i32_e32 50, v0
; %bb.265:                              ;   in Loop: Header=BB19_15 Depth=1
	v_cmp_eq_u32_e32 vcc_lo, 0, v0
	s_or_not1_b32 s5, vcc_lo, exec_lo
; %bb.266:                              ;   in Loop: Header=BB19_15 Depth=1
	s_or_b32 exec_lo, exec_lo, s1
	s_mov_b32 s4, 0
                                        ; implicit-def: $vgpr1
	s_and_saveexec_b32 s1, s5
	s_cbranch_execz .LBB19_276
; %bb.267:                              ;   in Loop: Header=BB19_15 Depth=1
	scratch_load_b32 v2, off, off offset:1172 ; 4-byte Folded Reload
	v_mov_b32_e32 v0, 50
	s_waitcnt vmcnt(0)
	v_cmp_gt_i32_e32 vcc_lo, s8, v2
	s_and_b32 s5, vcc_lo, s3
	s_delay_alu instid0(SALU_CYCLE_1)
	s_and_saveexec_b32 s4, s5
	s_cbranch_execz .LBB19_269
; %bb.268:                              ;   in Loop: Header=BB19_15 Depth=1
	v_mad_u64_u32 v[0:1], null, v2, s9, v[84:85]
	s_clause 0x1
	scratch_load_b32 v1, off, off offset:1464
	scratch_load_b32 v3, off, off offset:940
	v_mul_lo_u32 v0, v0, 56
	s_waitcnt vmcnt(1)
	ds_load_b32 v2, v1 offset:192
	v_ashrrev_i32_e32 v1, 31, v0
	s_waitcnt vmcnt(0)
	v_or_b32_e32 v0, v0, v3
	s_delay_alu instid0(VALU_DEP_2) | instskip(NEXT) | instid1(VALU_DEP_1)
	v_or_b32_e32 v1, 0, v1
	v_lshlrev_b64 v[0:1], 3, v[0:1]
	s_delay_alu instid0(VALU_DEP_1) | instskip(NEXT) | instid1(VALU_DEP_2)
	v_add_co_u32 v4, vcc_lo, s35, v0
	v_add_co_ci_u32_e32 v5, vcc_lo, s67, v1, vcc_lo
	s_waitcnt lgkmcnt(0)
	v_lshrrev_b32_e32 v3, 16, v2
	v_cvt_f32_f16_e32 v2, v2
	v_mov_b32_e32 v0, 0
	s_delay_alu instid0(VALU_DEP_3) | instskip(NEXT) | instid1(VALU_DEP_1)
	v_cvt_f32_f16_e32 v3, v3
	v_dual_add_f32 v2, 0, v2 :: v_dual_add_f32 v3, 0, v3
	global_store_b64 v[4:5], v[2:3], off offset:384
.LBB19_269:                             ;   in Loop: Header=BB19_15 Depth=1
	s_or_b32 exec_lo, exec_lo, s4
	s_mov_b32 s6, -1
	s_mov_b32 s4, exec_lo
	v_cmpx_gt_i32_e32 50, v0
; %bb.270:                              ;   in Loop: Header=BB19_15 Depth=1
	v_cmp_eq_u32_e32 vcc_lo, 0, v0
	s_or_not1_b32 s6, vcc_lo, exec_lo
; %bb.271:                              ;   in Loop: Header=BB19_15 Depth=1
	s_or_b32 exec_lo, exec_lo, s4
	s_mov_b32 s5, 0
                                        ; implicit-def: $vgpr1
	s_and_saveexec_b32 s4, s6
	s_cbranch_execz .LBB19_275
; %bb.272:                              ;   in Loop: Header=BB19_15 Depth=1
	scratch_load_b32 v0, off, off offset:936 ; 4-byte Folded Reload
                                        ; implicit-def: $vgpr1
	s_waitcnt vmcnt(0)
	v_cmp_gt_i32_e32 vcc_lo, s8, v0
	s_and_b32 s5, vcc_lo, s3
	s_mov_b32 s3, 0
	s_and_saveexec_b32 s6, s5
	s_delay_alu instid0(SALU_CYCLE_1)
	s_xor_b32 s5, exec_lo, s6
	s_cbranch_execz .LBB19_274
; %bb.273:                              ;   in Loop: Header=BB19_15 Depth=1
	scratch_load_b32 v0, off, off offset:1484 ; 4-byte Folded Reload
	s_mov_b32 s3, exec_lo
	s_waitcnt vmcnt(0)
	ds_load_b32 v0, v0 offset:192
	s_waitcnt lgkmcnt(0)
	v_lshrrev_b32_e32 v1, 16, v0
	v_cvt_f32_f16_e32 v0, v0
	s_delay_alu instid0(VALU_DEP_2) | instskip(NEXT) | instid1(VALU_DEP_1)
	v_cvt_f32_f16_e32 v1, v1
	v_dual_add_f32 v0, 0, v0 :: v_dual_add_f32 v1, 0, v1
.LBB19_274:                             ;   in Loop: Header=BB19_15 Depth=1
	s_or_b32 exec_lo, exec_lo, s5
	s_delay_alu instid0(SALU_CYCLE_1)
	s_and_b32 s5, s3, exec_lo
.LBB19_275:                             ;   in Loop: Header=BB19_15 Depth=1
	s_or_b32 exec_lo, exec_lo, s4
	s_delay_alu instid0(SALU_CYCLE_1)
	s_and_b32 s4, s5, exec_lo
.LBB19_276:                             ;   in Loop: Header=BB19_15 Depth=1
	s_or_b32 exec_lo, exec_lo, s1
	s_delay_alu instid0(SALU_CYCLE_1)
	s_and_b32 s75, s4, exec_lo
.LBB19_277:                             ;   in Loop: Header=BB19_15 Depth=1
	s_or_b32 exec_lo, exec_lo, s2
	s_delay_alu instid0(SALU_CYCLE_1)
	s_and_b32 vcc_lo, exec_lo, s0
	s_cbranch_vccz .LBB19_133
.LBB19_278:                             ;   in Loop: Header=BB19_15 Depth=1
	s_lshl_b32 s2, s76, 4
	v_cmp_gt_i32_e32 vcc_lo, s33, v6
	s_waitcnt vmcnt(0)
	v_add_nc_u32_e32 v33, s2, v243
	s_mov_b32 s5, s51
	s_delay_alu instid0(VALU_DEP_1) | instskip(NEXT) | instid1(VALU_DEP_1)
	v_cmp_gt_i32_e64 s1, s8, v33
	s_and_b32 s94, s1, vcc_lo
	s_delay_alu instid0(SALU_CYCLE_1) | instskip(NEXT) | instid1(SALU_CYCLE_1)
	s_xor_b32 s0, s94, -1
	s_and_saveexec_b32 s1, s0
	s_delay_alu instid0(SALU_CYCLE_1)
	s_xor_b32 s0, exec_lo, s1
	s_cbranch_execz .LBB19_280
; %bb.279:                              ;   in Loop: Header=BB19_15 Depth=1
	scratch_load_b32 v0, off, off offset:932 ; 4-byte Folded Reload
	s_waitcnt vmcnt(0)
	ds_store_b32 v0, v80
.LBB19_280:                             ;   in Loop: Header=BB19_15 Depth=1
	s_and_not1_saveexec_b32 s0, s0
	s_cbranch_execz .LBB19_282
; %bb.281:                              ;   in Loop: Header=BB19_15 Depth=1
	v_mad_u64_u32 v[0:1], null, v33, s59, v[18:19]
	s_delay_alu instid0(VALU_DEP_1) | instskip(NEXT) | instid1(VALU_DEP_1)
	v_ashrrev_i32_e32 v1, 31, v0
	v_lshlrev_b64 v[0:1], 3, v[0:1]
	s_delay_alu instid0(VALU_DEP_1) | instskip(NEXT) | instid1(VALU_DEP_1)
	v_add_co_u32 v0, s1, s77, v0
	v_add_co_ci_u32_e64 v1, s1, s78, v1, s1
	global_load_b64 v[0:1], v[0:1], off
	s_waitcnt vmcnt(0)
	v_cvt_f16_f32_e32 v0, v0
	v_cvt_f16_f32_e32 v1, v1
	s_delay_alu instid0(VALU_DEP_1)
	v_pack_b32_f16 v0, v0, v1
	scratch_load_b32 v1, off, off offset:932 ; 4-byte Folded Reload
	v_pk_mul_f16 v0, v228, v0
	s_waitcnt vmcnt(0)
	ds_store_b32 v1, v0
.LBB19_282:                             ;   in Loop: Header=BB19_15 Depth=1
	s_or_b32 exec_lo, exec_lo, s0
	scratch_load_b32 v0, off, off offset:1052 ; 4-byte Folded Reload
	s_waitcnt vmcnt(0)
	v_add_nc_u32_e32 v32, s2, v0
	s_delay_alu instid0(VALU_DEP_1) | instskip(NEXT) | instid1(VALU_DEP_1)
	v_cmp_gt_i32_e64 s1, s8, v32
	s_and_b32 s6, s1, vcc_lo
	s_delay_alu instid0(SALU_CYCLE_1) | instskip(NEXT) | instid1(SALU_CYCLE_1)
	s_xor_b32 s0, s6, -1
	s_and_saveexec_b32 s1, s0
	s_delay_alu instid0(SALU_CYCLE_1)
	s_xor_b32 s0, exec_lo, s1
	s_cbranch_execz .LBB19_284
; %bb.283:                              ;   in Loop: Header=BB19_15 Depth=1
	scratch_load_b32 v0, off, off offset:948 ; 4-byte Folded Reload
	s_waitcnt vmcnt(0)
	ds_store_b32 v0, v80
.LBB19_284:                             ;   in Loop: Header=BB19_15 Depth=1
	s_and_not1_saveexec_b32 s0, s0
	s_cbranch_execz .LBB19_286
; %bb.285:                              ;   in Loop: Header=BB19_15 Depth=1
	v_mad_u64_u32 v[0:1], null, v32, s59, v[18:19]
	s_delay_alu instid0(VALU_DEP_1) | instskip(NEXT) | instid1(VALU_DEP_1)
	v_ashrrev_i32_e32 v1, 31, v0
	v_lshlrev_b64 v[0:1], 3, v[0:1]
	s_delay_alu instid0(VALU_DEP_1) | instskip(NEXT) | instid1(VALU_DEP_1)
	v_add_co_u32 v0, s1, s77, v0
	v_add_co_ci_u32_e64 v1, s1, s78, v1, s1
	global_load_b64 v[0:1], v[0:1], off
	s_waitcnt vmcnt(0)
	v_cvt_f16_f32_e32 v0, v0
	v_cvt_f16_f32_e32 v1, v1
	s_delay_alu instid0(VALU_DEP_1)
	v_pack_b32_f16 v0, v0, v1
	scratch_load_b32 v1, off, off offset:948 ; 4-byte Folded Reload
	v_pk_mul_f16 v0, v228, v0
	s_waitcnt vmcnt(0)
	ds_store_b32 v1, v0
.LBB19_286:                             ;   in Loop: Header=BB19_15 Depth=1
	s_or_b32 exec_lo, exec_lo, s0
	scratch_load_b32 v0, off, off offset:1056 ; 4-byte Folded Reload
	s_waitcnt vmcnt(0)
	v_add_nc_u32_e32 v31, s2, v0
	;; [unrolled: 39-line block ×3, first 2 shown]
	s_delay_alu instid0(VALU_DEP_1) | instskip(NEXT) | instid1(VALU_DEP_1)
	v_cmp_gt_i32_e64 s1, s8, v30
	s_and_b32 s61, s1, vcc_lo
	s_delay_alu instid0(SALU_CYCLE_1) | instskip(NEXT) | instid1(SALU_CYCLE_1)
	s_xor_b32 s0, s61, -1
	s_and_saveexec_b32 s1, s0
	s_delay_alu instid0(SALU_CYCLE_1)
	s_xor_b32 s0, exec_lo, s1
	s_cbranch_execz .LBB19_292
; %bb.291:                              ;   in Loop: Header=BB19_15 Depth=1
	ds_store_b32 v82, v80
.LBB19_292:                             ;   in Loop: Header=BB19_15 Depth=1
	s_and_not1_saveexec_b32 s0, s0
	s_cbranch_execz .LBB19_294
; %bb.293:                              ;   in Loop: Header=BB19_15 Depth=1
	v_mad_u64_u32 v[0:1], null, v30, s59, v[18:19]
	s_delay_alu instid0(VALU_DEP_1) | instskip(NEXT) | instid1(VALU_DEP_1)
	v_ashrrev_i32_e32 v1, 31, v0
	v_lshlrev_b64 v[0:1], 3, v[0:1]
	s_delay_alu instid0(VALU_DEP_1) | instskip(NEXT) | instid1(VALU_DEP_1)
	v_add_co_u32 v0, s1, s77, v0
	v_add_co_ci_u32_e64 v1, s1, s78, v1, s1
	global_load_b64 v[0:1], v[0:1], off
	s_waitcnt vmcnt(0)
	v_cvt_f16_f32_e32 v0, v0
	v_cvt_f16_f32_e32 v1, v1
	s_delay_alu instid0(VALU_DEP_1) | instskip(NEXT) | instid1(VALU_DEP_1)
	v_pack_b32_f16 v0, v0, v1
	v_pk_mul_f16 v0, v228, v0
	ds_store_b32 v82, v0
.LBB19_294:                             ;   in Loop: Header=BB19_15 Depth=1
	s_or_b32 exec_lo, exec_lo, s0
	scratch_load_b32 v0, off, off offset:1068 ; 4-byte Folded Reload
	s_waitcnt vmcnt(0)
	v_add_nc_u32_e32 v29, s2, v0
	s_delay_alu instid0(VALU_DEP_1) | instskip(NEXT) | instid1(VALU_DEP_1)
	v_cmp_gt_i32_e64 s1, s8, v29
	s_and_b32 s54, s1, vcc_lo
	s_delay_alu instid0(SALU_CYCLE_1) | instskip(NEXT) | instid1(SALU_CYCLE_1)
	s_xor_b32 s0, s54, -1
	s_and_saveexec_b32 s1, s0
	s_delay_alu instid0(SALU_CYCLE_1)
	s_xor_b32 s0, exec_lo, s1
	s_cbranch_execz .LBB19_296
; %bb.295:                              ;   in Loop: Header=BB19_15 Depth=1
	ds_store_b32 v82, v80 offset:960
.LBB19_296:                             ;   in Loop: Header=BB19_15 Depth=1
	s_and_not1_saveexec_b32 s0, s0
	s_cbranch_execz .LBB19_298
; %bb.297:                              ;   in Loop: Header=BB19_15 Depth=1
	v_mad_u64_u32 v[0:1], null, v29, s59, v[18:19]
	s_delay_alu instid0(VALU_DEP_1) | instskip(NEXT) | instid1(VALU_DEP_1)
	v_ashrrev_i32_e32 v1, 31, v0
	v_lshlrev_b64 v[0:1], 3, v[0:1]
	s_delay_alu instid0(VALU_DEP_1) | instskip(NEXT) | instid1(VALU_DEP_1)
	v_add_co_u32 v0, s1, s77, v0
	v_add_co_ci_u32_e64 v1, s1, s78, v1, s1
	global_load_b64 v[0:1], v[0:1], off
	s_waitcnt vmcnt(0)
	v_cvt_f16_f32_e32 v0, v0
	v_cvt_f16_f32_e32 v1, v1
	s_delay_alu instid0(VALU_DEP_1) | instskip(NEXT) | instid1(VALU_DEP_1)
	v_pack_b32_f16 v0, v0, v1
	v_pk_mul_f16 v0, v228, v0
	ds_store_b32 v82, v0 offset:960
.LBB19_298:                             ;   in Loop: Header=BB19_15 Depth=1
	s_or_b32 exec_lo, exec_lo, s0
	scratch_load_b32 v0, off, off offset:1072 ; 4-byte Folded Reload
	s_waitcnt vmcnt(0)
	v_add_nc_u32_e32 v28, s2, v0
	s_delay_alu instid0(VALU_DEP_1) | instskip(NEXT) | instid1(VALU_DEP_1)
	v_cmp_gt_i32_e64 s1, s8, v28
	s_and_b32 s83, s1, vcc_lo
	s_delay_alu instid0(SALU_CYCLE_1) | instskip(NEXT) | instid1(SALU_CYCLE_1)
	s_xor_b32 s0, s83, -1
	s_and_saveexec_b32 s1, s0
	s_delay_alu instid0(SALU_CYCLE_1)
	s_xor_b32 s0, exec_lo, s1
	s_cbranch_execz .LBB19_300
; %bb.299:                              ;   in Loop: Header=BB19_15 Depth=1
	ds_store_b32 v82, v80 offset:1920
.LBB19_300:                             ;   in Loop: Header=BB19_15 Depth=1
	s_and_not1_saveexec_b32 s0, s0
	s_cbranch_execz .LBB19_302
; %bb.301:                              ;   in Loop: Header=BB19_15 Depth=1
	v_mad_u64_u32 v[0:1], null, v28, s59, v[18:19]
	s_delay_alu instid0(VALU_DEP_1) | instskip(NEXT) | instid1(VALU_DEP_1)
	v_ashrrev_i32_e32 v1, 31, v0
	v_lshlrev_b64 v[0:1], 3, v[0:1]
	s_delay_alu instid0(VALU_DEP_1) | instskip(NEXT) | instid1(VALU_DEP_1)
	v_add_co_u32 v0, s1, s77, v0
	v_add_co_ci_u32_e64 v1, s1, s78, v1, s1
	global_load_b64 v[0:1], v[0:1], off
	s_waitcnt vmcnt(0)
	v_cvt_f16_f32_e32 v0, v0
	v_cvt_f16_f32_e32 v1, v1
	s_delay_alu instid0(VALU_DEP_1) | instskip(NEXT) | instid1(VALU_DEP_1)
	v_pack_b32_f16 v0, v0, v1
	v_pk_mul_f16 v0, v228, v0
	ds_store_b32 v82, v0 offset:1920
.LBB19_302:                             ;   in Loop: Header=BB19_15 Depth=1
	;; [unrolled: 35-line block ×11, first 2 shown]
	s_or_b32 exec_lo, exec_lo, s3
	scratch_load_b32 v0, off, off offset:1132 ; 4-byte Folded Reload
	s_waitcnt vmcnt(0)
	v_add_nc_u32_e32 v14, s2, v0
	s_delay_alu instid0(VALU_DEP_1) | instskip(NEXT) | instid1(VALU_DEP_1)
	v_cmp_gt_i32_e64 s1, s8, v14
	s_and_b32 s1, s1, vcc_lo
	s_delay_alu instid0(SALU_CYCLE_1) | instskip(SKIP_1) | instid1(SALU_CYCLE_1)
	v_writelane_b32 v255, s1, 1
	s_xor_b32 s1, s1, -1
	s_and_saveexec_b32 s3, s1
	s_delay_alu instid0(SALU_CYCLE_1)
	s_xor_b32 s1, exec_lo, s3
	s_cbranch_execz .LBB19_340
; %bb.339:                              ;   in Loop: Header=BB19_15 Depth=1
	ds_store_b32 v82, v80 offset:11520
.LBB19_340:                             ;   in Loop: Header=BB19_15 Depth=1
	s_and_not1_saveexec_b32 s1, s1
	s_cbranch_execz .LBB19_342
; %bb.341:                              ;   in Loop: Header=BB19_15 Depth=1
	v_mad_u64_u32 v[0:1], null, v14, s59, v[18:19]
	s_delay_alu instid0(VALU_DEP_1) | instskip(NEXT) | instid1(VALU_DEP_1)
	v_ashrrev_i32_e32 v1, 31, v0
	v_lshlrev_b64 v[0:1], 3, v[0:1]
	s_delay_alu instid0(VALU_DEP_1) | instskip(NEXT) | instid1(VALU_DEP_2)
	v_add_co_u32 v0, vcc_lo, s77, v0
	v_add_co_ci_u32_e32 v1, vcc_lo, s78, v1, vcc_lo
	global_load_b64 v[0:1], v[0:1], off
	s_waitcnt vmcnt(0)
	v_cvt_f16_f32_e32 v0, v0
	v_cvt_f16_f32_e32 v1, v1
	s_delay_alu instid0(VALU_DEP_1) | instskip(NEXT) | instid1(VALU_DEP_1)
	v_pack_b32_f16 v0, v0, v1
	v_pk_mul_f16 v0, v228, v0
	ds_store_b32 v82, v0 offset:11520
.LBB19_342:                             ;   in Loop: Header=BB19_15 Depth=1
	s_or_b32 exec_lo, exec_lo, s1
	scratch_load_b32 v0, off, off offset:1076 ; 4-byte Folded Reload
	s_waitcnt vmcnt(0)
	v_add_nc_u32_e32 v13, s2, v0
	v_or_b32_e32 v0, s79, v83
	s_delay_alu instid0(VALU_DEP_2) | instskip(NEXT) | instid1(VALU_DEP_2)
	v_cmp_gt_i32_e64 s1, s8, v13
	v_cmp_gt_i32_e32 vcc_lo, s33, v0
	s_delay_alu instid0(VALU_DEP_2) | instskip(NEXT) | instid1(SALU_CYCLE_1)
	s_and_b32 s93, s1, vcc_lo
	s_xor_b32 s1, s93, -1
	s_delay_alu instid0(SALU_CYCLE_1) | instskip(NEXT) | instid1(SALU_CYCLE_1)
	s_and_saveexec_b32 s3, s1
	s_xor_b32 s1, exec_lo, s3
	s_cbranch_execz .LBB19_344
; %bb.343:                              ;   in Loop: Header=BB19_15 Depth=1
	ds_store_b32 v65, v80 offset:128
.LBB19_344:                             ;   in Loop: Header=BB19_15 Depth=1
	s_and_not1_saveexec_b32 s3, s1
	s_cbranch_execz .LBB19_346
; %bb.345:                              ;   in Loop: Header=BB19_15 Depth=1
	v_mad_u64_u32 v[0:1], null, v13, s59, v[16:17]
	s_delay_alu instid0(VALU_DEP_1) | instskip(NEXT) | instid1(VALU_DEP_1)
	v_ashrrev_i32_e32 v1, 31, v0
	v_lshlrev_b64 v[0:1], 3, v[0:1]
	s_delay_alu instid0(VALU_DEP_1) | instskip(NEXT) | instid1(VALU_DEP_1)
	v_add_co_u32 v0, s1, s77, v0
	v_add_co_ci_u32_e64 v1, s1, s78, v1, s1
	global_load_b64 v[0:1], v[0:1], off
	s_waitcnt vmcnt(0)
	v_cvt_f16_f32_e32 v0, v0
	v_cvt_f16_f32_e32 v1, v1
	s_delay_alu instid0(VALU_DEP_1) | instskip(NEXT) | instid1(VALU_DEP_1)
	v_pack_b32_f16 v0, v0, v1
	v_pk_mul_f16 v0, v228, v0
	ds_store_b32 v65, v0 offset:128
.LBB19_346:                             ;   in Loop: Header=BB19_15 Depth=1
	s_or_b32 exec_lo, exec_lo, s3
	scratch_load_b32 v0, off, off offset:996 ; 4-byte Folded Reload
	s_waitcnt vmcnt(0)
	v_add_nc_u32_e32 v12, s2, v0
	s_delay_alu instid0(VALU_DEP_1) | instskip(NEXT) | instid1(VALU_DEP_1)
	v_cmp_gt_i32_e64 s1, s8, v12
	s_and_b32 s92, s1, vcc_lo
	s_delay_alu instid0(SALU_CYCLE_1) | instskip(NEXT) | instid1(SALU_CYCLE_1)
	s_xor_b32 s1, s92, -1
	s_and_saveexec_b32 s3, s1
	s_delay_alu instid0(SALU_CYCLE_1)
	s_xor_b32 s1, exec_lo, s3
	s_cbranch_execz .LBB19_348
; %bb.347:                              ;   in Loop: Header=BB19_15 Depth=1
	ds_store_b32 v65, v80 offset:2048
.LBB19_348:                             ;   in Loop: Header=BB19_15 Depth=1
	s_and_not1_saveexec_b32 s3, s1
	s_cbranch_execz .LBB19_350
; %bb.349:                              ;   in Loop: Header=BB19_15 Depth=1
	v_mad_u64_u32 v[0:1], null, v12, s59, v[16:17]
	s_delay_alu instid0(VALU_DEP_1) | instskip(NEXT) | instid1(VALU_DEP_1)
	v_ashrrev_i32_e32 v1, 31, v0
	v_lshlrev_b64 v[0:1], 3, v[0:1]
	s_delay_alu instid0(VALU_DEP_1) | instskip(NEXT) | instid1(VALU_DEP_1)
	v_add_co_u32 v0, s1, s77, v0
	v_add_co_ci_u32_e64 v1, s1, s78, v1, s1
	global_load_b64 v[0:1], v[0:1], off
	s_waitcnt vmcnt(0)
	v_cvt_f16_f32_e32 v0, v0
	v_cvt_f16_f32_e32 v1, v1
	s_delay_alu instid0(VALU_DEP_1) | instskip(NEXT) | instid1(VALU_DEP_1)
	v_pack_b32_f16 v0, v0, v1
	v_pk_mul_f16 v0, v228, v0
	ds_store_b32 v65, v0 offset:2048
.LBB19_350:                             ;   in Loop: Header=BB19_15 Depth=1
	s_or_b32 exec_lo, exec_lo, s3
	scratch_load_b32 v0, off, off offset:1008 ; 4-byte Folded Reload
	s_waitcnt vmcnt(0)
	v_add_nc_u32_e32 v11, s2, v0
	s_delay_alu instid0(VALU_DEP_1) | instskip(NEXT) | instid1(VALU_DEP_1)
	v_cmp_gt_i32_e64 s1, s8, v11
	s_and_b32 s91, s1, vcc_lo
	s_delay_alu instid0(SALU_CYCLE_1) | instskip(NEXT) | instid1(SALU_CYCLE_1)
	s_xor_b32 s1, s91, -1
	s_and_saveexec_b32 s3, s1
	s_delay_alu instid0(SALU_CYCLE_1)
	;; [unrolled: 35-line block ×4, first 2 shown]
	s_xor_b32 s1, exec_lo, s3
	s_cbranch_execz .LBB19_360
; %bb.359:                              ;   in Loop: Header=BB19_15 Depth=1
	ds_store_b32 v65, v80 offset:7808
.LBB19_360:                             ;   in Loop: Header=BB19_15 Depth=1
	s_and_not1_saveexec_b32 s3, s1
	s_cbranch_execz .LBB19_362
; %bb.361:                              ;   in Loop: Header=BB19_15 Depth=1
	v_mad_u64_u32 v[0:1], null, v9, s59, v[16:17]
	s_delay_alu instid0(VALU_DEP_1) | instskip(NEXT) | instid1(VALU_DEP_1)
	v_ashrrev_i32_e32 v1, 31, v0
	v_lshlrev_b64 v[0:1], 3, v[0:1]
	s_delay_alu instid0(VALU_DEP_1) | instskip(NEXT) | instid1(VALU_DEP_1)
	v_add_co_u32 v0, s1, s77, v0
	v_add_co_ci_u32_e64 v1, s1, s78, v1, s1
	global_load_b64 v[0:1], v[0:1], off
	s_waitcnt vmcnt(0)
	v_cvt_f16_f32_e32 v0, v0
	v_cvt_f16_f32_e32 v1, v1
	s_delay_alu instid0(VALU_DEP_1) | instskip(NEXT) | instid1(VALU_DEP_1)
	v_pack_b32_f16 v0, v0, v1
	v_pk_mul_f16 v0, v228, v0
	ds_store_b32 v65, v0 offset:7808
.LBB19_362:                             ;   in Loop: Header=BB19_15 Depth=1
	s_or_b32 exec_lo, exec_lo, s3
	scratch_load_b32 v0, off, off offset:1004 ; 4-byte Folded Reload
	s_waitcnt vmcnt(0)
	v_add_nc_u32_e32 v7, s2, v0
	s_delay_alu instid0(VALU_DEP_1) | instskip(NEXT) | instid1(VALU_DEP_1)
	v_cmp_gt_i32_e64 s1, s8, v7
	s_and_b32 s1, s1, vcc_lo
	s_delay_alu instid0(SALU_CYCLE_1) | instskip(SKIP_1) | instid1(SALU_CYCLE_1)
	v_writelane_b32 v255, s1, 2
	s_xor_b32 s1, s1, -1
	s_and_saveexec_b32 s3, s1
	s_delay_alu instid0(SALU_CYCLE_1)
	s_xor_b32 s1, exec_lo, s3
	s_cbranch_execz .LBB19_364
; %bb.363:                              ;   in Loop: Header=BB19_15 Depth=1
	ds_store_b32 v65, v80 offset:9728
.LBB19_364:                             ;   in Loop: Header=BB19_15 Depth=1
	s_and_not1_saveexec_b32 s3, s1
	s_cbranch_execz .LBB19_366
; %bb.365:                              ;   in Loop: Header=BB19_15 Depth=1
	v_mad_u64_u32 v[0:1], null, v7, s59, v[16:17]
	s_delay_alu instid0(VALU_DEP_1) | instskip(NEXT) | instid1(VALU_DEP_1)
	v_ashrrev_i32_e32 v1, 31, v0
	v_lshlrev_b64 v[0:1], 3, v[0:1]
	s_delay_alu instid0(VALU_DEP_1) | instskip(NEXT) | instid1(VALU_DEP_1)
	v_add_co_u32 v0, s1, s77, v0
	v_add_co_ci_u32_e64 v1, s1, s78, v1, s1
	global_load_b64 v[0:1], v[0:1], off
	s_waitcnt vmcnt(0)
	v_cvt_f16_f32_e32 v0, v0
	v_cvt_f16_f32_e32 v1, v1
	s_delay_alu instid0(VALU_DEP_1) | instskip(NEXT) | instid1(VALU_DEP_1)
	v_pack_b32_f16 v0, v0, v1
	v_pk_mul_f16 v0, v228, v0
	ds_store_b32 v65, v0 offset:9728
.LBB19_366:                             ;   in Loop: Header=BB19_15 Depth=1
	s_or_b32 exec_lo, exec_lo, s3
	scratch_load_b32 v0, off, off offset:1016 ; 4-byte Folded Reload
	s_waitcnt vmcnt(0)
	v_add_nc_u32_e32 v6, s2, v0
	s_delay_alu instid0(VALU_DEP_1) | instskip(NEXT) | instid1(VALU_DEP_1)
	v_cmp_gt_i32_e64 s1, s8, v6
	s_and_b32 s1, s1, vcc_lo
	s_delay_alu instid0(SALU_CYCLE_1) | instskip(SKIP_1) | instid1(SALU_CYCLE_1)
	v_writelane_b32 v255, s1, 3
	s_xor_b32 s1, s1, -1
	s_and_saveexec_b32 s3, s1
	s_delay_alu instid0(SALU_CYCLE_1)
	;; [unrolled: 36-line block ×3, first 2 shown]
	s_xor_b32 s1, exec_lo, s3
	s_cbranch_execz .LBB19_372
; %bb.371:                              ;   in Loop: Header=BB19_15 Depth=1
	ds_store_b32 v65, v80 offset:13568
.LBB19_372:                             ;   in Loop: Header=BB19_15 Depth=1
	s_and_not1_saveexec_b32 s1, s1
	s_cbranch_execz .LBB19_374
; %bb.373:                              ;   in Loop: Header=BB19_15 Depth=1
	v_mad_u64_u32 v[0:1], null, v5, s59, v[16:17]
	s_delay_alu instid0(VALU_DEP_1) | instskip(NEXT) | instid1(VALU_DEP_1)
	v_ashrrev_i32_e32 v1, 31, v0
	v_lshlrev_b64 v[0:1], 3, v[0:1]
	s_delay_alu instid0(VALU_DEP_1) | instskip(NEXT) | instid1(VALU_DEP_2)
	v_add_co_u32 v0, vcc_lo, s77, v0
	v_add_co_ci_u32_e32 v1, vcc_lo, s78, v1, vcc_lo
	global_load_b64 v[0:1], v[0:1], off
	s_waitcnt vmcnt(0)
	v_cvt_f16_f32_e32 v0, v0
	v_cvt_f16_f32_e32 v1, v1
	s_delay_alu instid0(VALU_DEP_1) | instskip(NEXT) | instid1(VALU_DEP_1)
	v_pack_b32_f16 v0, v0, v1
	v_pk_mul_f16 v0, v228, v0
	ds_store_b32 v65, v0 offset:13568
.LBB19_374:                             ;   in Loop: Header=BB19_15 Depth=1
	s_or_b32 exec_lo, exec_lo, s1
	scratch_load_b32 v0, off, off offset:1024 ; 4-byte Folded Reload
	s_waitcnt vmcnt(0)
	v_add_nc_u32_e32 v4, s2, v0
	v_or_b32_e32 v0, s79, v84
	s_delay_alu instid0(VALU_DEP_2) | instskip(NEXT) | instid1(VALU_DEP_2)
	v_cmp_gt_i32_e64 s1, s8, v4
	v_cmp_gt_i32_e32 vcc_lo, s33, v0
	s_delay_alu instid0(VALU_DEP_2) | instskip(NEXT) | instid1(SALU_CYCLE_1)
	s_and_b32 s79, s1, vcc_lo
	s_xor_b32 s1, s79, -1
	s_delay_alu instid0(SALU_CYCLE_1) | instskip(NEXT) | instid1(SALU_CYCLE_1)
	s_and_saveexec_b32 s3, s1
	s_xor_b32 s1, exec_lo, s3
	s_cbranch_execz .LBB19_376
; %bb.375:                              ;   in Loop: Header=BB19_15 Depth=1
	scratch_load_b32 v0, off, off offset:928 ; 4-byte Folded Reload
	s_waitcnt vmcnt(0)
	ds_store_b32 v0, v80 offset:192
.LBB19_376:                             ;   in Loop: Header=BB19_15 Depth=1
	s_and_not1_saveexec_b32 s3, s1
	s_cbranch_execz .LBB19_378
; %bb.377:                              ;   in Loop: Header=BB19_15 Depth=1
	v_mad_u64_u32 v[0:1], null, v4, s59, v[17:18]
	s_delay_alu instid0(VALU_DEP_1) | instskip(NEXT) | instid1(VALU_DEP_1)
	v_ashrrev_i32_e32 v1, 31, v0
	v_lshlrev_b64 v[0:1], 3, v[0:1]
	s_delay_alu instid0(VALU_DEP_1) | instskip(NEXT) | instid1(VALU_DEP_1)
	v_add_co_u32 v0, s1, s77, v0
	v_add_co_ci_u32_e64 v1, s1, s78, v1, s1
	global_load_b64 v[0:1], v[0:1], off
	s_waitcnt vmcnt(0)
	v_cvt_f16_f32_e32 v0, v0
	v_cvt_f16_f32_e32 v1, v1
	s_delay_alu instid0(VALU_DEP_1)
	v_pack_b32_f16 v0, v0, v1
	scratch_load_b32 v1, off, off offset:928 ; 4-byte Folded Reload
	v_pk_mul_f16 v0, v228, v0
	s_waitcnt vmcnt(0)
	ds_store_b32 v1, v0 offset:192
.LBB19_378:                             ;   in Loop: Header=BB19_15 Depth=1
	s_or_b32 exec_lo, exec_lo, s3
	scratch_load_b32 v0, off, off offset:1028 ; 4-byte Folded Reload
	s_waitcnt vmcnt(0)
	v_add_nc_u32_e32 v3, s2, v0
	s_delay_alu instid0(VALU_DEP_1) | instskip(NEXT) | instid1(VALU_DEP_1)
	v_cmp_gt_i32_e64 s1, s8, v3
	s_and_b32 s76, s1, vcc_lo
	s_delay_alu instid0(SALU_CYCLE_1) | instskip(NEXT) | instid1(SALU_CYCLE_1)
	s_xor_b32 s1, s76, -1
	s_and_saveexec_b32 s3, s1
	s_delay_alu instid0(SALU_CYCLE_1)
	s_xor_b32 s1, exec_lo, s3
	s_cbranch_execz .LBB19_380
; %bb.379:                              ;   in Loop: Header=BB19_15 Depth=1
	ds_store_b32 v64, v80 offset:192
.LBB19_380:                             ;   in Loop: Header=BB19_15 Depth=1
	s_and_not1_saveexec_b32 s3, s1
	s_cbranch_execz .LBB19_382
; %bb.381:                              ;   in Loop: Header=BB19_15 Depth=1
	v_mad_u64_u32 v[0:1], null, v3, s59, v[17:18]
	s_delay_alu instid0(VALU_DEP_1) | instskip(NEXT) | instid1(VALU_DEP_1)
	v_ashrrev_i32_e32 v1, 31, v0
	v_lshlrev_b64 v[0:1], 3, v[0:1]
	s_delay_alu instid0(VALU_DEP_1) | instskip(NEXT) | instid1(VALU_DEP_1)
	v_add_co_u32 v0, s1, s77, v0
	v_add_co_ci_u32_e64 v1, s1, s78, v1, s1
	global_load_b64 v[0:1], v[0:1], off
	s_waitcnt vmcnt(0)
	v_cvt_f16_f32_e32 v0, v0
	v_cvt_f16_f32_e32 v1, v1
	s_delay_alu instid0(VALU_DEP_1) | instskip(NEXT) | instid1(VALU_DEP_1)
	v_pack_b32_f16 v0, v0, v1
	v_pk_mul_f16 v0, v228, v0
	ds_store_b32 v64, v0 offset:192
.LBB19_382:                             ;   in Loop: Header=BB19_15 Depth=1
	s_or_b32 exec_lo, exec_lo, s3
	scratch_load_b32 v0, off, off offset:1032 ; 4-byte Folded Reload
	s_waitcnt vmcnt(0)
	v_add_nc_u32_e32 v2, s2, v0
	s_delay_alu instid0(VALU_DEP_1) | instskip(NEXT) | instid1(VALU_DEP_1)
	v_cmp_gt_i32_e64 s1, s8, v2
	s_and_b32 s74, s1, vcc_lo
	s_delay_alu instid0(SALU_CYCLE_1) | instskip(NEXT) | instid1(SALU_CYCLE_1)
	s_xor_b32 s1, s74, -1
	s_and_saveexec_b32 s3, s1
	s_delay_alu instid0(SALU_CYCLE_1)
	s_xor_b32 s1, exec_lo, s3
	s_cbranch_execz .LBB19_384
; %bb.383:                              ;   in Loop: Header=BB19_15 Depth=1
	ds_store_b32 v64, v80 offset:4032
.LBB19_384:                             ;   in Loop: Header=BB19_15 Depth=1
	s_and_not1_saveexec_b32 s3, s1
	s_cbranch_execz .LBB19_386
; %bb.385:                              ;   in Loop: Header=BB19_15 Depth=1
	v_mad_u64_u32 v[0:1], null, v2, s59, v[17:18]
	s_delay_alu instid0(VALU_DEP_1) | instskip(NEXT) | instid1(VALU_DEP_1)
	v_ashrrev_i32_e32 v1, 31, v0
	v_lshlrev_b64 v[0:1], 3, v[0:1]
	s_delay_alu instid0(VALU_DEP_1) | instskip(NEXT) | instid1(VALU_DEP_1)
	v_add_co_u32 v0, s1, s77, v0
	v_add_co_ci_u32_e64 v1, s1, s78, v1, s1
	global_load_b64 v[0:1], v[0:1], off
	s_waitcnt vmcnt(0)
	v_cvt_f16_f32_e32 v0, v0
	v_cvt_f16_f32_e32 v1, v1
	s_delay_alu instid0(VALU_DEP_1) | instskip(NEXT) | instid1(VALU_DEP_1)
	v_pack_b32_f16 v0, v0, v1
	v_pk_mul_f16 v0, v228, v0
	ds_store_b32 v64, v0 offset:4032
.LBB19_386:                             ;   in Loop: Header=BB19_15 Depth=1
	s_or_b32 exec_lo, exec_lo, s3
	scratch_load_b32 v0, off, off offset:1036 ; 4-byte Folded Reload
	s_waitcnt vmcnt(0)
	v_add_nc_u32_e32 v8, s2, v0
	s_delay_alu instid0(VALU_DEP_1) | instskip(NEXT) | instid1(VALU_DEP_1)
	v_cmp_gt_i32_e64 s1, s8, v8
	s_and_b32 s63, s1, vcc_lo
	s_delay_alu instid0(SALU_CYCLE_1) | instskip(NEXT) | instid1(SALU_CYCLE_1)
	s_xor_b32 s1, s63, -1
	s_and_saveexec_b32 s3, s1
	s_delay_alu instid0(SALU_CYCLE_1)
	s_xor_b32 s1, exec_lo, s3
	s_cbranch_execz .LBB19_388
; %bb.387:                              ;   in Loop: Header=BB19_15 Depth=1
	ds_store_b32 v64, v80 offset:7872
.LBB19_388:                             ;   in Loop: Header=BB19_15 Depth=1
	s_and_not1_saveexec_b32 s1, s1
	s_cbranch_execz .LBB19_390
; %bb.389:                              ;   in Loop: Header=BB19_15 Depth=1
	v_mad_u64_u32 v[0:1], null, v8, s59, v[17:18]
	s_delay_alu instid0(VALU_DEP_1) | instskip(NEXT) | instid1(VALU_DEP_1)
	v_ashrrev_i32_e32 v1, 31, v0
	v_lshlrev_b64 v[0:1], 3, v[0:1]
	s_delay_alu instid0(VALU_DEP_1) | instskip(NEXT) | instid1(VALU_DEP_2)
	v_add_co_u32 v0, vcc_lo, s77, v0
	v_add_co_ci_u32_e32 v1, vcc_lo, s78, v1, vcc_lo
	global_load_b64 v[0:1], v[0:1], off
	s_waitcnt vmcnt(0)
	v_cvt_f16_f32_e32 v0, v0
	v_cvt_f16_f32_e32 v1, v1
	s_delay_alu instid0(VALU_DEP_1) | instskip(NEXT) | instid1(VALU_DEP_1)
	v_pack_b32_f16 v0, v0, v1
	v_pk_mul_f16 v0, v228, v0
	ds_store_b32 v64, v0 offset:7872
.LBB19_390:                             ;   in Loop: Header=BB19_15 Depth=1
	s_or_b32 exec_lo, exec_lo, s1
	s_clause 0x1
	scratch_load_b32 v0, off, off offset:1044
	scratch_load_b32 v1, off, off offset:1048
	s_waitcnt vmcnt(0) lgkmcnt(0)
	s_waitcnt_vscnt null, 0x0
	s_barrier
	buffer_gl0_inv
	s_cmp_gt_i32 s101, 1
	v_add_nc_u32_e32 v0, v0, v1
	ds_load_b128 v[50:53], v0
	ds_load_b128 v[54:57], v0 offset:16
	ds_load_b128 v[42:45], v0 offset:32
	;; [unrolled: 1-line block ×13, first 2 shown]
	s_waitcnt lgkmcnt(0)
	s_barrier
	buffer_gl0_inv
	s_clause 0x1f
	scratch_store_b32 off, v2, off offset:1176
	scratch_store_b32 off, v3, off offset:968
	;; [unrolled: 1-line block ×27, first 2 shown]
	scratch_store_b128 off, v[34:37], off offset:588
	scratch_store_b128 off, v[38:41], off offset:604
	;; [unrolled: 1-line block ×5, first 2 shown]
	scratch_store_b128 off, v[54:57], off offset:668 ; 16-byte Folded Spill
	s_cbranch_scc1 .LBB19_392
; %bb.391:                              ;   in Loop: Header=BB19_15 Depth=1
	v_dual_mov_b32 v145, 32 :: v_dual_add_nc_u32 v0, s2, v245
	v_add_nc_u32_e32 v1, s2, v220
	v_add_nc_u32_e32 v2, s2, v219
	;; [unrolled: 1-line block ×3, first 2 shown]
	s_delay_alu instid0(VALU_DEP_4)
	v_mul_hi_u32 v4, s48, v0
	s_mov_b32 s77, 0
	v_mul_hi_u32 v5, s48, v1
	v_mul_hi_u32 v6, s48, v2
	;; [unrolled: 1-line block ×3, first 2 shown]
	s_mov_b32 s1, 0xfeffffff
	s_delay_alu instid0(VALU_DEP_4) | instskip(NEXT) | instid1(VALU_DEP_4)
	v_add_nc_u32_e32 v4, v0, v4
	v_add_nc_u32_e32 v5, v1, v5
	s_delay_alu instid0(VALU_DEP_4) | instskip(NEXT) | instid1(VALU_DEP_4)
	v_add_nc_u32_e32 v6, v2, v6
	v_add_nc_u32_e32 v7, v3, v7
	s_delay_alu instid0(VALU_DEP_4) | instskip(NEXT) | instid1(VALU_DEP_4)
	v_lshrrev_b32_e32 v4, s49, v4
	v_lshrrev_b32_e32 v5, s49, v5
	s_delay_alu instid0(VALU_DEP_4) | instskip(NEXT) | instid1(VALU_DEP_4)
	v_lshrrev_b32_e32 v6, s49, v6
	v_lshrrev_b32_e32 v7, s49, v7
	s_delay_alu instid0(VALU_DEP_4) | instskip(NEXT) | instid1(VALU_DEP_4)
	v_mul_lo_u32 v4, v4, s8
	v_mul_lo_u32 v5, v5, s8
	s_delay_alu instid0(VALU_DEP_4) | instskip(NEXT) | instid1(VALU_DEP_4)
	v_mul_lo_u32 v6, v6, s8
	v_mul_lo_u32 v7, v7, s8
	s_delay_alu instid0(VALU_DEP_4) | instskip(NEXT) | instid1(VALU_DEP_4)
	v_sub_nc_u32_e32 v0, v0, v4
	v_sub_nc_u32_e32 v1, v1, v5
	s_delay_alu instid0(VALU_DEP_4) | instskip(NEXT) | instid1(VALU_DEP_4)
	v_sub_nc_u32_e32 v2, v2, v6
	v_sub_nc_u32_e32 v3, v3, v7
	s_delay_alu instid0(VALU_DEP_4)
	v_mad_i64_i32 v[16:17], null, v0, s34, 0
	scratch_load_b32 v0, off, off offset:904 ; 4-byte Folded Reload
	v_mad_i64_i32 v[84:85], null, v1, s34, 0
	v_mad_i64_i32 v[82:83], null, v2, s34, 0
	;; [unrolled: 1-line block ×3, first 2 shown]
	s_waitcnt vmcnt(0)
	v_xor_b32_e32 v104, 16, v0
	s_branch .LBB19_393
.LBB19_392:                             ;   in Loop: Header=BB19_15 Depth=1
	s_mov_b32 s77, -1
                                        ; implicit-def: $sgpr1
                                        ; implicit-def: $vgpr16_vgpr17
                                        ; implicit-def: $vgpr84_vgpr85
                                        ; implicit-def: $vgpr82_vgpr83
                                        ; implicit-def: $vgpr22_vgpr23
                                        ; implicit-def: $vgpr104
                                        ; implicit-def: $vgpr145
.LBB19_393:                             ;   in Loop: Header=BB19_15 Depth=1
	scratch_store_b32 off, v8, off offset:936 ; 4-byte Folded Spill
	v_dual_mov_b32 v7, s77 :: v_dual_mov_b32 v6, s77
	v_dual_mov_b32 v5, s77 :: v_dual_mov_b32 v4, s77
	;; [unrolled: 1-line block ×29, first 2 shown]
	s_and_not1_b32 vcc_lo, exec_lo, s77
	s_cbranch_vccnz .LBB19_397
; %bb.394:                              ;   in Loop: Header=BB19_15 Depth=1
	v_dual_mov_b32 v20, 0 :: v_dual_add_nc_u32 v3, s2, v242
	v_add_nc_u32_e32 v0, s2, v245
	scratch_load_b32 v8, off, off offset:904 ; 4-byte Folded Reload
	s_add_i32 s77, s101, -1
	v_dual_mov_b32 v11, v20 :: v_dual_add_nc_u32 v2, s2, v219
	v_mul_hi_u32 v4, s48, v0
	v_mul_hi_u32 v7, s48, v3
	v_mov_b32_e32 v12, v20
	s_delay_alu instid0(VALU_DEP_4)
	v_mul_hi_u32 v6, s48, v2
	v_mov_b32_e32 v14, v20
	v_dual_mov_b32 v24, 0 :: v_dual_mov_b32 v25, v20
	v_dual_mov_b32 v231, 0xfeffffff :: v_dual_add_nc_u32 v4, v0, v4
	v_mov_b32_e32 v13, v20
	v_dual_mov_b32 v10, v20 :: v_dual_add_nc_u32 v7, v3, v7
	v_add_nc_u32_e32 v6, v2, v6
	s_delay_alu instid0(VALU_DEP_4) | instskip(SKIP_1) | instid1(VALU_DEP_4)
	v_lshrrev_b32_e32 v4, s49, v4
	v_mov_b32_e32 v26, v20
	v_lshrrev_b32_e32 v7, s49, v7
	v_dual_mov_b32 v27, v20 :: v_dual_mov_b32 v32, 0
	s_delay_alu instid0(VALU_DEP_4) | instskip(SKIP_1) | instid1(VALU_DEP_4)
	v_mul_lo_u32 v4, v4, s8
	v_lshrrev_b32_e32 v6, s49, v6
	v_mul_lo_u32 v7, v7, s8
	v_mov_b32_e32 v28, v20
	v_dual_mov_b32 v29, v20 :: v_dual_mov_b32 v40, 0
	s_delay_alu instid0(VALU_DEP_4)
	v_mul_lo_u32 v6, v6, s8
	v_mov_b32_e32 v30, v20
	v_sub_nc_u32_e32 v16, v0, v4
	scratch_load_b32 v0, off, off offset:1344 ; 4-byte Folded Reload
	v_sub_nc_u32_e32 v19, v3, v7
	v_dual_mov_b32 v31, v20 :: v_dual_mov_b32 v48, 0
	v_mad_i64_i32 v[21:22], null, v16, s34, 0
	v_sub_nc_u32_e32 v18, v2, v6
	v_dual_mov_b32 v33, v20 :: v_dual_mov_b32 v56, 0
	v_mov_b32_e32 v34, v20
	v_mov_b32_e32 v35, v20
	;; [unrolled: 1-line block ×3, first 2 shown]
	scratch_store_b64 off, v[21:22], off offset:1316 ; 8-byte Folded Spill
	v_mov_b32_e32 v37, v20
	v_mov_b32_e32 v38, v20
	;; [unrolled: 1-line block ×31, first 2 shown]
	s_waitcnt vmcnt(1)
	v_xor_b32_e32 v9, 16, v8
	s_delay_alu instid0(VALU_DEP_1)
	v_cmp_gt_i32_e32 vcc_lo, 32, v9
	v_add_nc_u32_e32 v1, s2, v220
	s_add_u32 s2, s22, s64
	s_addc_u32 s3, s23, s7
	s_add_u32 s1, s15, s55
	v_cndmask_b32_e32 v8, v8, v9, vcc_lo
	s_addc_u32 s4, s14, s46
	s_add_u32 s5, s5, vcc_hi
	v_mul_hi_u32 v5, s48, v1
	s_addc_u32 s14, s104, s60
	v_lshlrev_b32_e32 v236, 2, v8
	v_mov_b32_e32 v8, 0
	s_mov_b32 s7, s77
	s_delay_alu instid0(VALU_DEP_3) | instskip(NEXT) | instid1(VALU_DEP_1)
	v_add_nc_u32_e32 v5, v1, v5
	v_lshrrev_b32_e32 v5, s49, v5
	s_delay_alu instid0(VALU_DEP_1)
	v_mul_lo_u32 v5, v5, s8
	s_waitcnt vmcnt(0)
	v_add_co_u32 v238, vcc_lo, v0, s1
	scratch_load_b32 v0, off, off offset:1348 ; 4-byte Folded Reload
	v_sub_nc_u32_e32 v17, v1, v5
	v_mov_b32_e32 v1, v20
	v_mov_b32_e32 v5, v20
	s_delay_alu instid0(VALU_DEP_3)
	v_mad_i64_i32 v[21:22], null, v17, s34, 0
	s_waitcnt vmcnt(0)
	v_add_co_ci_u32_e32 v239, vcc_lo, s4, v0, vcc_lo
	scratch_load_b32 v0, off, off offset:1368 ; 4-byte Folded Reload
	s_waitcnt vmcnt(0)
	v_add_co_u32 v240, vcc_lo, v0, s5
	scratch_load_b32 v0, off, off offset:1372 ; 4-byte Folded Reload
	s_waitcnt vmcnt(0)
	v_add_co_ci_u32_e32 v241, vcc_lo, s14, v0, vcc_lo
	v_readlane_b32 vcc_lo, v254, 28
	v_mov_b32_e32 v0, 0
	v_readlane_b32 vcc_hi, v254, 29
	s_delay_alu instid0(VALU_DEP_3) | instskip(NEXT) | instid1(SALU_CYCLE_1)
	s_mov_b32 s46, vcc_lo
	v_mad_i64_i32 v[242:243], null, s46, v16, s[2:3]
	v_mad_i64_i32 v[244:245], null, s46, v17, s[2:3]
	;; [unrolled: 1-line block ×5, first 2 shown]
	scratch_store_b64 off, v[16:17], off offset:1300 ; 8-byte Folded Spill
	v_mad_i64_i32 v[16:17], null, v19, s34, 0
	s_clause 0x1
	scratch_store_b32 off, v9, off offset:1288
	scratch_store_b64 off, v[21:22], off offset:1308
	v_mov_b32_e32 v9, v20
	scratch_store_b64 off, v[16:17], off offset:1292 ; 8-byte Folded Spill
	scratch_load_b32 v16, off, off offset:1352 ; 4-byte Folded Reload
	s_waitcnt vmcnt(0)
	v_add_co_u32 v66, vcc_lo, v16, s1
	scratch_load_b32 v16, off, off offset:1356 ; 4-byte Folded Reload
	s_waitcnt vmcnt(0)
	v_add_co_ci_u32_e32 v67, vcc_lo, s4, v16, vcc_lo
	scratch_load_b32 v16, off, off offset:1360 ; 4-byte Folded Reload
	s_waitcnt vmcnt(0)
	v_add_co_u32 v68, vcc_lo, v16, s1
	scratch_load_b32 v16, off, off offset:1364 ; 4-byte Folded Reload
	s_waitcnt vmcnt(0)
	v_add_co_ci_u32_e32 v69, vcc_lo, s4, v16, vcc_lo
	;; [unrolled: 6-line block ×11, first 2 shown]
	scratch_load_b32 v16, off, off offset:1452 ; 4-byte Folded Reload
	s_waitcnt vmcnt(0)
	v_add_co_u32 v79, vcc_lo, v16, s5
	scratch_load_b32 v16, off, off offset:1456 ; 4-byte Folded Reload
	s_clause 0x7
	scratch_store_b128 off, v[147:150], off offset:744
	scratch_store_b128 off, v[151:154], off offset:760
	;; [unrolled: 1-line block ×8, first 2 shown]
	s_waitcnt vmcnt(0)
	v_add_co_ci_u32_e32 v82, vcc_lo, s14, v16, vcc_lo
.LBB19_395:                             ;   Parent Loop BB19_15 Depth=1
                                        ; =>  This Inner Loop Header: Depth=2
	s_clause 0xa
	scratch_store_b32 off, v20, off offset:400
	scratch_store_b32 off, v82, off offset:368
	;; [unrolled: 1-line block ×11, first 2 shown]
	scratch_load_b32 v21, off, off offset:900 ; 4-byte Folded Reload
	v_add_nc_u32_e32 v19, v120, v81
	v_dual_mov_b32 v135, s43 :: v_dual_mov_b32 v128, s36
	v_dual_mov_b32 v134, s42 :: v_dual_mov_b32 v133, s41
	v_mov_b32_e32 v131, s39
	v_mov_b32_e32 v129, s37
	s_add_i32 s7, s7, -1
	v_mov_b32_e32 v132, s40
	s_cmp_lg_u32 s7, 0
	v_mov_b32_e32 v130, s38
	v_mov_b32_e32 v228, v66
	;; [unrolled: 1-line block ×5, first 2 shown]
	s_waitcnt vmcnt(0)
	v_add_co_u32 v112, vcc_lo, v242, v21
	v_add_co_ci_u32_e32 v113, vcc_lo, 0, v243, vcc_lo
	v_add_co_u32 v16, vcc_lo, v244, v21
	v_add_co_ci_u32_e32 v17, vcc_lo, 0, v245, vcc_lo
	global_load_b32 v18, v[112:113], off
	global_load_b32 v16, v[16:17], off
	v_add_nc_u32_e32 v17, 0x3c00, v19
	s_waitcnt vmcnt(0)
	ds_store_2addr_b32 v17, v18, v16 offset1:144
	v_add_co_u32 v16, vcc_lo, v246, v21
	v_add_co_ci_u32_e32 v17, vcc_lo, 0, v247, vcc_lo
	global_load_b32 v18, v[16:17], off
	v_add_co_u32 v16, vcc_lo, v248, v21
	v_add_co_ci_u32_e32 v17, vcc_lo, 0, v249, vcc_lo
	global_load_b32 v16, v[16:17], off
	v_add_nc_u32_e32 v17, 0x4000, v19
	s_waitcnt vmcnt(0)
	ds_store_2addr_b32 v17, v18, v16 offset0:32 offset1:176
	global_load_b128 v[16:19], v[240:241], off
	scratch_load_b32 v102, off, off offset:296 ; 4-byte Folded Reload
	s_waitcnt vmcnt(0)
	ds_store_b128 v102, v[16:19]
	v_add_co_u32 v16, vcc_lo, v22, v90
	v_add_co_ci_u32_e32 v17, vcc_lo, 0, v74, vcc_lo
	v_add_co_u32 v20, vcc_lo, v75, v90
	v_add_co_ci_u32_e32 v21, vcc_lo, 0, v23, vcc_lo
	global_load_b128 v[16:19], v[16:17], off
	global_load_b128 v[20:23], v[20:21], off
	s_waitcnt vmcnt(1)
	ds_store_b128 v168, v[16:19]
	s_waitcnt vmcnt(0)
	ds_store_b128 v169, v[20:23]
	v_add_co_u32 v16, vcc_lo, v253, v96
	v_add_co_ci_u32_e32 v17, vcc_lo, 0, v65, vcc_lo
	v_add_co_u32 v20, vcc_lo, v76, v96
	v_add_co_ci_u32_e32 v21, vcc_lo, 0, v77, vcc_lo
	global_load_b128 v[16:19], v[16:17], off
	global_load_b128 v[20:23], v[20:21], off
	s_waitcnt vmcnt(1)
	ds_store_b128 v172, v[16:19]
	;; [unrolled: 10-line block ×3, first 2 shown]
	s_waitcnt vmcnt(0)
	ds_store_b128 v197, v[20:23]
	s_waitcnt lgkmcnt(0)
	s_waitcnt_vscnt null, 0x0
	s_barrier
	buffer_gl0_inv
	ds_load_b128 v[74:77], v233
	ds_load_b128 v[78:81], v233 offset:16
	ds_load_b128 v[82:85], v233 offset:3840
	;; [unrolled: 1-line block ×7, first 2 shown]
	s_clause 0x1
	scratch_load_b128 v[16:19], off, off offset:652
	scratch_load_b128 v[20:23], off, off offset:668
	v_mov_b32_e32 v65, v100
	s_waitcnt vmcnt(0) lgkmcnt(6)
	v_wmma_f32_16x16x16_f16 v[136:143], v[74:81], v[16:23], v[128:135]
	s_waitcnt lgkmcnt(4)
	v_wmma_f32_16x16x16_f16 v[144:151], v[82:89], v[16:23], v[128:135]
	s_waitcnt lgkmcnt(2)
	;; [unrolled: 2-line block ×3, first 2 shown]
	v_wmma_f32_16x16x16_f16 v[112:119], v[120:127], v[16:23], v[128:135]
	ds_load_b128 v[74:77], v233 offset:32
	ds_load_b128 v[78:81], v233 offset:48
	s_clause 0x1
	scratch_load_b128 v[16:19], off, off offset:620
	scratch_load_b128 v[20:23], off, off offset:636
	s_waitcnt vmcnt(0) lgkmcnt(0)
	v_wmma_f32_16x16x16_f16 v[136:143], v[74:81], v[16:23], v[136:143]
	ds_load_b128 v[74:77], v233 offset:3872
	ds_load_b128 v[78:81], v233 offset:3888
	s_waitcnt lgkmcnt(0)
	v_wmma_f32_16x16x16_f16 v[144:151], v[74:81], v[16:23], v[144:151]
	ds_load_b128 v[74:77], v233 offset:7712
	ds_load_b128 v[78:81], v233 offset:7728
	s_waitcnt lgkmcnt(0)
	v_wmma_f32_16x16x16_f16 v[152:159], v[74:81], v[16:23], v[152:159]
	ds_load_b128 v[74:77], v233 offset:11552
	ds_load_b128 v[78:81], v233 offset:11568
	s_waitcnt lgkmcnt(0)
	v_wmma_f32_16x16x16_f16 v[112:119], v[74:81], v[16:23], v[112:119]
	ds_load_b128 v[74:77], v233 offset:64
	ds_load_b128 v[78:81], v233 offset:80
	s_clause 0x1
	scratch_load_b128 v[16:19], off, off offset:588
	scratch_load_b128 v[20:23], off, off offset:604
	s_waitcnt vmcnt(0) lgkmcnt(0)
	v_wmma_f32_16x16x16_f16 v[136:143], v[74:81], v[16:23], v[136:143]
	ds_load_b128 v[74:77], v233 offset:3904
	ds_load_b128 v[78:81], v233 offset:3920
	s_waitcnt lgkmcnt(0)
	v_wmma_f32_16x16x16_f16 v[144:151], v[74:81], v[16:23], v[144:151]
	ds_load_b128 v[74:77], v233 offset:7744
	ds_load_b128 v[78:81], v233 offset:7760
	s_waitcnt lgkmcnt(0)
	v_wmma_f32_16x16x16_f16 v[152:159], v[74:81], v[16:23], v[152:159]
	ds_load_b128 v[74:77], v233 offset:11584
	ds_load_b128 v[78:81], v233 offset:11600
	s_waitcnt lgkmcnt(0)
	;; [unrolled: 19-line block ×3, first 2 shown]
	v_wmma_f32_16x16x16_f16 v[112:119], v[74:81], v[16:23], v[112:119]
	ds_load_b128 v[74:77], v233 offset:128
	ds_load_b128 v[78:81], v233 offset:144
	s_waitcnt lgkmcnt(0)
	v_wmma_f32_16x16x16_f16 v[136:143], v[74:81], v[207:214], v[136:143]
	ds_load_b128 v[74:77], v233 offset:3968
	ds_load_b128 v[78:81], v233 offset:3984
	s_waitcnt lgkmcnt(0)
	;; [unrolled: 4-line block ×12, first 2 shown]
	s_barrier
	buffer_gl0_inv
	ds_load_u16 v16, v230 offset:15360
	ds_load_u16 v17, v230 offset:15364
	;; [unrolled: 1-line block ×8, first 2 shown]
	s_waitcnt lgkmcnt(7)
	v_cvt_f32_f16_e32 v16, v16
	s_waitcnt lgkmcnt(6)
	v_cvt_f32_f16_e32 v17, v17
	;; [unrolled: 2-line block ×8, first 2 shown]
	v_wmma_f32_16x16x16_f16 v[112:119], v[74:81], v[160:167], v[112:119]
	v_dual_add_f32 v74, v136, v16 :: v_dual_add_f32 v75, v137, v17
	v_add_f32_e32 v84, v140, v20
	v_add_f32_e32 v80, v138, v18
	;; [unrolled: 1-line block ×3, first 2 shown]
	v_dual_add_f32 v86, v141, v21 :: v_dual_add_f32 v89, v143, v23
	v_add_f32_e32 v88, v142, v22
	ds_load_u16 v16, v230 offset:15392
	ds_load_u16 v17, v230 offset:15396
	;; [unrolled: 1-line block ×8, first 2 shown]
	s_waitcnt lgkmcnt(7)
	v_cvt_f32_f16_e32 v16, v16
	s_waitcnt lgkmcnt(6)
	v_cvt_f32_f16_e32 v17, v17
	;; [unrolled: 2-line block ×5, first 2 shown]
	v_add_f32_e32 v139, v144, v16
	s_waitcnt lgkmcnt(2)
	v_cvt_f32_f16_e32 v21, v21
	s_waitcnt lgkmcnt(1)
	v_cvt_f32_f16_e32 v22, v22
	;; [unrolled: 2-line block ×3, first 2 shown]
	v_dual_add_f32 v140, v145, v17 :: v_dual_add_f32 v95, v147, v19
	v_dual_add_f32 v138, v146, v18 :: v_dual_add_f32 v93, v149, v21
	s_delay_alu instid0(VALU_DEP_3)
	v_dual_add_f32 v94, v148, v20 :: v_dual_add_f32 v91, v151, v23
	v_add_f32_e32 v92, v150, v22
	ds_load_u16 v16, v230 offset:15424
	ds_load_u16 v17, v230 offset:15428
	;; [unrolled: 1-line block ×8, first 2 shown]
	s_waitcnt lgkmcnt(7)
	v_cvt_f32_f16_e32 v16, v16
	s_waitcnt lgkmcnt(6)
	v_cvt_f32_f16_e32 v17, v17
	;; [unrolled: 2-line block ×5, first 2 shown]
	v_add_f32_e32 v85, v152, v16
	s_waitcnt lgkmcnt(2)
	v_cvt_f32_f16_e32 v21, v21
	s_waitcnt lgkmcnt(1)
	v_cvt_f32_f16_e32 v22, v22
	;; [unrolled: 2-line block ×3, first 2 shown]
	v_dual_add_f32 v87, v153, v17 :: v_dual_add_f32 v76, v156, v20
	v_add_f32_e32 v83, v154, v18
	v_add_f32_e32 v81, v155, v19
	;; [unrolled: 1-line block ×3, first 2 shown]
	v_dual_add_f32 v223, v158, v22 :: v_dual_add_f32 v222, v159, v23
	ds_load_u16 v16, v230 offset:15456
	ds_load_u16 v17, v230 offset:15460
	;; [unrolled: 1-line block ×8, first 2 shown]
	s_waitcnt lgkmcnt(7)
	v_cvt_f32_f16_e32 v16, v16
	s_waitcnt lgkmcnt(6)
	v_cvt_f32_f16_e32 v17, v17
	;; [unrolled: 2-line block ×5, first 2 shown]
	v_add_f32_e32 v224, v112, v16
	s_waitcnt lgkmcnt(2)
	v_cvt_f32_f16_e32 v21, v21
	s_waitcnt lgkmcnt(0)
	v_cvt_f32_f16_e32 v23, v23
	v_add_f32_e32 v225, v113, v17
	v_dual_add_f32 v79, v114, v18 :: v_dual_add_f32 v78, v115, v19
	global_load_b128 v[16:19], v[238:239], off
	v_dual_add_f32 v77, v116, v20 :: v_dual_add_f32 v104, v119, v23
	v_cvt_f32_f16_e32 v22, v22
	v_add_f32_e32 v226, v117, v21
	scratch_store_b32 off, v104, off offset:432 ; 4-byte Folded Spill
	v_add_f32_e32 v227, v118, v22
	s_waitcnt vmcnt(0)
	ds_store_b128 v102, v[16:19]
	v_add_co_u32 v16, vcc_lo, v66, v90
	v_add_co_ci_u32_e32 v17, vcc_lo, 0, v67, vcc_lo
	v_add_co_u32 v20, vcc_lo, v68, v90
	v_add_co_ci_u32_e32 v21, vcc_lo, 0, v69, vcc_lo
	global_load_b128 v[16:19], v[16:17], off
	global_load_b128 v[20:23], v[20:21], off
	s_waitcnt vmcnt(1)
	ds_store_b128 v168, v[16:19]
	s_waitcnt vmcnt(0)
	ds_store_b128 v169, v[20:23]
	v_add_co_u32 v16, vcc_lo, v70, v96
	v_add_co_ci_u32_e32 v17, vcc_lo, 0, v71, vcc_lo
	v_add_co_u32 v20, vcc_lo, v72, v96
	v_add_co_ci_u32_e32 v21, vcc_lo, 0, v97, vcc_lo
	global_load_b128 v[16:19], v[16:17], off
	global_load_b128 v[20:23], v[20:21], off
	s_waitcnt vmcnt(1)
	ds_store_b128 v172, v[16:19]
	;; [unrolled: 10-line block ×3, first 2 shown]
	s_waitcnt vmcnt(0)
	ds_store_b128 v197, v[20:23]
	v_dual_mov_b32 v16, v231 :: v_dual_add_f32 v17, 0x40051340, v74
	v_dual_add_f32 v18, 0x40051340, v75 :: v_dual_add_f32 v19, 0x40051340, v82
	v_dual_mov_b32 v73, v72 :: v_dual_mov_b32 v72, v71
	v_mov_b32_e32 v71, v70
	s_delay_alu instid0(VALU_DEP_3) | instskip(SKIP_3) | instid1(VALU_DEP_3)
	v_max3_f32 v17, v16, v17, v18
	v_add_f32_e32 v18, 0x40051340, v80
	v_mov_b32_e32 v70, v69
	v_mov_b32_e32 v69, v97
	v_max3_f32 v17, v17, v18, v19
	v_dual_add_f32 v18, 0x40051340, v84 :: v_dual_add_f32 v19, 0x40051340, v86
	s_delay_alu instid0(VALU_DEP_1) | instskip(SKIP_1) | instid1(VALU_DEP_1)
	v_max3_f32 v17, v17, v18, v19
	v_dual_add_f32 v18, 0x40051340, v88 :: v_dual_add_f32 v19, 0x40051340, v89
	v_max3_f32 v17, v17, v18, v19
	v_dual_add_f32 v18, 0x40051340, v139 :: v_dual_add_f32 v19, 0x40051340, v140
	s_delay_alu instid0(VALU_DEP_1) | instskip(SKIP_1) | instid1(VALU_DEP_1)
	v_max3_f32 v17, v17, v18, v19
	v_dual_add_f32 v18, 0x40051340, v138 :: v_dual_add_f32 v19, 0x40051340, v95
	;; [unrolled: 5-line block ×7, first 2 shown]
	v_max3_f32 v17, v17, v18, v19
	ds_bpermute_b32 v18, v236, v17
	s_waitcnt lgkmcnt(0)
	v_max_f32_e32 v18, v18, v18
	s_delay_alu instid0(VALU_DEP_1) | instskip(NEXT) | instid1(VALU_DEP_1)
	v_max_f32_e32 v231, v17, v18
	v_sub_f32_e32 v17, v75, v231
	s_delay_alu instid0(VALU_DEP_1) | instskip(SKIP_2) | instid1(VALU_DEP_3)
	v_mul_f32_e32 v18, 0x3fb8aa3b, v17
	v_cmp_ngt_f32_e32 vcc_lo, 0xc2ce8ed0, v17
	v_sub_f32_e32 v16, v16, v231
	v_fma_f32 v19, 0x3fb8aa3b, v17, -v18
	v_rndne_f32_e32 v20, v18
	s_delay_alu instid0(VALU_DEP_1) | instskip(SKIP_1) | instid1(VALU_DEP_2)
	v_dual_fmac_f32 v19, 0x32a5705f, v17 :: v_dual_sub_f32 v18, v18, v20
	v_cvt_i32_f32_e32 v20, v20
	v_add_f32_e32 v18, v18, v19
	v_sub_f32_e32 v19, v74, v231
	s_delay_alu instid0(VALU_DEP_1) | instskip(SKIP_1) | instid1(VALU_DEP_2)
	v_mul_f32_e32 v21, 0x3fb8aa3b, v19
	v_cmp_ngt_f32_e64 s1, 0xc2ce8ed0, v19
	v_fma_f32 v22, 0x3fb8aa3b, v19, -v21
	v_rndne_f32_e32 v23, v21
	s_delay_alu instid0(VALU_DEP_2) | instskip(NEXT) | instid1(VALU_DEP_2)
	v_fmac_f32_e32 v22, 0x32a5705f, v19
	v_sub_f32_e32 v21, v21, v23
	s_delay_alu instid0(VALU_DEP_1) | instskip(SKIP_1) | instid1(VALU_DEP_1)
	v_add_f32_e32 v21, v21, v22
	v_exp_f32_e32 v18, v18
	v_exp_f32_e32 v21, v21
	s_waitcnt_depctr 0xfff
	v_ldexp_f32 v18, v18, v20
	v_cvt_i32_f32_e32 v20, v23
	s_delay_alu instid0(VALU_DEP_2) | instskip(NEXT) | instid1(VALU_DEP_2)
	v_cndmask_b32_e32 v18, 0, v18, vcc_lo
	v_ldexp_f32 v20, v21, v20
	v_cmp_nlt_f32_e32 vcc_lo, 0x42b17218, v17
	s_delay_alu instid0(VALU_DEP_2)
	v_cndmask_b32_e64 v17, 0, v20, s1
	v_cmp_nlt_f32_e64 s1, 0x42b17218, v19
	scratch_load_b32 v19, off, off offset:300 ; 4-byte Folded Reload
	v_cndmask_b32_e32 v75, 0x7f800000, v18, vcc_lo
	v_cmp_eq_u32_e32 vcc_lo, 1, v195
	s_waitcnt vmcnt(0)
	s_waitcnt_vscnt null, 0x0
	v_cndmask_b32_e64 v74, 0x7f800000, v17, s1
	v_cmp_eq_u32_e64 s1, 0, v195
	s_barrier
	buffer_gl0_inv
	ds_load_u16 v121, v235 offset:480
	ds_load_u16 v126, v235 offset:2880
	;; [unrolled: 1-line block ×7, first 2 shown]
	ds_bpermute_b32 v17, v236, v74
	s_waitcnt lgkmcnt(0)
	v_cndmask_b32_e32 v18, v74, v17, vcc_lo
	v_cndmask_b32_e64 v17, v74, v17, s1
	v_cmp_eq_u32_e64 s2, 1, v19
	v_cmp_eq_u32_e64 s3, 0, v19
	ds_bpermute_b32 v19, v236, v75
	v_cndmask_b32_e64 v21, v18, v75, s2
	v_cndmask_b32_e64 v20, v17, v75, s3
	v_cvt_f16_f32_e32 v17, v17
	v_cvt_f16_f32_e32 v18, v18
	s_delay_alu instid0(VALU_DEP_1) | instskip(SKIP_1) | instid1(VALU_DEP_1)
	v_pack_b32_f16 v112, v17, v18
	v_sub_f32_e32 v17, v80, v231
	v_mul_f32_e32 v18, 0x3fb8aa3b, v17
	v_cmp_ngt_f32_e64 s4, 0xc2ce8ed0, v17
	s_waitcnt lgkmcnt(0)
	v_cndmask_b32_e64 v20, v20, v19, s1
	v_cndmask_b32_e32 v19, v21, v19, vcc_lo
	s_delay_alu instid0(VALU_DEP_2) | instskip(NEXT) | instid1(VALU_DEP_2)
	v_cvt_f16_f32_e32 v21, v20
	v_cvt_f16_f32_e32 v22, v19
	s_delay_alu instid0(VALU_DEP_1) | instskip(SKIP_2) | instid1(VALU_DEP_1)
	v_pack_b32_f16 v113, v21, v22
	v_fma_f32 v21, 0x3fb8aa3b, v17, -v18
	v_rndne_f32_e32 v22, v18
	v_dual_fmac_f32 v21, 0x32a5705f, v17 :: v_dual_sub_f32 v18, v18, v22
	s_delay_alu instid0(VALU_DEP_1) | instskip(SKIP_1) | instid1(VALU_DEP_2)
	v_add_f32_e32 v18, v18, v21
	v_cvt_i32_f32_e32 v21, v22
	v_exp_f32_e32 v18, v18
	s_waitcnt_depctr 0xfff
	v_ldexp_f32 v18, v18, v21
	s_delay_alu instid0(VALU_DEP_1) | instskip(SKIP_1) | instid1(VALU_DEP_1)
	v_cndmask_b32_e64 v18, 0, v18, s4
	v_cmp_nlt_f32_e64 s4, 0x42b17218, v17
	v_cndmask_b32_e64 v80, 0x7f800000, v18, s4
	s_delay_alu instid0(VALU_DEP_1) | instskip(SKIP_3) | instid1(VALU_DEP_1)
	v_cndmask_b32_e64 v17, v19, v80, s2
	ds_bpermute_b32 v19, v236, v80
	v_cndmask_b32_e64 v18, v20, v80, s3
	s_waitcnt lgkmcnt(0)
	v_cndmask_b32_e64 v18, v18, v19, s1
	v_cndmask_b32_e32 v17, v17, v19, vcc_lo
	s_delay_alu instid0(VALU_DEP_2) | instskip(NEXT) | instid1(VALU_DEP_2)
	v_cvt_f16_f32_e32 v19, v18
	v_cvt_f16_f32_e32 v20, v17
	s_delay_alu instid0(VALU_DEP_1) | instskip(SKIP_1) | instid1(VALU_DEP_1)
	v_pack_b32_f16 v114, v19, v20
	v_sub_f32_e32 v19, v82, v231
	v_mul_f32_e32 v20, 0x3fb8aa3b, v19
	v_cmp_ngt_f32_e64 s4, 0xc2ce8ed0, v19
	s_delay_alu instid0(VALU_DEP_2) | instskip(SKIP_1) | instid1(VALU_DEP_1)
	v_fma_f32 v21, 0x3fb8aa3b, v19, -v20
	v_rndne_f32_e32 v22, v20
	v_dual_fmac_f32 v21, 0x32a5705f, v19 :: v_dual_sub_f32 v20, v20, v22
	s_delay_alu instid0(VALU_DEP_1) | instskip(SKIP_1) | instid1(VALU_DEP_2)
	v_add_f32_e32 v20, v20, v21
	v_cvt_i32_f32_e32 v21, v22
	v_exp_f32_e32 v20, v20
	s_waitcnt_depctr 0xfff
	v_ldexp_f32 v20, v20, v21
	s_delay_alu instid0(VALU_DEP_1) | instskip(SKIP_1) | instid1(VALU_DEP_1)
	v_cndmask_b32_e64 v20, 0, v20, s4
	v_cmp_nlt_f32_e64 s4, 0x42b17218, v19
	v_cndmask_b32_e64 v82, 0x7f800000, v20, s4
	ds_bpermute_b32 v19, v236, v82
	v_cndmask_b32_e64 v17, v17, v82, s2
	v_cndmask_b32_e64 v18, v18, v82, s3
	s_waitcnt lgkmcnt(0)
	s_delay_alu instid0(VALU_DEP_1) | instskip(NEXT) | instid1(VALU_DEP_3)
	v_cndmask_b32_e64 v18, v18, v19, s1
	v_cndmask_b32_e32 v17, v17, v19, vcc_lo
	s_delay_alu instid0(VALU_DEP_2) | instskip(NEXT) | instid1(VALU_DEP_2)
	v_cvt_f16_f32_e32 v19, v18
	v_cvt_f16_f32_e32 v20, v17
	s_delay_alu instid0(VALU_DEP_1) | instskip(SKIP_1) | instid1(VALU_DEP_1)
	v_pack_b32_f16 v115, v19, v20
	v_sub_f32_e32 v19, v84, v231
	v_mul_f32_e32 v20, 0x3fb8aa3b, v19
	v_cmp_ngt_f32_e64 s4, 0xc2ce8ed0, v19
	s_delay_alu instid0(VALU_DEP_2) | instskip(SKIP_1) | instid1(VALU_DEP_1)
	v_fma_f32 v21, 0x3fb8aa3b, v19, -v20
	v_rndne_f32_e32 v22, v20
	v_dual_fmac_f32 v21, 0x32a5705f, v19 :: v_dual_sub_f32 v20, v20, v22
	s_delay_alu instid0(VALU_DEP_1) | instskip(SKIP_1) | instid1(VALU_DEP_2)
	v_add_f32_e32 v20, v20, v21
	v_cvt_i32_f32_e32 v21, v22
	v_exp_f32_e32 v20, v20
	s_waitcnt_depctr 0xfff
	v_ldexp_f32 v20, v20, v21
	s_delay_alu instid0(VALU_DEP_1) | instskip(SKIP_1) | instid1(VALU_DEP_1)
	v_cndmask_b32_e64 v20, 0, v20, s4
	v_cmp_nlt_f32_e64 s4, 0x42b17218, v19
	v_cndmask_b32_e64 v84, 0x7f800000, v20, s4
	ds_bpermute_b32 v19, v236, v84
	v_cndmask_b32_e64 v17, v17, v84, s2
	v_cndmask_b32_e64 v18, v18, v84, s3
	s_waitcnt lgkmcnt(0)
	s_delay_alu instid0(VALU_DEP_1) | instskip(NEXT) | instid1(VALU_DEP_3)
	;; [unrolled: 29-line block ×4, first 2 shown]
	v_cndmask_b32_e64 v18, v18, v19, s1
	v_cndmask_b32_e32 v17, v17, v19, vcc_lo
	s_delay_alu instid0(VALU_DEP_2) | instskip(NEXT) | instid1(VALU_DEP_2)
	v_cvt_f16_f32_e32 v19, v18
	v_cvt_f16_f32_e32 v20, v17
	s_delay_alu instid0(VALU_DEP_1) | instskip(SKIP_1) | instid1(VALU_DEP_1)
	v_pack_b32_f16 v118, v19, v20
	v_sub_f32_e32 v19, v89, v231
	v_mul_f32_e32 v20, 0x3fb8aa3b, v19
	v_cmp_ngt_f32_e64 s4, 0xc2ce8ed0, v19
	s_delay_alu instid0(VALU_DEP_2) | instskip(SKIP_1) | instid1(VALU_DEP_1)
	v_fma_f32 v21, 0x3fb8aa3b, v19, -v20
	v_rndne_f32_e32 v22, v20
	v_dual_fmac_f32 v21, 0x32a5705f, v19 :: v_dual_sub_f32 v20, v20, v22
	s_delay_alu instid0(VALU_DEP_1) | instskip(SKIP_1) | instid1(VALU_DEP_2)
	v_add_f32_e32 v20, v20, v21
	v_cvt_i32_f32_e32 v21, v22
	v_exp_f32_e32 v20, v20
	s_waitcnt_depctr 0xfff
	v_ldexp_f32 v20, v20, v21
	s_delay_alu instid0(VALU_DEP_1) | instskip(SKIP_1) | instid1(VALU_DEP_1)
	v_cndmask_b32_e64 v20, 0, v20, s4
	v_cmp_nlt_f32_e64 s4, 0x42b17218, v19
	v_cndmask_b32_e64 v89, 0x7f800000, v20, s4
	v_cmp_ngt_f32_e64 s4, 0xc2ce8ed0, v16
	ds_bpermute_b32 v19, v236, v89
	v_cndmask_b32_e64 v17, v17, v89, s2
	v_cndmask_b32_e64 v18, v18, v89, s3
	s_waitcnt lgkmcnt(0)
	s_delay_alu instid0(VALU_DEP_1) | instskip(NEXT) | instid1(VALU_DEP_3)
	v_cndmask_b32_e64 v18, v18, v19, s1
	v_cndmask_b32_e32 v17, v17, v19, vcc_lo
	s_delay_alu instid0(VALU_DEP_2) | instskip(NEXT) | instid1(VALU_DEP_2)
	v_cvt_f16_f32_e32 v18, v18
	v_cvt_f16_f32_e32 v17, v17
	s_delay_alu instid0(VALU_DEP_1) | instskip(SKIP_1) | instid1(VALU_DEP_1)
	v_pack_b32_f16 v119, v18, v17
	v_mul_f32_e32 v17, 0x3fb8aa3b, v16
	v_fma_f32 v18, 0x3fb8aa3b, v16, -v17
	v_rndne_f32_e32 v19, v17
	s_delay_alu instid0(VALU_DEP_1) | instskip(NEXT) | instid1(VALU_DEP_1)
	v_dual_fmac_f32 v18, 0x32a5705f, v16 :: v_dual_sub_f32 v17, v17, v19
	v_add_f32_e32 v17, v17, v18
	v_cvt_i32_f32_e32 v18, v19
	s_delay_alu instid0(VALU_DEP_2) | instskip(SKIP_2) | instid1(VALU_DEP_1)
	v_exp_f32_e32 v17, v17
	s_waitcnt_depctr 0xfff
	v_ldexp_f32 v17, v17, v18
	v_cndmask_b32_e64 v17, 0, v17, s4
	v_cmp_nlt_f32_e64 s4, 0x42b17218, v16
	s_delay_alu instid0(VALU_DEP_1)
	v_cndmask_b32_e64 v17, 0x7f800000, v17, s4
	v_cmp_le_f32_e64 s4, 0xc1a00000, v16
	scratch_load_b32 v16, off, off offset:796 ; 4-byte Folded Reload
	s_waitcnt vmcnt(0)
	ds_load_u16 v131, v16 offset:1440
	ds_load_u16 v132, v16 offset:1920
	ds_load_u16 v134, v16 offset:2880
	ds_load_u16 v135, v16 offset:3360
	scratch_load_b32 v23, off, off offset:784 ; 4-byte Folded Reload
	s_waitcnt vmcnt(0)
	ds_load_u16 v137, v23 offset:480
	ds_load_u16 v133, v16 offset:2400
	ds_load_u16 v130, v16 offset:960
	ds_load_u16 v129, v16 offset:480
	;; [unrolled: 6-line block ×3, first 2 shown]
	ds_load_u16 v196, v16 offset:3360
	ds_load_u16 v191, v16 offset:960
	ds_load_u16 v190, v16 offset:480
	scratch_load_b32 v16, off, off offset:716 ; 4-byte Folded Reload
	s_waitcnt vmcnt(0)
	ds_load_u16 v183, v16 offset:960
	ds_load_u16 v184, v16 offset:1440
	;; [unrolled: 1-line block ×6, first 2 shown]
	scratch_load_b32 v102, off, off offset:720 ; 4-byte Folded Reload
	s_waitcnt vmcnt(0)
	ds_load_u16 v144, v102 offset:480
	ds_load_u16 v182, v16 offset:480
	scratch_load_b32 v16, off, off offset:788 ; 4-byte Folded Reload
	s_waitcnt vmcnt(0)
	ds_load_u16 v200, v16 offset:1440
	ds_load_u16 v201, v16 offset:1920
	;; [unrolled: 1-line block ×7, first 2 shown]
	ds_load_u16 v120, v235
	ds_load_u16 v128, v235 offset:32
	ds_load_u16 v189, v235 offset:64
	;; [unrolled: 1-line block ×11, first 2 shown]
	s_clause 0x1
	scratch_load_b32 v66, off, off offset:728
	scratch_load_b32 v16, off, off offset:4
	v_cndmask_b32_e64 v90, 0, v17, s4
	s_delay_alu instid0(VALU_DEP_1)
	v_dual_mov_b32 v237, v67 :: v_dual_mul_f32 v40, v40, v90
	v_mul_f32_e32 v56, v56, v90
	v_mul_f32_e32 v57, v57, v90
	;; [unrolled: 1-line block ×51, first 2 shown]
	s_waitcnt vmcnt(1)
	ds_load_u16 v152, v66 offset:480
	s_waitcnt vmcnt(0)
	ds_load_u16 v206, v16 offset:480
	ds_load_u16 v218, v103 offset:2400
	;; [unrolled: 1-line block ×8, first 2 shown]
	scratch_load_b32 v111, off, off offset:684 ; 4-byte Folded Reload
	v_sub_f32_e32 v16, v140, v231
	v_mul_f32_e32 v42, v42, v90
	s_waitcnt vmcnt(0)
	ds_load_u16 v170, v111 offset:1440
	ds_load_u16 v171, v111 offset:1920
	;; [unrolled: 1-line block ×3, first 2 shown]
	v_mul_f32_e32 v17, 0x3fb8aa3b, v16
	scratch_load_b32 v67, off, off offset:724 ; 4-byte Folded Reload
	v_cmp_ngt_f32_e64 s4, 0xc2ce8ed0, v16
	s_waitcnt vmcnt(0)
	ds_load_u16 v162, v67 offset:1440
	ds_load_u16 v163, v67 offset:1920
	;; [unrolled: 1-line block ×8, first 2 shown]
	s_waitcnt lgkmcnt(31)
	ds_load_u16_d16_hi v120, v235 offset:240
	ds_load_u16_d16_hi v121, v235 offset:720
	ds_load_u16_d16_hi v134, v235 offset:3152
	s_waitcnt lgkmcnt(20)
	ds_load_u16_d16_hi v218, v235 offset:2832
	ds_load_u16_d16_hi v126, v235 offset:3120
	ds_load_u16_d16_hi v135, v235 offset:3632
	;; [unrolled: 4-line block ×3, first 2 shown]
	ds_load_u16_d16_hi v131, v235 offset:1712
	ds_load_u16_d16_hi v132, v235 offset:2192
	;; [unrolled: 1-line block ×3, first 2 shown]
	ds_load_u16 v221, v173 offset:3360
	s_waitcnt lgkmcnt(28)
	ds_load_u16_d16_hi v214, v235 offset:912
	ds_load_u16_d16_hi v122, v235 offset:1200
	ds_load_u16_d16_hi v191, v235 offset:1264
	ds_load_u16_d16_hi v183, v235 offset:1296
	ds_load_u16_d16_hi v199, v235 offset:1328
	ds_load_u16_d16_hi v207, v235 offset:1360
	s_waitcnt lgkmcnt(33)
	ds_load_u16_d16_hi v215, v235 offset:1392
	ds_load_u16_d16_hi v123, v235 offset:1680
	ds_load_u16_d16_hi v192, v235 offset:1744
	ds_load_u16_d16_hi v184, v235 offset:1776
	ds_load_u16_d16_hi v200, v235 offset:1808
	ds_load_u16_d16_hi v208, v235 offset:1840
	;; [unrolled: 7-line block ×4, first 2 shown]
	ds_load_u16_d16_hi v195, v235 offset:3184
	ds_load_u16_d16_hi v187, v235 offset:3216
	;; [unrolled: 1-line block ×9, first 2 shown]
	s_waitcnt lgkmcnt(57)
	ds_load_u16_d16_hi v213, v235 offset:432
	ds_load_u16 v136, v235 offset:3872
	ds_load_u16_d16_hi v196, v235 offset:3664
	ds_load_u16_d16_hi v188, v235 offset:3696
	;; [unrolled: 1-line block ×4, first 2 shown]
	s_waitcnt lgkmcnt(56)
	ds_load_u16_d16_hi v220, v235 offset:3792
	ds_load_u16 v96, v235 offset:3840
	s_waitcnt lgkmcnt(21)
	v_wmma_f32_16x16x16_f16 v[56:63], v[120:127], v[112:119], v[56:63]
	scratch_load_b32 v121, off, off offset:780 ; 4-byte Folded Reload
	ds_load_u16_d16_hi v129, v235 offset:752
	v_fma_f32 v18, 0x3fb8aa3b, v16, -v17
	v_rndne_f32_e32 v19, v17
	v_mul_f32_e32 v51, v51, v90
	v_mul_f32_e32 v44, v44, v90
	s_waitcnt vmcnt(0)
	ds_load_u16 v229, v121 offset:3360
	ds_load_u16_d16_hi v190, v235 offset:784
	ds_load_u16_d16_hi v182, v235 offset:816
	v_sub_f32_e32 v17, v17, v19
	scratch_load_b32 v232, off, off offset:792 ; 4-byte Folded Reload
	v_fmac_f32_e32 v18, 0x32a5705f, v16
	v_cvt_i32_f32_e32 v19, v19
	s_waitcnt lgkmcnt(5)
	v_wmma_f32_16x16x16_f16 v[0:7], v[213:220], v[112:119], v[0:7]
	s_waitcnt vmcnt(0)
	ds_load_u16 v120, v232 offset:3360
	ds_load_u16_d16_hi v198, v235 offset:848
	ds_load_u16_d16_hi v206, v235 offset:880
	v_dual_add_f32 v17, v17, v18 :: v_dual_sub_f32 v18, v139, v231
	s_waitcnt lgkmcnt(4)
	v_wmma_f32_16x16x16_f16 v[40:47], v[189:196], v[112:119], v[40:47]
	s_waitcnt lgkmcnt(3)
	v_wmma_f32_16x16x16_f16 v[32:39], v[181:188], v[112:119], v[32:39]
	ds_load_u16 v169, v111 offset:960
	ds_load_u16 v161, v67 offset:960
	;; [unrolled: 1-line block ×5, first 2 shown]
	v_exp_f32_e32 v17, v17
	v_mul_f32_e32 v20, 0x3fb8aa3b, v18
	v_cmp_ngt_f32_e64 s5, 0xc2ce8ed0, v18
	s_delay_alu instid0(VALU_DEP_2)
	v_fma_f32 v21, 0x3fb8aa3b, v18, -v20
	v_rndne_f32_e32 v22, v20
	s_waitcnt_depctr 0xfff
	v_ldexp_f32 v17, v17, v19
	v_fmac_f32_e32 v21, 0x32a5705f, v18
	v_sub_f32_e32 v20, v20, v22
	v_mul_f32_e32 v55, v55, v90
	v_cvt_i32_f32_e32 v19, v22
	v_cndmask_b32_e64 v17, 0, v17, s4
	v_cmp_nlt_f32_e64 s4, 0x42b17218, v16
	v_add_f32_e32 v20, v20, v21
	v_wmma_f32_16x16x16_f16 v[48:55], v[128:135], v[112:119], v[48:55]
	s_waitcnt lgkmcnt(6)
	v_wmma_f32_16x16x16_f16 v[24:31], v[197:204], v[112:119], v[24:31]
	s_waitcnt lgkmcnt(5)
	v_wmma_f32_16x16x16_f16 v[8:15], v[205:212], v[112:119], v[8:15]
	v_cndmask_b32_e64 v129, 0x7f800000, v17, s4
	v_exp_f32_e32 v20, v20
	s_waitcnt_depctr 0xfff
	v_ldexp_f32 v19, v20, v19
	s_delay_alu instid0(VALU_DEP_1)
	v_cndmask_b32_e64 v16, 0, v19, s5
	v_cmp_nlt_f32_e64 s5, 0x42b17218, v18
	ds_bpermute_b32 v18, v236, v129
	v_cndmask_b32_e64 v112, 0x7f800000, v16, s5
	ds_bpermute_b32 v16, v236, v112
	s_waitcnt lgkmcnt(0)
	v_cndmask_b32_e32 v17, v112, v16, vcc_lo
	v_cndmask_b32_e64 v16, v112, v16, s1
	s_delay_alu instid0(VALU_DEP_2) | instskip(NEXT) | instid1(VALU_DEP_2)
	v_cndmask_b32_e64 v20, v17, v129, s2
	v_cndmask_b32_e64 v19, v16, v129, s3
	v_cvt_f16_f32_e32 v16, v16
	v_cvt_f16_f32_e32 v17, v17
	s_delay_alu instid0(VALU_DEP_3) | instskip(SKIP_1) | instid1(VALU_DEP_3)
	v_cndmask_b32_e64 v19, v19, v18, s1
	v_cndmask_b32_e32 v18, v20, v18, vcc_lo
	v_pack_b32_f16 v183, v16, v17
	v_sub_f32_e32 v16, v138, v231
	s_delay_alu instid0(VALU_DEP_4) | instskip(NEXT) | instid1(VALU_DEP_4)
	v_cvt_f16_f32_e32 v20, v19
	v_cvt_f16_f32_e32 v21, v18
	s_delay_alu instid0(VALU_DEP_3) | instskip(SKIP_1) | instid1(VALU_DEP_3)
	v_mul_f32_e32 v17, 0x3fb8aa3b, v16
	v_cmp_ngt_f32_e64 s4, 0xc2ce8ed0, v16
	v_pack_b32_f16 v184, v20, v21
	s_delay_alu instid0(VALU_DEP_3) | instskip(SKIP_1) | instid1(VALU_DEP_1)
	v_fma_f32 v20, 0x3fb8aa3b, v16, -v17
	v_rndne_f32_e32 v21, v17
	v_dual_fmac_f32 v20, 0x32a5705f, v16 :: v_dual_sub_f32 v17, v17, v21
	s_delay_alu instid0(VALU_DEP_1) | instskip(SKIP_1) | instid1(VALU_DEP_2)
	v_add_f32_e32 v17, v17, v20
	v_cvt_i32_f32_e32 v20, v21
	v_exp_f32_e32 v17, v17
	s_waitcnt_depctr 0xfff
	v_ldexp_f32 v17, v17, v20
	s_delay_alu instid0(VALU_DEP_1) | instskip(SKIP_1) | instid1(VALU_DEP_1)
	v_cndmask_b32_e64 v17, 0, v17, s4
	v_cmp_nlt_f32_e64 s4, 0x42b17218, v16
	v_cndmask_b32_e64 v130, 0x7f800000, v17, s4
	s_delay_alu instid0(VALU_DEP_1) | instskip(SKIP_3) | instid1(VALU_DEP_1)
	v_cndmask_b32_e64 v17, v18, v130, s2
	ds_bpermute_b32 v18, v236, v130
	v_cndmask_b32_e64 v16, v19, v130, s3
	s_waitcnt lgkmcnt(0)
	v_cndmask_b32_e64 v16, v16, v18, s1
	v_cndmask_b32_e32 v17, v17, v18, vcc_lo
	s_delay_alu instid0(VALU_DEP_2) | instskip(NEXT) | instid1(VALU_DEP_2)
	v_cvt_f16_f32_e32 v18, v16
	v_cvt_f16_f32_e32 v19, v17
	s_delay_alu instid0(VALU_DEP_1) | instskip(SKIP_1) | instid1(VALU_DEP_1)
	v_pack_b32_f16 v185, v18, v19
	v_sub_f32_e32 v18, v95, v231
	v_mul_f32_e32 v19, 0x3fb8aa3b, v18
	v_cmp_ngt_f32_e64 s4, 0xc2ce8ed0, v18
	s_delay_alu instid0(VALU_DEP_2) | instskip(SKIP_1) | instid1(VALU_DEP_1)
	v_fma_f32 v20, 0x3fb8aa3b, v18, -v19
	v_rndne_f32_e32 v21, v19
	v_dual_fmac_f32 v20, 0x32a5705f, v18 :: v_dual_sub_f32 v19, v19, v21
	s_delay_alu instid0(VALU_DEP_1) | instskip(SKIP_1) | instid1(VALU_DEP_2)
	v_add_f32_e32 v19, v19, v20
	v_cvt_i32_f32_e32 v20, v21
	v_exp_f32_e32 v19, v19
	s_waitcnt_depctr 0xfff
	v_ldexp_f32 v19, v19, v20
	s_delay_alu instid0(VALU_DEP_1) | instskip(SKIP_1) | instid1(VALU_DEP_1)
	v_cndmask_b32_e64 v19, 0, v19, s4
	v_cmp_nlt_f32_e64 s4, 0x42b17218, v18
	v_cndmask_b32_e64 v95, 0x7f800000, v19, s4
	ds_bpermute_b32 v18, v236, v95
	v_cndmask_b32_e64 v16, v16, v95, s3
	v_cndmask_b32_e64 v17, v17, v95, s2
	s_waitcnt lgkmcnt(0)
	s_delay_alu instid0(VALU_DEP_2) | instskip(NEXT) | instid1(VALU_DEP_2)
	v_cndmask_b32_e64 v16, v16, v18, s1
	v_cndmask_b32_e32 v17, v17, v18, vcc_lo
	s_delay_alu instid0(VALU_DEP_2) | instskip(NEXT) | instid1(VALU_DEP_2)
	v_cvt_f16_f32_e32 v18, v16
	v_cvt_f16_f32_e32 v19, v17
	s_delay_alu instid0(VALU_DEP_1) | instskip(SKIP_1) | instid1(VALU_DEP_1)
	v_pack_b32_f16 v186, v18, v19
	v_sub_f32_e32 v18, v94, v231
	v_mul_f32_e32 v19, 0x3fb8aa3b, v18
	v_cmp_ngt_f32_e64 s4, 0xc2ce8ed0, v18
	s_delay_alu instid0(VALU_DEP_2) | instskip(SKIP_1) | instid1(VALU_DEP_1)
	v_fma_f32 v20, 0x3fb8aa3b, v18, -v19
	v_rndne_f32_e32 v21, v19
	v_dual_fmac_f32 v20, 0x32a5705f, v18 :: v_dual_sub_f32 v19, v19, v21
	s_delay_alu instid0(VALU_DEP_1) | instskip(SKIP_1) | instid1(VALU_DEP_2)
	v_add_f32_e32 v19, v19, v20
	v_cvt_i32_f32_e32 v20, v21
	v_exp_f32_e32 v19, v19
	s_waitcnt_depctr 0xfff
	v_ldexp_f32 v19, v19, v20
	s_delay_alu instid0(VALU_DEP_1) | instskip(SKIP_1) | instid1(VALU_DEP_1)
	v_cndmask_b32_e64 v19, 0, v19, s4
	v_cmp_nlt_f32_e64 s4, 0x42b17218, v18
	v_cndmask_b32_e64 v94, 0x7f800000, v19, s4
	ds_bpermute_b32 v18, v236, v94
	v_cndmask_b32_e64 v16, v16, v94, s3
	v_cndmask_b32_e64 v17, v17, v94, s2
	s_waitcnt lgkmcnt(0)
	s_delay_alu instid0(VALU_DEP_2) | instskip(NEXT) | instid1(VALU_DEP_2)
	;; [unrolled: 29-line block ×5, first 2 shown]
	v_cndmask_b32_e64 v16, v16, v18, s1
	v_cndmask_b32_e32 v17, v17, v18, vcc_lo
	s_delay_alu instid0(VALU_DEP_2) | instskip(NEXT) | instid1(VALU_DEP_2)
	v_cvt_f16_f32_e32 v16, v16
	v_cvt_f16_f32_e32 v17, v17
	s_delay_alu instid0(VALU_DEP_1)
	v_pack_b32_f16 v190, v16, v17
	scratch_load_b32 v16, off, off offset:292 ; 4-byte Folded Reload
	s_waitcnt vmcnt(0)
	ds_load_u16 v101, v16 offset:2400
	ds_load_u16 v97, v16 offset:480
	;; [unrolled: 1-line block ×8, first 2 shown]
	scratch_load_b32 v104, off, off offset:776 ; 4-byte Folded Reload
	s_waitcnt vmcnt(0)
	ds_load_u16 v132, v104 offset:480
	ds_load_u16 v142, v23 offset:2880
	;; [unrolled: 1-line block ×9, first 2 shown]
	scratch_load_b32 v115, off, off offset:696 ; 4-byte Folded Reload
	s_waitcnt vmcnt(0)
	ds_load_u16 v191, v115 offset:480
	ds_load_u16 v147, v102 offset:1920
	;; [unrolled: 1-line block ×5, first 2 shown]
	scratch_load_b32 v113, off, off offset:700 ; 4-byte Folded Reload
	s_waitcnt vmcnt(0)
	ds_load_u16 v199, v113 offset:480
	ds_load_u16 v155, v66 offset:1920
	;; [unrolled: 1-line block ×11, first 2 shown]
	s_clause 0x1
	scratch_load_b32 v16, off, off offset:8
	scratch_load_b32 v118, off, off offset:704
	s_waitcnt vmcnt(1)
	ds_load_u16 v181, v16 offset:2880
	scratch_load_b32 v16, off, off offset:8 ; 4-byte Folded Reload
	s_waitcnt vmcnt(0)
	ds_load_u16 v182, v16 offset:3360
	ds_load_u16 v105, v118 offset:480
	;; [unrolled: 1-line block ×6, first 2 shown]
	scratch_load_b32 v117, off, off offset:708 ; 4-byte Folded Reload
	v_sub_f32_e32 v16, v87, v231
	s_waitcnt vmcnt(0)
	ds_load_u16 v128, v117 offset:3360
	ds_load_u16 v127, v117 offset:2880
	s_waitcnt lgkmcnt(36)
	ds_load_u16_d16_hi v143, v235 offset:7472
	s_waitcnt lgkmcnt(36)
	ds_load_u16_d16_hi v138, v235 offset:5072
	ds_load_u16_d16_hi v169, v235 offset:5104
	s_waitcnt lgkmcnt(32)
	ds_load_u16_d16_hi v145, v235 offset:5136
	ds_load_u16_d16_hi v161, v235 offset:5168
	;; [unrolled: 1-line block ×4, first 2 shown]
	s_waitcnt lgkmcnt(35)
	ds_load_u16_d16_hi v146, v235 offset:5616
	ds_load_u16_d16_hi v162, v235 offset:5648
	s_waitcnt lgkmcnt(26)
	ds_load_u16_d16_hi v154, v235 offset:5680
	ds_load_u16_d16_hi v101, v235 offset:6480
	;; [unrolled: 1-line block ×19, first 2 shown]
	s_waitcnt lgkmcnt(40)
	ds_load_u16_d16_hi v102, v235 offset:6960
	ds_load_u16_d16_hi v180, v235 offset:6672
	s_waitcnt lgkmcnt(41)
	ds_load_u16_d16_hi v103, v235 offset:7440
	s_waitcnt lgkmcnt(39)
	;; [unrolled: 2-line block ×3, first 2 shown]
	ds_load_u16_d16_hi v128, v235 offset:15312
	ds_load_u16_d16_hi v97, v235 offset:4560
	;; [unrolled: 1-line block ×4, first 2 shown]
	ds_load_u16 v175, v235 offset:4032
	ds_load_u16 v173, v111 offset:2880
	;; [unrolled: 1-line block ×5, first 2 shown]
	scratch_load_b32 v67, off, off offset:688 ; 4-byte Folded Reload
	v_mul_f32_e32 v18, 0x3fb8aa3b, v16
	v_cmp_ngt_f32_e64 s4, 0xc2ce8ed0, v16
	s_delay_alu instid0(VALU_DEP_2) | instskip(SKIP_1) | instid1(VALU_DEP_2)
	v_fma_f32 v20, 0x3fb8aa3b, v16, -v18
	v_rndne_f32_e32 v23, v18
	v_fmac_f32_e32 v20, 0x32a5705f, v16
	s_delay_alu instid0(VALU_DEP_2) | instskip(SKIP_3) | instid1(VALU_DEP_3)
	v_sub_f32_e32 v18, v18, v23
	v_cvt_i32_f32_e32 v23, v23
	s_waitcnt lgkmcnt(6)
	v_wmma_f32_16x16x16_f16 v[56:63], v[96:103], v[183:190], v[56:63]
	v_add_f32_e32 v18, v18, v20
	v_sub_f32_e32 v20, v85, v231
	s_waitcnt vmcnt(0)
	ds_load_u16 v101, v67 offset:2400
	ds_load_u16 v102, v67 offset:2880
	ds_load_u16 v99, v67 offset:1440
	ds_load_u16 v97, v67 offset:480
	scratch_load_b32 v66, off, off offset:244 ; 4-byte Folded Reload
	v_mul_f32_e32 v85, 0x3fb8aa3b, v20
	v_exp_f32_e32 v18, v18
	v_cmp_ngt_f32_e64 s5, 0xc2ce8ed0, v20
	s_waitcnt vmcnt(0)
	ds_load_u16 v21, v66 offset:2400
	ds_load_u16 v22, v66 offset:2880
	;; [unrolled: 1-line block ×4, first 2 shown]
	ds_load_u16_d16_hi v137, v235 offset:4592
	ds_load_u16_d16_hi v142, v235 offset:6992
	s_waitcnt lgkmcnt(13)
	ds_load_u16_d16_hi v173, v235 offset:7024
	ds_load_u16_d16_hi v149, v235 offset:7056
	s_waitcnt lgkmcnt(13)
	ds_load_u16_d16_hi v165, v235 offset:7088
	ds_load_u16_d16_hi v157, v235 offset:7120
	;; [unrolled: 1-line block ×5, first 2 shown]
	v_fma_f32 v87, 0x3fb8aa3b, v20, -v85
	v_rndne_f32_e32 v98, v85
	v_ldexp_f32 v18, v18, v23
	s_delay_alu instid0(VALU_DEP_3) | instskip(NEXT) | instid1(VALU_DEP_3)
	v_fmac_f32_e32 v87, 0x32a5705f, v20
	v_sub_f32_e32 v85, v85, v98
	v_cvt_i32_f32_e32 v23, v98
	s_delay_alu instid0(VALU_DEP_4) | instskip(SKIP_1) | instid1(VALU_DEP_4)
	v_cndmask_b32_e64 v18, 0, v18, s4
	v_cmp_nlt_f32_e64 s4, 0x42b17218, v16
	v_add_f32_e32 v85, v85, v87
	s_waitcnt lgkmcnt(7)
	v_wmma_f32_16x16x16_f16 v[48:55], v[136:143], v[183:190], v[48:55]
	ds_load_u16 v167, v235 offset:3904
	ds_load_u16 v143, v235 offset:3936
	;; [unrolled: 1-line block ×4, first 2 shown]
	ds_load_u16_d16_hi v174, v235 offset:7504
	ds_load_u16_d16_hi v150, v235 offset:7536
	;; [unrolled: 1-line block ×5, first 2 shown]
	ds_load_u16 v206, v235 offset:7680
	ds_load_u16 v131, v235 offset:7712
	;; [unrolled: 1-line block ×3, first 2 shown]
	v_cndmask_b32_e64 v87, 0x7f800000, v18, s4
	s_waitcnt lgkmcnt(11)
	ds_load_u16_d16_hi v167, v235 offset:4144
	s_waitcnt lgkmcnt(11)
	ds_load_u16_d16_hi v143, v235 offset:4176
	;; [unrolled: 2-line block ×4, first 2 shown]
	v_exp_f32_e32 v85, v85
	s_waitcnt lgkmcnt(7)
	v_wmma_f32_16x16x16_f16 v[0:7], v[175:182], v[183:190], v[0:7]
	s_waitcnt_depctr 0xfff
	v_ldexp_f32 v23, v85, v23
	s_delay_alu instid0(VALU_DEP_1)
	v_cndmask_b32_e64 v16, 0, v23, s5
	v_cmp_nlt_f32_e64 s5, 0x42b17218, v20
	ds_bpermute_b32 v20, v236, v87
	s_waitcnt lgkmcnt(3)
	v_wmma_f32_16x16x16_f16 v[32:39], v[143:150], v[183:190], v[32:39]
	v_wmma_f32_16x16x16_f16 v[40:47], v[167:174], v[183:190], v[40:47]
	s_clause 0x4
	scratch_load_b32 v167, off, off offset:252
	scratch_load_b32 v174, off, off offset:236
	;; [unrolled: 1-line block ×5, first 2 shown]
	v_cndmask_b32_e64 v85, 0x7f800000, v16, s5
	ds_load_u16_d16_hi v160, v235 offset:4688
	ds_load_u16_d16_hi v152, v235 offset:4720
	;; [unrolled: 1-line block ×3, first 2 shown]
	ds_bpermute_b32 v16, v236, v85
	s_waitcnt lgkmcnt(3)
	v_wmma_f32_16x16x16_f16 v[24:31], v[159:166], v[183:190], v[24:31]
	s_waitcnt lgkmcnt(1)
	v_wmma_f32_16x16x16_f16 v[8:15], v[151:158], v[183:190], v[8:15]
	s_waitcnt lgkmcnt(0)
	v_cndmask_b32_e32 v18, v85, v16, vcc_lo
	v_cndmask_b32_e64 v16, v85, v16, s1
	s_delay_alu instid0(VALU_DEP_2) | instskip(NEXT) | instid1(VALU_DEP_2)
	v_cndmask_b32_e64 v98, v18, v87, s2
	v_cndmask_b32_e64 v23, v16, v87, s3
	v_cvt_f16_f32_e32 v16, v16
	v_cvt_f16_f32_e32 v18, v18
	s_delay_alu instid0(VALU_DEP_3) | instskip(SKIP_1) | instid1(VALU_DEP_3)
	v_cndmask_b32_e64 v23, v23, v20, s1
	v_cndmask_b32_e32 v20, v98, v20, vcc_lo
	v_pack_b32_f16 v139, v16, v18
	v_sub_f32_e32 v16, v83, v231
	s_delay_alu instid0(VALU_DEP_4) | instskip(NEXT) | instid1(VALU_DEP_4)
	v_cvt_f16_f32_e32 v98, v23
	v_cvt_f16_f32_e32 v100, v20
	s_delay_alu instid0(VALU_DEP_3) | instskip(SKIP_1) | instid1(VALU_DEP_3)
	v_mul_f32_e32 v18, 0x3fb8aa3b, v16
	v_cmp_ngt_f32_e64 s4, 0xc2ce8ed0, v16
	v_pack_b32_f16 v140, v98, v100
	s_delay_alu instid0(VALU_DEP_3) | instskip(SKIP_1) | instid1(VALU_DEP_1)
	v_fma_f32 v83, 0x3fb8aa3b, v16, -v18
	v_rndne_f32_e32 v98, v18
	v_dual_fmac_f32 v83, 0x32a5705f, v16 :: v_dual_sub_f32 v18, v18, v98
	s_delay_alu instid0(VALU_DEP_1) | instskip(SKIP_1) | instid1(VALU_DEP_2)
	v_add_f32_e32 v18, v18, v83
	v_cvt_i32_f32_e32 v83, v98
	v_exp_f32_e32 v18, v18
	s_waitcnt_depctr 0xfff
	v_ldexp_f32 v18, v18, v83
	s_delay_alu instid0(VALU_DEP_1) | instskip(SKIP_1) | instid1(VALU_DEP_1)
	v_cndmask_b32_e64 v18, 0, v18, s4
	v_cmp_nlt_f32_e64 s4, 0x42b17218, v16
	v_cndmask_b32_e64 v83, 0x7f800000, v18, s4
	s_delay_alu instid0(VALU_DEP_1) | instskip(SKIP_3) | instid1(VALU_DEP_1)
	v_cndmask_b32_e64 v18, v20, v83, s2
	ds_bpermute_b32 v20, v236, v83
	v_cndmask_b32_e64 v16, v23, v83, s3
	s_waitcnt lgkmcnt(0)
	v_cndmask_b32_e64 v16, v16, v20, s1
	v_cndmask_b32_e32 v18, v18, v20, vcc_lo
	s_delay_alu instid0(VALU_DEP_2) | instskip(NEXT) | instid1(VALU_DEP_2)
	v_cvt_f16_f32_e32 v20, v16
	v_cvt_f16_f32_e32 v23, v18
	s_delay_alu instid0(VALU_DEP_1) | instskip(SKIP_1) | instid1(VALU_DEP_1)
	v_pack_b32_f16 v141, v20, v23
	v_sub_f32_e32 v20, v81, v231
	v_mul_f32_e32 v23, 0x3fb8aa3b, v20
	v_cmp_ngt_f32_e64 s4, 0xc2ce8ed0, v20
	s_delay_alu instid0(VALU_DEP_2) | instskip(SKIP_1) | instid1(VALU_DEP_2)
	v_fma_f32 v81, 0x3fb8aa3b, v20, -v23
	v_rndne_f32_e32 v98, v23
	v_fmac_f32_e32 v81, 0x32a5705f, v20
	s_delay_alu instid0(VALU_DEP_2) | instskip(NEXT) | instid1(VALU_DEP_1)
	v_sub_f32_e32 v23, v23, v98
	v_add_f32_e32 v23, v23, v81
	v_cvt_i32_f32_e32 v81, v98
	s_delay_alu instid0(VALU_DEP_2) | instskip(SKIP_2) | instid1(VALU_DEP_1)
	v_exp_f32_e32 v23, v23
	s_waitcnt_depctr 0xfff
	v_ldexp_f32 v23, v23, v81
	v_cndmask_b32_e64 v23, 0, v23, s4
	v_cmp_nlt_f32_e64 s4, 0x42b17218, v20
	s_delay_alu instid0(VALU_DEP_1) | instskip(SKIP_4) | instid1(VALU_DEP_2)
	v_cndmask_b32_e64 v81, 0x7f800000, v23, s4
	ds_bpermute_b32 v20, v236, v81
	v_cndmask_b32_e64 v16, v16, v81, s3
	v_cndmask_b32_e64 v18, v18, v81, s2
	s_waitcnt lgkmcnt(0)
	v_cndmask_b32_e64 v16, v16, v20, s1
	s_delay_alu instid0(VALU_DEP_2) | instskip(NEXT) | instid1(VALU_DEP_2)
	v_cndmask_b32_e32 v18, v18, v20, vcc_lo
	v_cvt_f16_f32_e32 v20, v16
	s_delay_alu instid0(VALU_DEP_2) | instskip(NEXT) | instid1(VALU_DEP_1)
	v_cvt_f16_f32_e32 v23, v18
	v_pack_b32_f16 v142, v20, v23
	v_sub_f32_e32 v20, v76, v231
	s_delay_alu instid0(VALU_DEP_1) | instskip(SKIP_1) | instid1(VALU_DEP_2)
	v_mul_f32_e32 v23, 0x3fb8aa3b, v20
	v_cmp_ngt_f32_e64 s4, 0xc2ce8ed0, v20
	v_fma_f32 v76, 0x3fb8aa3b, v20, -v23
	v_rndne_f32_e32 v98, v23
	s_delay_alu instid0(VALU_DEP_1) | instskip(NEXT) | instid1(VALU_DEP_1)
	v_dual_fmac_f32 v76, 0x32a5705f, v20 :: v_dual_sub_f32 v23, v23, v98
	v_add_f32_e32 v23, v23, v76
	v_cvt_i32_f32_e32 v76, v98
	s_delay_alu instid0(VALU_DEP_2) | instskip(SKIP_2) | instid1(VALU_DEP_1)
	v_exp_f32_e32 v23, v23
	s_waitcnt_depctr 0xfff
	v_ldexp_f32 v23, v23, v76
	v_cndmask_b32_e64 v23, 0, v23, s4
	v_cmp_nlt_f32_e64 s4, 0x42b17218, v20
	s_delay_alu instid0(VALU_DEP_1) | instskip(SKIP_4) | instid1(VALU_DEP_2)
	v_cndmask_b32_e64 v76, 0x7f800000, v23, s4
	ds_bpermute_b32 v20, v236, v76
	v_cndmask_b32_e64 v16, v16, v76, s3
	v_cndmask_b32_e64 v18, v18, v76, s2
	s_waitcnt lgkmcnt(0)
	v_cndmask_b32_e64 v16, v16, v20, s1
	s_delay_alu instid0(VALU_DEP_2) | instskip(NEXT) | instid1(VALU_DEP_2)
	v_cndmask_b32_e32 v18, v18, v20, vcc_lo
	v_cvt_f16_f32_e32 v20, v16
	s_delay_alu instid0(VALU_DEP_2) | instskip(NEXT) | instid1(VALU_DEP_1)
	v_cvt_f16_f32_e32 v23, v18
	v_pack_b32_f16 v143, v20, v23
	v_sub_f32_e32 v20, v107, v231
	s_delay_alu instid0(VALU_DEP_1) | instskip(SKIP_1) | instid1(VALU_DEP_2)
	v_mul_f32_e32 v23, 0x3fb8aa3b, v20
	v_cmp_ngt_f32_e64 s4, 0xc2ce8ed0, v20
	v_fma_f32 v98, 0x3fb8aa3b, v20, -v23
	v_rndne_f32_e32 v100, v23
	s_delay_alu instid0(VALU_DEP_2) | instskip(NEXT) | instid1(VALU_DEP_2)
	v_fmac_f32_e32 v98, 0x32a5705f, v20
	v_sub_f32_e32 v23, v23, v100
	s_delay_alu instid0(VALU_DEP_1) | instskip(SKIP_1) | instid1(VALU_DEP_2)
	v_add_f32_e32 v23, v23, v98
	v_cvt_i32_f32_e32 v98, v100
	v_exp_f32_e32 v23, v23
	s_waitcnt_depctr 0xfff
	v_ldexp_f32 v23, v23, v98
	s_delay_alu instid0(VALU_DEP_1) | instskip(SKIP_1) | instid1(VALU_DEP_1)
	v_cndmask_b32_e64 v23, 0, v23, s4
	v_cmp_nlt_f32_e64 s4, 0x42b17218, v20
	v_cndmask_b32_e64 v163, 0x7f800000, v23, s4
	ds_bpermute_b32 v20, v236, v163
	v_cndmask_b32_e64 v16, v16, v163, s3
	v_cndmask_b32_e64 v18, v18, v163, s2
	s_waitcnt lgkmcnt(0)
	s_delay_alu instid0(VALU_DEP_2) | instskip(NEXT) | instid1(VALU_DEP_2)
	v_cndmask_b32_e64 v16, v16, v20, s1
	v_cndmask_b32_e32 v18, v18, v20, vcc_lo
	s_delay_alu instid0(VALU_DEP_2) | instskip(NEXT) | instid1(VALU_DEP_2)
	v_cvt_f16_f32_e32 v20, v16
	v_cvt_f16_f32_e32 v23, v18
	s_delay_alu instid0(VALU_DEP_1) | instskip(SKIP_1) | instid1(VALU_DEP_1)
	v_pack_b32_f16 v144, v20, v23
	v_sub_f32_e32 v20, v223, v231
	v_mul_f32_e32 v23, 0x3fb8aa3b, v20
	v_cmp_ngt_f32_e64 s4, 0xc2ce8ed0, v20
	s_delay_alu instid0(VALU_DEP_2) | instskip(SKIP_1) | instid1(VALU_DEP_2)
	v_fma_f32 v98, 0x3fb8aa3b, v20, -v23
	v_rndne_f32_e32 v100, v23
	v_fmac_f32_e32 v98, 0x32a5705f, v20
	s_delay_alu instid0(VALU_DEP_2) | instskip(NEXT) | instid1(VALU_DEP_1)
	v_sub_f32_e32 v23, v23, v100
	v_add_f32_e32 v23, v23, v98
	v_cvt_i32_f32_e32 v98, v100
	s_delay_alu instid0(VALU_DEP_2) | instskip(SKIP_2) | instid1(VALU_DEP_1)
	v_exp_f32_e32 v23, v23
	s_waitcnt_depctr 0xfff
	v_ldexp_f32 v23, v23, v98
	v_cndmask_b32_e64 v23, 0, v23, s4
	v_cmp_nlt_f32_e64 s4, 0x42b17218, v20
	s_delay_alu instid0(VALU_DEP_1) | instskip(SKIP_4) | instid1(VALU_DEP_2)
	v_cndmask_b32_e64 v164, 0x7f800000, v23, s4
	ds_bpermute_b32 v20, v236, v164
	v_cndmask_b32_e64 v16, v16, v164, s3
	v_cndmask_b32_e64 v18, v18, v164, s2
	s_waitcnt lgkmcnt(0)
	v_cndmask_b32_e64 v16, v16, v20, s1
	s_delay_alu instid0(VALU_DEP_2) | instskip(NEXT) | instid1(VALU_DEP_2)
	v_cndmask_b32_e32 v18, v18, v20, vcc_lo
	v_cvt_f16_f32_e32 v20, v16
	s_delay_alu instid0(VALU_DEP_2) | instskip(NEXT) | instid1(VALU_DEP_1)
	v_cvt_f16_f32_e32 v23, v18
	v_pack_b32_f16 v145, v20, v23
	v_sub_f32_e32 v20, v222, v231
	s_delay_alu instid0(VALU_DEP_1) | instskip(SKIP_1) | instid1(VALU_DEP_2)
	v_mul_f32_e32 v23, 0x3fb8aa3b, v20
	v_cmp_ngt_f32_e64 s4, 0xc2ce8ed0, v20
	v_fma_f32 v98, 0x3fb8aa3b, v20, -v23
	v_rndne_f32_e32 v100, v23
	s_delay_alu instid0(VALU_DEP_2) | instskip(NEXT) | instid1(VALU_DEP_2)
	v_fmac_f32_e32 v98, 0x32a5705f, v20
	v_sub_f32_e32 v23, v23, v100
	s_delay_alu instid0(VALU_DEP_1) | instskip(SKIP_1) | instid1(VALU_DEP_2)
	v_add_f32_e32 v23, v23, v98
	v_cvt_i32_f32_e32 v98, v100
	v_exp_f32_e32 v23, v23
	s_waitcnt_depctr 0xfff
	v_ldexp_f32 v23, v23, v98
	s_delay_alu instid0(VALU_DEP_1) | instskip(SKIP_1) | instid1(VALU_DEP_1)
	v_cndmask_b32_e64 v23, 0, v23, s4
	v_cmp_nlt_f32_e64 s4, 0x42b17218, v20
	v_cndmask_b32_e64 v165, 0x7f800000, v23, s4
	ds_bpermute_b32 v20, v236, v165
	v_cndmask_b32_e64 v16, v16, v165, s3
	v_cndmask_b32_e64 v18, v18, v165, s2
	s_waitcnt lgkmcnt(0)
	s_delay_alu instid0(VALU_DEP_2) | instskip(NEXT) | instid1(VALU_DEP_2)
	v_cndmask_b32_e64 v16, v16, v20, s1
	v_cndmask_b32_e32 v18, v18, v20, vcc_lo
	s_delay_alu instid0(VALU_DEP_2) | instskip(NEXT) | instid1(VALU_DEP_2)
	v_cvt_f16_f32_e32 v16, v16
	v_cvt_f16_f32_e32 v18, v18
	s_delay_alu instid0(VALU_DEP_1)
	v_pack_b32_f16 v146, v16, v18
	ds_load_u16 v209, v234 offset:1440
	ds_load_u16 v98, v67 offset:960
	;; [unrolled: 1-line block ×26, first 2 shown]
	scratch_load_b32 v16, off, off          ; 4-byte Folded Reload
	s_waitcnt vmcnt(0)
	ds_load_u16 v215, v16 offset:480
	ds_load_u16 v202, v113 offset:1920
	;; [unrolled: 1-line block ×3, first 2 shown]
	scratch_load_b32 v115, off, off offset:800 ; 4-byte Folded Reload
	s_waitcnt vmcnt(0)
	ds_load_u16 v150, v115 offset:1440
	ds_load_u16 v151, v115 offset:1920
	;; [unrolled: 1-line block ×6, first 2 shown]
	ds_load_u16_d16_hi v207, v235 offset:8400
	s_waitcnt lgkmcnt(23)
	ds_load_u16_d16_hi v137, v235 offset:10832
	ds_load_u16_d16_hi v138, v235 offset:11312
	scratch_load_b32 v116, off, off offset:692 ; 4-byte Folded Reload
	s_waitcnt vmcnt(0)
	ds_load_u16 v156, v116 offset:480
	s_waitcnt lgkmcnt(22)
	ds_load_u16_d16_hi v103, v235 offset:11344
	ds_load_u16_d16_hi v133, v235 offset:8912
	;; [unrolled: 1-line block ×9, first 2 shown]
	s_waitcnt lgkmcnt(26)
	ds_load_u16_d16_hi v194, v235 offset:9936
	ds_load_u16_d16_hi v20, v235 offset:9968
	s_waitcnt lgkmcnt(22)
	ds_load_u16_d16_hi v202, v235 offset:10000
	ds_load_u16_d16_hi v208, v235 offset:8880
	;; [unrolled: 1-line block ×7, first 2 shown]
	s_waitcnt lgkmcnt(28)
	ds_load_u16_d16_hi v201, v235 offset:9520
	ds_load_u16_d16_hi v107, v235 offset:9552
	;; [unrolled: 1-line block ×13, first 2 shown]
	ds_load_u16 v104, v235 offset:7872
	s_waitcnt lgkmcnt(3)
	v_wmma_f32_16x16x16_f16 v[56:63], v[206:213], v[139:146], v[56:63]
	scratch_load_b32 v206, off, off offset:4 ; 4-byte Folded Reload
	ds_load_u16_d16_hi v132, v235 offset:8432
	ds_load_u16_d16_hi v136, v235 offset:10352
	;; [unrolled: 1-line block ×9, first 2 shown]
	s_waitcnt lgkmcnt(9)
	ds_load_u16_d16_hi v104, v235 offset:8112
	ds_load_u16_d16_hi v102, v235 offset:10864
	;; [unrolled: 1-line block ×5, first 2 shown]
	s_waitcnt lgkmcnt(12)
	v_wmma_f32_16x16x16_f16 v[48:55], v[131:138], v[139:146], v[48:55]
	s_waitcnt lgkmcnt(3)
	v_wmma_f32_16x16x16_f16 v[40:47], v[96:103], v[139:146], v[40:47]
	ds_load_u16 v23, v66 offset:3360
	ds_load_u16 v111, v118 offset:3360
	;; [unrolled: 1-line block ×9, first 2 shown]
	ds_load_u16_d16_hi v197, v235 offset:11376
	ds_load_u16 v97, v167 offset:480
	s_waitcnt lgkmcnt(10)
	ds_load_u16_d16_hi v23, v235 offset:11408
	ds_load_u16_d16_hi v205, v235 offset:11440
	s_waitcnt lgkmcnt(11)
	ds_load_u16_d16_hi v111, v235 offset:11472
	ds_load_u16 v147, v235 offset:11520
	ds_load_u16 v222, v235 offset:11552
	;; [unrolled: 1-line block ×4, first 2 shown]
	s_waitcnt lgkmcnt(15)
	ds_load_u16_d16_hi v190, v235 offset:8016
	s_waitcnt lgkmcnt(15)
	ds_load_u16_d16_hi v16, v235 offset:8048
	;; [unrolled: 2-line block ×3, first 2 shown]
	v_mov_b32_e32 v66, v228
	s_waitcnt lgkmcnt(7)
	v_wmma_f32_16x16x16_f16 v[0:7], v[104:111], v[139:146], v[0:7]
	s_waitcnt lgkmcnt(2)
	v_wmma_f32_16x16x16_f16 v[32:39], v[190:197], v[139:146], v[32:39]
	s_waitcnt lgkmcnt(1)
	v_wmma_f32_16x16x16_f16 v[24:31], v[16:23], v[139:146], v[24:31]
	v_sub_f32_e32 v16, v225, v231
	s_clause 0x2
	scratch_load_b32 v197, off, off offset:288
	scratch_load_b32 v196, off, off offset:280
	;; [unrolled: 1-line block ×3, first 2 shown]
	ds_load_u16_d16_hi v199, v235 offset:8560
	v_mul_f32_e32 v17, 0x3fb8aa3b, v16
	v_cmp_ngt_f32_e64 s4, 0xc2ce8ed0, v16
	s_delay_alu instid0(VALU_DEP_2) | instskip(SKIP_1) | instid1(VALU_DEP_1)
	v_fma_f32 v18, 0x3fb8aa3b, v16, -v17
	v_rndne_f32_e32 v19, v17
	v_dual_fmac_f32 v18, 0x32a5705f, v16 :: v_dual_sub_f32 v17, v17, v19
	v_cvt_i32_f32_e32 v19, v19
	s_delay_alu instid0(VALU_DEP_2)
	v_dual_add_f32 v17, v17, v18 :: v_dual_sub_f32 v18, v224, v231
	s_waitcnt lgkmcnt(0)
	v_wmma_f32_16x16x16_f16 v[8:15], v[198:205], v[139:146], v[8:15]
	s_clause 0x1
	scratch_load_b128 v[198:201], off, off offset:868
	scratch_load_b128 v[202:205], off, off offset:884
	v_exp_f32_e32 v17, v17
	v_mul_f32_e32 v20, 0x3fb8aa3b, v18
	v_cmp_ngt_f32_e64 s5, 0xc2ce8ed0, v18
	s_delay_alu instid0(VALU_DEP_2)
	v_fma_f32 v21, 0x3fb8aa3b, v18, -v20
	v_rndne_f32_e32 v22, v20
	s_waitcnt_depctr 0xfff
	v_ldexp_f32 v17, v17, v19
	v_fmac_f32_e32 v21, 0x32a5705f, v18
	v_sub_f32_e32 v20, v20, v22
	v_cvt_i32_f32_e32 v19, v22
	s_delay_alu instid0(VALU_DEP_4) | instskip(SKIP_1) | instid1(VALU_DEP_4)
	v_cndmask_b32_e64 v17, 0, v17, s4
	v_cmp_nlt_f32_e64 s4, 0x42b17218, v16
	v_add_f32_e32 v20, v20, v21
	s_delay_alu instid0(VALU_DEP_2) | instskip(NEXT) | instid1(VALU_DEP_2)
	v_cndmask_b32_e64 v105, 0x7f800000, v17, s4
	v_exp_f32_e32 v20, v20
	s_waitcnt_depctr 0xfff
	v_ldexp_f32 v19, v20, v19
	s_delay_alu instid0(VALU_DEP_1)
	v_cndmask_b32_e64 v16, 0, v19, s5
	v_cmp_nlt_f32_e64 s5, 0x42b17218, v18
	ds_bpermute_b32 v18, v236, v105
	v_cndmask_b32_e64 v104, 0x7f800000, v16, s5
	ds_bpermute_b32 v16, v236, v104
	s_waitcnt lgkmcnt(0)
	v_cndmask_b32_e32 v17, v104, v16, vcc_lo
	v_cndmask_b32_e64 v16, v104, v16, s1
	s_delay_alu instid0(VALU_DEP_2) | instskip(NEXT) | instid1(VALU_DEP_2)
	v_cndmask_b32_e64 v20, v17, v105, s2
	v_cndmask_b32_e64 v19, v16, v105, s3
	v_mov_b32_e32 v67, v237
	v_cvt_f16_f32_e32 v16, v16
	v_cvt_f16_f32_e32 v17, v17
	s_delay_alu instid0(VALU_DEP_4) | instskip(SKIP_1) | instid1(VALU_DEP_3)
	v_cndmask_b32_e64 v19, v19, v18, s1
	v_cndmask_b32_e32 v18, v20, v18, vcc_lo
	v_pack_b32_f16 v16, v16, v17
	s_delay_alu instid0(VALU_DEP_3) | instskip(NEXT) | instid1(VALU_DEP_3)
	v_cvt_f16_f32_e32 v20, v19
	v_cvt_f16_f32_e32 v21, v18
	s_delay_alu instid0(VALU_DEP_1) | instskip(SKIP_1) | instid1(VALU_DEP_1)
	v_pack_b32_f16 v17, v20, v21
	v_sub_f32_e32 v20, v79, v231
	v_mul_f32_e32 v21, 0x3fb8aa3b, v20
	v_cmp_ngt_f32_e64 s4, 0xc2ce8ed0, v20
	s_delay_alu instid0(VALU_DEP_2) | instskip(SKIP_1) | instid1(VALU_DEP_1)
	v_fma_f32 v22, 0x3fb8aa3b, v20, -v21
	v_rndne_f32_e32 v23, v21
	v_dual_fmac_f32 v22, 0x32a5705f, v20 :: v_dual_sub_f32 v21, v21, v23
	s_delay_alu instid0(VALU_DEP_1) | instskip(SKIP_1) | instid1(VALU_DEP_2)
	v_add_f32_e32 v21, v21, v22
	v_cvt_i32_f32_e32 v22, v23
	v_exp_f32_e32 v21, v21
	s_waitcnt_depctr 0xfff
	v_ldexp_f32 v21, v21, v22
	s_delay_alu instid0(VALU_DEP_1) | instskip(SKIP_1) | instid1(VALU_DEP_1)
	v_cndmask_b32_e64 v21, 0, v21, s4
	v_cmp_nlt_f32_e64 s4, 0x42b17218, v20
	v_cndmask_b32_e64 v79, 0x7f800000, v21, s4
	ds_bpermute_b32 v20, v236, v79
	v_cndmask_b32_e64 v19, v19, v79, s3
	v_cndmask_b32_e64 v18, v18, v79, s2
	s_waitcnt lgkmcnt(0)
	s_delay_alu instid0(VALU_DEP_2) | instskip(NEXT) | instid1(VALU_DEP_2)
	v_cndmask_b32_e64 v19, v19, v20, s1
	v_cndmask_b32_e32 v20, v18, v20, vcc_lo
	s_delay_alu instid0(VALU_DEP_2) | instskip(NEXT) | instid1(VALU_DEP_2)
	v_cvt_f16_f32_e32 v18, v19
	v_cvt_f16_f32_e32 v21, v20
	s_delay_alu instid0(VALU_DEP_1) | instskip(SKIP_1) | instid1(VALU_DEP_1)
	v_pack_b32_f16 v18, v18, v21
	v_sub_f32_e32 v21, v78, v231
	v_mul_f32_e32 v22, 0x3fb8aa3b, v21
	v_cmp_ngt_f32_e64 s4, 0xc2ce8ed0, v21
	s_delay_alu instid0(VALU_DEP_2) | instskip(SKIP_1) | instid1(VALU_DEP_1)
	v_fma_f32 v23, 0x3fb8aa3b, v21, -v22
	v_rndne_f32_e32 v78, v22
	v_dual_fmac_f32 v23, 0x32a5705f, v21 :: v_dual_sub_f32 v22, v22, v78
	s_delay_alu instid0(VALU_DEP_1) | instskip(SKIP_1) | instid1(VALU_DEP_2)
	v_add_f32_e32 v22, v22, v23
	v_cvt_i32_f32_e32 v23, v78
	v_exp_f32_e32 v22, v22
	s_waitcnt_depctr 0xfff
	v_ldexp_f32 v22, v22, v23
	s_delay_alu instid0(VALU_DEP_1) | instskip(SKIP_1) | instid1(VALU_DEP_1)
	v_cndmask_b32_e64 v22, 0, v22, s4
	v_cmp_nlt_f32_e64 s4, 0x42b17218, v21
	v_cndmask_b32_e64 v78, 0x7f800000, v22, s4
	ds_bpermute_b32 v21, v236, v78
	v_cndmask_b32_e64 v19, v19, v78, s3
	v_cndmask_b32_e64 v20, v20, v78, s2
	s_waitcnt lgkmcnt(0)
	s_delay_alu instid0(VALU_DEP_2) | instskip(NEXT) | instid1(VALU_DEP_2)
	v_cndmask_b32_e64 v22, v19, v21, s1
	v_cndmask_b32_e32 v20, v20, v21, vcc_lo
	s_delay_alu instid0(VALU_DEP_2) | instskip(NEXT) | instid1(VALU_DEP_2)
	v_cvt_f16_f32_e32 v19, v22
	v_cvt_f16_f32_e32 v21, v20
	s_delay_alu instid0(VALU_DEP_1) | instskip(SKIP_1) | instid1(VALU_DEP_1)
	v_pack_b32_f16 v19, v19, v21
	v_sub_f32_e32 v21, v77, v231
	v_mul_f32_e32 v23, 0x3fb8aa3b, v21
	v_cmp_ngt_f32_e64 s4, 0xc2ce8ed0, v21
	s_delay_alu instid0(VALU_DEP_2) | instskip(SKIP_1) | instid1(VALU_DEP_2)
	v_fma_f32 v77, 0x3fb8aa3b, v21, -v23
	v_rndne_f32_e32 v96, v23
	v_fmac_f32_e32 v77, 0x32a5705f, v21
	s_delay_alu instid0(VALU_DEP_2) | instskip(NEXT) | instid1(VALU_DEP_1)
	v_sub_f32_e32 v23, v23, v96
	v_add_f32_e32 v23, v23, v77
	v_cvt_i32_f32_e32 v77, v96
	s_delay_alu instid0(VALU_DEP_2) | instskip(SKIP_2) | instid1(VALU_DEP_1)
	v_exp_f32_e32 v23, v23
	s_waitcnt_depctr 0xfff
	v_ldexp_f32 v23, v23, v77
	v_cndmask_b32_e64 v23, 0, v23, s4
	v_cmp_nlt_f32_e64 s4, 0x42b17218, v21
	s_delay_alu instid0(VALU_DEP_1) | instskip(NEXT) | instid1(VALU_DEP_1)
	v_cndmask_b32_e64 v77, 0x7f800000, v23, s4
	v_cndmask_b32_e64 v21, v22, v77, s3
	ds_bpermute_b32 v22, v236, v77
	v_cndmask_b32_e64 v20, v20, v77, s2
	s_waitcnt lgkmcnt(0)
	v_cndmask_b32_e64 v21, v21, v22, s1
	s_delay_alu instid0(VALU_DEP_2) | instskip(NEXT) | instid1(VALU_DEP_2)
	v_cndmask_b32_e32 v22, v20, v22, vcc_lo
	v_cvt_f16_f32_e32 v20, v21
	s_delay_alu instid0(VALU_DEP_2) | instskip(NEXT) | instid1(VALU_DEP_1)
	v_cvt_f16_f32_e32 v23, v22
	v_pack_b32_f16 v20, v20, v23
	v_sub_f32_e32 v23, v226, v231
	s_delay_alu instid0(VALU_DEP_1) | instskip(SKIP_1) | instid1(VALU_DEP_2)
	v_mul_f32_e32 v96, 0x3fb8aa3b, v23
	v_cmp_ngt_f32_e64 s4, 0xc2ce8ed0, v23
	v_fma_f32 v98, 0x3fb8aa3b, v23, -v96
	v_rndne_f32_e32 v99, v96
	s_delay_alu instid0(VALU_DEP_2) | instskip(NEXT) | instid1(VALU_DEP_2)
	v_fmac_f32_e32 v98, 0x32a5705f, v23
	v_sub_f32_e32 v96, v96, v99
	s_delay_alu instid0(VALU_DEP_1) | instskip(SKIP_1) | instid1(VALU_DEP_2)
	v_add_f32_e32 v96, v96, v98
	v_cvt_i32_f32_e32 v98, v99
	v_exp_f32_e32 v96, v96
	s_waitcnt_depctr 0xfff
	v_ldexp_f32 v96, v96, v98
	s_delay_alu instid0(VALU_DEP_1) | instskip(SKIP_1) | instid1(VALU_DEP_1)
	v_cndmask_b32_e64 v96, 0, v96, s4
	v_cmp_nlt_f32_e64 s4, 0x42b17218, v23
	v_cndmask_b32_e64 v106, 0x7f800000, v96, s4
	ds_bpermute_b32 v23, v236, v106
	v_cndmask_b32_e64 v21, v21, v106, s3
	v_cndmask_b32_e64 v22, v22, v106, s2
	s_waitcnt lgkmcnt(0)
	s_delay_alu instid0(VALU_DEP_2) | instskip(NEXT) | instid1(VALU_DEP_2)
	v_cndmask_b32_e64 v96, v21, v23, s1
	v_cndmask_b32_e32 v22, v22, v23, vcc_lo
	s_delay_alu instid0(VALU_DEP_2) | instskip(NEXT) | instid1(VALU_DEP_2)
	v_cvt_f16_f32_e32 v21, v96
	v_cvt_f16_f32_e32 v23, v22
	s_delay_alu instid0(VALU_DEP_1) | instskip(SKIP_1) | instid1(VALU_DEP_1)
	v_pack_b32_f16 v21, v21, v23
	v_sub_f32_e32 v23, v227, v231
	v_mul_f32_e32 v98, 0x3fb8aa3b, v23
	v_cmp_ngt_f32_e64 s4, 0xc2ce8ed0, v23
	s_delay_alu instid0(VALU_DEP_2) | instskip(SKIP_1) | instid1(VALU_DEP_1)
	v_fma_f32 v99, 0x3fb8aa3b, v23, -v98
	v_rndne_f32_e32 v100, v98
	v_dual_fmac_f32 v99, 0x32a5705f, v23 :: v_dual_sub_f32 v98, v98, v100
	s_delay_alu instid0(VALU_DEP_1) | instskip(SKIP_1) | instid1(VALU_DEP_2)
	v_add_f32_e32 v98, v98, v99
	v_cvt_i32_f32_e32 v99, v100
	v_exp_f32_e32 v98, v98
	s_waitcnt_depctr 0xfff
	v_ldexp_f32 v98, v98, v99
	s_delay_alu instid0(VALU_DEP_1) | instskip(SKIP_1) | instid1(VALU_DEP_1)
	v_cndmask_b32_e64 v98, 0, v98, s4
	v_cmp_nlt_f32_e64 s4, 0x42b17218, v23
	v_cndmask_b32_e64 v107, 0x7f800000, v98, s4
	s_delay_alu instid0(VALU_DEP_1) | instskip(SKIP_4) | instid1(VALU_DEP_2)
	v_cndmask_b32_e64 v23, v96, v107, s3
	ds_bpermute_b32 v96, v236, v107
	v_cndmask_b32_e64 v22, v22, v107, s2
	s_waitcnt lgkmcnt(0)
	v_cndmask_b32_e64 v23, v23, v96, s1
	v_cndmask_b32_e32 v96, v22, v96, vcc_lo
	s_delay_alu instid0(VALU_DEP_2) | instskip(NEXT) | instid1(VALU_DEP_2)
	v_cvt_f16_f32_e32 v22, v23
	v_cvt_f16_f32_e32 v98, v96
	s_delay_alu instid0(VALU_DEP_1) | instskip(SKIP_3) | instid1(VALU_DEP_1)
	v_pack_b32_f16 v22, v22, v98
	scratch_load_b32 v98, off, off offset:432 ; 4-byte Folded Reload
	s_waitcnt vmcnt(0)
	v_sub_f32_e32 v98, v98, v231
	v_mul_f32_e32 v99, 0x3fb8aa3b, v98
	s_delay_alu instid0(VALU_DEP_1) | instskip(SKIP_1) | instid1(VALU_DEP_1)
	v_fma_f32 v100, 0x3fb8aa3b, v98, -v99
	v_rndne_f32_e32 v101, v99
	v_dual_fmac_f32 v100, 0x32a5705f, v98 :: v_dual_sub_f32 v99, v99, v101
	s_delay_alu instid0(VALU_DEP_1) | instskip(SKIP_2) | instid1(VALU_DEP_3)
	v_add_f32_e32 v99, v99, v100
	v_cvt_i32_f32_e32 v100, v101
	v_cmp_ngt_f32_e64 s4, 0xc2ce8ed0, v98
	v_exp_f32_e32 v99, v99
	s_waitcnt_depctr 0xfff
	v_ldexp_f32 v99, v99, v100
	s_delay_alu instid0(VALU_DEP_1) | instskip(SKIP_1) | instid1(VALU_DEP_1)
	v_cndmask_b32_e64 v99, 0, v99, s4
	v_cmp_nlt_f32_e64 s4, 0x42b17218, v98
	v_cndmask_b32_e64 v108, 0x7f800000, v99, s4
	ds_load_u16 v149, v115 offset:960
	ds_load_u16 v123, v117 offset:960
	;; [unrolled: 1-line block ×15, first 2 shown]
	ds_bpermute_b32 v98, v236, v108
	v_cndmask_b32_e64 v23, v23, v108, s3
	v_cndmask_b32_e64 v96, v96, v108, s2
	s_waitcnt lgkmcnt(0)
	s_delay_alu instid0(VALU_DEP_2) | instskip(NEXT) | instid1(VALU_DEP_2)
	v_cndmask_b32_e64 v23, v23, v98, s1
	v_cndmask_b32_e32 v96, v96, v98, vcc_lo
	v_add_co_u32 v242, vcc_lo, 0x80, v242
	v_add_co_ci_u32_e32 v243, vcc_lo, 0, v243, vcc_lo
	s_delay_alu instid0(VALU_DEP_4) | instskip(NEXT) | instid1(VALU_DEP_4)
	v_cvt_f16_f32_e32 v23, v23
	v_cvt_f16_f32_e32 v96, v96
	v_add_co_u32 v244, vcc_lo, 0x80, v244
	v_add_co_ci_u32_e32 v245, vcc_lo, 0, v245, vcc_lo
	s_delay_alu instid0(VALU_DEP_3)
	v_pack_b32_f16 v23, v23, v96
	scratch_load_b32 v96, off, off          ; 4-byte Folded Reload
	s_waitcnt vmcnt(0)
	ds_load_u16 v217, v96 offset:1440
	ds_load_u16 v100, v167 offset:1920
	;; [unrolled: 1-line block ×5, first 2 shown]
	scratch_load_b32 v96, off, off          ; 4-byte Folded Reload
	s_waitcnt vmcnt(0)
	ds_load_u16 v216, v96 offset:960
	ds_load_u16 v226, v121 offset:1920
	;; [unrolled: 1-line block ×3, first 2 shown]
	ds_load_u16_d16_hi v148, v235 offset:12240
	ds_load_u16_d16_hi v227, v235 offset:14192
	ds_load_u16_d16_hi v228, v235 offset:14672
	ds_load_u16_d16_hi v161, v235 offset:14704
	ds_load_u16_d16_hi v229, v235 offset:15152
	ds_load_u16_d16_hi v162, v235 offset:15184
	ds_load_u16_d16_hi v120, v235 offset:15216
	ds_load_u16_d16_hi v150, v235 offset:13200
	ds_load_u16_d16_hi v225, v235 offset:13232
	ds_load_u16_d16_hi v158, v235 offset:13264
	ds_load_u16_d16_hi v116, v235 offset:13296
	ds_load_u16_d16_hi v99, v235 offset:13328
	s_waitcnt lgkmcnt(19)
	ds_load_u16_d16_hi v217, v235 offset:13360
	ds_load_u16_d16_hi v224, v235 offset:12752
	;; [unrolled: 1-line block ×4, first 2 shown]
	s_waitcnt lgkmcnt(19)
	ds_load_u16_d16_hi v98, v235 offset:12848
	s_waitcnt lgkmcnt(19)
	ds_load_u16_d16_hi v216, v235 offset:12880
	ds_load_u16_d16_hi v123, v235 offset:12912
	ds_load_u16_d16_hi v149, v235 offset:12720
	ds_load_u16_d16_hi v122, v235 offset:12432
	ds_load_u16_d16_hi v151, v235 offset:13680
	ds_load_u16_d16_hi v124, v235 offset:13392
	ds_load_u16_d16_hi v152, v235 offset:14160
	ds_load_u16_d16_hi v125, v235 offset:13872
	ds_load_u16_d16_hi v153, v235 offset:14640
	ds_load_u16_d16_hi v126, v235 offset:14352
	ds_load_u16_d16_hi v154, v235 offset:15120
	ds_load_u16_d16_hi v127, v235 offset:14832
	ds_load_u16_d16_hi v147, v235 offset:11760
	ds_load_u16_d16_hi v222, v235 offset:11792
	ds_load_u16_d16_hi v155, v235 offset:11824
	ds_load_u16_d16_hi v113, v235 offset:11856
	ds_load_u16 v121, v235 offset:11712
	scratch_load_b32 v96, off, off          ; 4-byte Folded Reload
	ds_load_u16 v117, v232 offset:1920
	s_waitcnt vmcnt(0)
	ds_load_u16 v218, v96 offset:1920
	ds_load_u16 v118, v232 offset:2400
	scratch_load_b32 v96, off, off          ; 4-byte Folded Reload
	s_waitcnt lgkmcnt(7)
	v_wmma_f32_16x16x16_f16 v[56:63], v[147:154], v[16:23], v[56:63]
	v_add_co_u32 v246, vcc_lo, 0x80, v246
	v_add_co_ci_u32_e32 v247, vcc_lo, 0, v247, vcc_lo
	v_add_co_u32 v248, vcc_lo, 0x80, v248
	v_add_co_ci_u32_e32 v249, vcc_lo, 0, v249, vcc_lo
	;; [unrolled: 2-line block ×3, first 2 shown]
	v_add_co_u32 v68, vcc_lo, v68, s68
	s_waitcnt vmcnt(0)
	ds_load_u16 v219, v96 offset:2400
	scratch_load_b32 v96, off, off          ; 4-byte Folded Reload
	s_waitcnt vmcnt(0)
	ds_load_u16 v220, v96 offset:2880
	ds_load_u16_d16_hi v223, v235 offset:12272
	ds_load_u16_d16_hi v226, v235 offset:13712
	;; [unrolled: 1-line block ×3, first 2 shown]
	s_waitcnt lgkmcnt(7)
	ds_load_u16_d16_hi v117, v235 offset:13776
	ds_load_u16_d16_hi v100, v235 offset:13808
	s_waitcnt lgkmcnt(8)
	ds_load_u16_d16_hi v218, v235 offset:13840
	ds_load_u16_d16_hi v156, v235 offset:12304
	;; [unrolled: 1-line block ×7, first 2 shown]
	s_waitcnt lgkmcnt(14)
	ds_load_u16_d16_hi v118, v235 offset:14256
	ds_load_u16_d16_hi v101, v235 offset:14288
	s_waitcnt lgkmcnt(15)
	ds_load_u16_d16_hi v219, v235 offset:14320
	ds_load_u16_d16_hi v119, v235 offset:14736
	;; [unrolled: 1-line block ×3, first 2 shown]
	s_waitcnt lgkmcnt(17)
	ds_load_u16_d16_hi v220, v235 offset:14800
	ds_load_u16 v103, v167 offset:3360
	ds_load_u16 v96, v235 offset:11648
	ds_load_u16 v214, v235 offset:11680
	s_waitcnt lgkmcnt(2)
	ds_load_u16_d16_hi v103, v235 offset:15248
	ds_load_u16_d16_hi v221, v235 offset:15280
	s_waitcnt lgkmcnt(3)
	ds_load_u16_d16_hi v96, v235 offset:11888
	s_waitcnt lgkmcnt(3)
	ds_load_u16_d16_hi v214, v235 offset:11920
	v_wmma_f32_16x16x16_f16 v[48:55], v[222:229], v[16:23], v[48:55]
	v_wmma_f32_16x16x16_f16 v[40:47], v[155:162], v[16:23], v[40:47]
	;; [unrolled: 1-line block ×4, first 2 shown]
	s_waitcnt lgkmcnt(1)
	v_wmma_f32_16x16x16_f16 v[24:31], v[96:103], v[16:23], v[24:31]
	v_dual_mov_b32 v100, v65 :: v_dual_mov_b32 v65, v252
	s_waitcnt lgkmcnt(0)
	v_wmma_f32_16x16x16_f16 v[8:15], v[214:221], v[16:23], v[8:15]
	v_dual_add_f32 v16, v74, v75 :: v_dual_mov_b32 v97, v69
	v_mov_b32_e32 v101, v250
	s_clause 0x6
	scratch_load_b32 v96, off, off offset:740
	scratch_load_b32 v120, off, off offset:260
	;; [unrolled: 1-line block ×4, first 2 shown]
	scratch_load_b32 v173, off, off
	scratch_load_b128 v[207:210], off, off offset:836
	scratch_load_b128 v[211:214], off, off offset:852
	v_add_f32_e32 v16, v80, v16
	s_clause 0x4
	scratch_load_b32 v23, off, off offset:44
	scratch_load_b32 v22, off, off offset:12
	;; [unrolled: 1-line block ×5, first 2 shown]
	v_add_f32_e32 v16, v82, v16
	scratch_load_b32 v82, off, off offset:368 ; 4-byte Folded Reload
	v_dual_mov_b32 v69, v70 :: v_dual_mov_b32 v70, v71
	v_add_f32_e32 v16, v84, v16
	v_dual_mov_b32 v71, v72 :: v_dual_mov_b32 v72, v73
	s_delay_alu instid0(VALU_DEP_3) | instskip(NEXT) | instid1(VALU_DEP_3)
	v_add_co_ci_u32_e32 v69, vcc_lo, s69, v69, vcc_lo
	v_add_f32_e32 v16, v86, v16
	v_add_co_u32 v70, vcc_lo, v70, s68
	s_delay_alu instid0(VALU_DEP_4) | instskip(NEXT) | instid1(VALU_DEP_3)
	v_add_co_ci_u32_e32 v71, vcc_lo, s69, v71, vcc_lo
	v_add_f32_e32 v16, v88, v16
	v_mov_b32_e32 v73, v64
	v_add_co_u32 v72, vcc_lo, v72, s68
	v_add_co_ci_u32_e32 v97, vcc_lo, s69, v97, vcc_lo
	s_delay_alu instid0(VALU_DEP_4) | instskip(NEXT) | instid1(VALU_DEP_4)
	v_add_f32_e32 v16, v89, v16
	v_add_co_u32 v73, vcc_lo, v73, s68
	v_add_co_ci_u32_e32 v251, vcc_lo, s69, v251, vcc_lo
	s_delay_alu instid0(VALU_DEP_3) | instskip(SKIP_2) | instid1(VALU_DEP_3)
	v_add_f32_e32 v16, v112, v16
	v_add_co_u32 v100, vcc_lo, v100, s68
	v_add_co_ci_u32_e32 v101, vcc_lo, s69, v101, vcc_lo
	v_add_f32_e32 v16, v129, v16
	v_add_co_u32 v240, vcc_lo, v240, s70
	v_add_co_ci_u32_e32 v241, vcc_lo, s71, v241, vcc_lo
	s_delay_alu instid0(VALU_DEP_3) | instskip(NEXT) | instid1(VALU_DEP_1)
	v_add_f32_e32 v16, v130, v16
	v_add_f32_e32 v16, v95, v16
	s_delay_alu instid0(VALU_DEP_1) | instskip(NEXT) | instid1(VALU_DEP_1)
	v_add_f32_e32 v16, v94, v16
	v_add_f32_e32 v16, v93, v16
	s_delay_alu instid0(VALU_DEP_1) | instskip(NEXT) | instid1(VALU_DEP_1)
	;; [unrolled: 3-line block ×4, first 2 shown]
	v_add_f32_e32 v16, v83, v16
	v_add_f32_e32 v16, v81, v16
	scratch_load_b32 v81, off, off offset:264 ; 4-byte Folded Reload
	v_add_f32_e32 v16, v76, v16
	scratch_load_b32 v76, off, off offset:140 ; 4-byte Folded Reload
	v_add_f32_e32 v16, v163, v16
	s_delay_alu instid0(VALU_DEP_1) | instskip(NEXT) | instid1(VALU_DEP_1)
	v_add_f32_e32 v16, v164, v16
	v_add_f32_e32 v16, v165, v16
	s_clause 0x2
	scratch_load_b128 v[160:163], off, off offset:804
	scratch_load_b128 v[164:167], off, off offset:820
	scratch_load_b32 v17, off, off offset:400
	v_add_f32_e32 v16, v104, v16
	s_delay_alu instid0(VALU_DEP_1) | instskip(NEXT) | instid1(VALU_DEP_1)
	v_add_f32_e32 v16, v105, v16
	v_add_f32_e32 v16, v79, v16
	scratch_load_b32 v79, off, off offset:304 ; 4-byte Folded Reload
	v_add_f32_e32 v16, v78, v16
	scratch_load_b32 v78, off, off offset:204 ; 4-byte Folded Reload
	;; [unrolled: 2-line block ×3, first 2 shown]
	v_add_f32_e32 v16, v106, v16
	s_delay_alu instid0(VALU_DEP_1) | instskip(NEXT) | instid1(VALU_DEP_1)
	v_add_f32_e32 v16, v107, v16
	v_add_f32_e32 v20, v108, v16
	s_waitcnt vmcnt(12)
	v_add_co_u32 v22, vcc_lo, v22, s70
	s_waitcnt vmcnt(10)
	v_add_co_ci_u32_e32 v74, vcc_lo, s71, v74, vcc_lo
	v_add_co_u32 v75, vcc_lo, v75, s70
	v_add_co_ci_u32_e32 v23, vcc_lo, s71, v23, vcc_lo
	v_add_co_u32 v253, vcc_lo, v253, s70
	v_add_co_ci_u32_e32 v65, vcc_lo, s71, v65, vcc_lo
	s_waitcnt vmcnt(6)
	v_add_co_u32 v76, vcc_lo, v76, s70
	s_waitcnt vmcnt(3)
	v_fmac_f32_e32 v20, v17, v90
	scratch_load_b32 v90, off, off offset:736 ; 4-byte Folded Reload
	s_waitcnt vmcnt(0)
	s_barrier
	buffer_gl0_inv
	v_add_co_ci_u32_e32 v77, vcc_lo, s71, v77, vcc_lo
	v_add_co_u32 v78, vcc_lo, v78, s70
	v_add_co_ci_u32_e32 v80, vcc_lo, s71, v80, vcc_lo
	v_add_co_u32 v79, vcc_lo, v79, s70
	;; [unrolled: 2-line block ×3, first 2 shown]
	v_add_co_ci_u32_e32 v239, vcc_lo, s69, v239, vcc_lo
	s_cbranch_scc1 .LBB19_395
; %bb.396:                              ;   in Loop: Header=BB19_15 Depth=1
	s_clause 0x9
	scratch_load_b32 v245, off, off offset:1212
	scratch_load_b64 v[236:237], off, off offset:912
	scratch_load_b32 v219, off, off offset:1216
	scratch_load_b32 v220, off, off offset:1220
	;; [unrolled: 1-line block ×4, first 2 shown]
	scratch_load_b64 v[16:17], off, off offset:920
	scratch_load_b32 v243, off, off offset:1164
	scratch_load_b32 v253, off, off offset:300
	;; [unrolled: 1-line block ×3, first 2 shown]
	v_mov_b32_e32 v144, v234
	s_clause 0x1f
	scratch_load_b32 v234, off, off offset:800
	scratch_load_b32 v250, off, off offset:796
	;; [unrolled: 1-line block ×9, first 2 shown]
	scratch_load_b64 v[178:179], off, off offset:464
	scratch_load_b64 v[182:183], off, off offset:472
	;; [unrolled: 1-line block ×14, first 2 shown]
	scratch_load_b32 v175, off, off offset:576
	scratch_load_b32 v180, off, off offset:580
	;; [unrolled: 1-line block ×4, first 2 shown]
	scratch_load_b128 v[147:150], off, off offset:744
	scratch_load_b128 v[151:154], off, off offset:760
	scratch_load_b64 v[22:23], off, off offset:1292
	scratch_load_b64 v[82:83], off, off offset:1300
	;; [unrolled: 1-line block ×3, first 2 shown]
	scratch_load_b64 v[16:17], off, off offset:1316 ; 8-byte Folded Reload
	v_mov_b32_e32 v145, 32
	s_waitcnt vmcnt(42)
	v_add_nc_u32_e32 v217, 24, v245
	v_add_nc_u32_e32 v216, 36, v245
	;; [unrolled: 1-line block ×5, first 2 shown]
	v_and_b32_e32 v240, 15, v245
	v_add_nc_u32_e32 v241, 32, v245
	v_add_nc_u32_e32 v242, 12, v245
	;; [unrolled: 1-line block ×3, first 2 shown]
.LBB19_397:                             ;   in Loop: Header=BB19_15 Depth=1
	scratch_load_b32 v18, off, off offset:944 ; 4-byte Folded Reload
	s_lshl_b32 s64, s77, 6
	s_waitcnt vmcnt(1)
	v_lshlrev_b64 v[16:17], 1, v[16:17]
	s_lshl_b64 s[2:3], s[64:65], 1
	v_dual_mov_b32 v243, v230 :: v_dual_mov_b32 v230, v20
	s_add_u32 s1, s99, s2
	s_addc_u32 s2, s100, s3
	v_lshlrev_b64 v[20:21], 1, v[82:83]
	v_lshlrev_b64 v[22:23], 1, v[22:23]
	v_mov_b32_e32 v246, v242
	s_mul_hi_u32 s3, s12, s64
	v_dual_mov_b32 v236, v221 :: v_dual_mov_b32 v229, v220
	v_dual_mov_b32 v227, v244 :: v_dual_mov_b32 v224, v219
	v_mov_b32_e32 v248, v241
	v_mov_b32_e32 v226, v239
	v_dual_mov_b32 v244, v218 :: v_dual_mov_b32 v241, v217
	v_mov_b32_e32 v239, v216
	v_readlane_b32 s55, v255, 0
	s_waitcnt vmcnt(0)
	v_lshlrev_b32_e32 v18, 1, v18
	s_delay_alu instid0(VALU_DEP_1) | instskip(NEXT) | instid1(VALU_DEP_1)
	v_add_co_u32 v64, s1, s1, v18
	v_add_co_ci_u32_e64 v65, null, s2, 0, s1
	v_lshlrev_b64 v[18:19], 1, v[84:85]
	s_delay_alu instid0(VALU_DEP_3) | instskip(NEXT) | instid1(VALU_DEP_3)
	v_add_co_u32 v16, vcc_lo, v64, v16
	v_add_co_ci_u32_e32 v17, vcc_lo, v65, v17, vcc_lo
	s_mul_i32 s1, s13, s64
	s_delay_alu instid0(VALU_DEP_3) | instskip(NEXT) | instid1(VALU_DEP_4)
	v_add_co_u32 v18, vcc_lo, v64, v18
	v_add_co_ci_u32_e32 v19, vcc_lo, v65, v19, vcc_lo
	v_add_co_u32 v20, vcc_lo, v64, v20
	v_add_co_ci_u32_e32 v21, vcc_lo, v65, v21, vcc_lo
	;; [unrolled: 2-line block ×3, first 2 shown]
	s_clause 0x3
	global_load_b32 v16, v[16:17], off
	global_load_b32 v17, v[18:19], off
	;; [unrolled: 1-line block ×4, first 2 shown]
	v_add_nc_u32_e32 v20, v120, v81
	v_mov_b32_e32 v242, v240
	s_mul_i32 s2, s12, s64
	s_add_i32 s3, s3, s1
	s_delay_alu instid0(VALU_DEP_2) | instskip(SKIP_1) | instid1(SALU_CYCLE_1)
	v_dual_mov_b32 v240, v238 :: v_dual_add_nc_u32 v21, 0x3c00, v20
	s_lshl_b64 s[2:3], s[2:3], 2
	s_add_u32 s1, s97, s2
	s_addc_u32 s2, s98, s3
	s_mul_hi_u32 s3, s10, s64
	s_waitcnt vmcnt(2)
	ds_store_2addr_b32 v21, v16, v17 offset1:144
	v_add_nc_u32_e32 v16, 0x4000, v20
	s_waitcnt vmcnt(0)
	ds_store_2addr_b32 v16, v18, v19 offset0:32 offset1:176
	v_add_co_u32 v16, vcc_lo, s1, v66
	v_add_co_ci_u32_e32 v17, vcc_lo, s2, v67, vcc_lo
	s_delay_alu instid0(VALU_DEP_2) | instskip(NEXT) | instid1(VALU_DEP_2)
	v_add_co_u32 v16, vcc_lo, v16, v175
	v_add_co_ci_u32_e32 v17, vcc_lo, 0, v17, vcc_lo
	v_add_co_u32 v18, vcc_lo, s1, v68
	v_add_co_ci_u32_e32 v19, vcc_lo, s2, v69, vcc_lo
	s_delay_alu instid0(VALU_DEP_2) | instskip(NEXT) | instid1(VALU_DEP_2)
	v_add_co_u32 v20, vcc_lo, v18, v180
	v_add_co_ci_u32_e32 v21, vcc_lo, 0, v19, vcc_lo
	s_clause 0x1
	global_load_b128 v[16:19], v[16:17], off offset:192
	global_load_b128 v[20:23], v[20:21], off offset:128
	scratch_load_b32 v102, off, off offset:296 ; 4-byte Folded Reload
	s_waitcnt vmcnt(0)
	ds_store_b128 v102, v[16:19]
	v_add_co_u32 v16, vcc_lo, s1, v70
	v_add_co_ci_u32_e32 v17, vcc_lo, s2, v71, vcc_lo
	s_delay_alu instid0(VALU_DEP_2) | instskip(NEXT) | instid1(VALU_DEP_2)
	v_add_co_u32 v16, vcc_lo, v16, v180
	v_add_co_ci_u32_e32 v17, vcc_lo, 0, v17, vcc_lo
	v_add_co_u32 v18, vcc_lo, s1, v72
	v_add_co_ci_u32_e32 v19, vcc_lo, s2, v73, vcc_lo
	s_delay_alu instid0(VALU_DEP_2) | instskip(NEXT) | instid1(VALU_DEP_2)
	v_add_co_u32 v64, vcc_lo, v18, v194
	v_add_co_ci_u32_e32 v65, vcc_lo, 0, v19, vcc_lo
	s_clause 0x1
	global_load_b128 v[16:19], v[16:17], off offset:128
	global_load_b128 v[64:67], v[64:65], off
	ds_store_b128 v168, v[20:23]
	s_waitcnt vmcnt(1)
	ds_store_b128 v169, v[16:19]
	v_add_co_u32 v16, vcc_lo, s1, v74
	v_add_co_ci_u32_e32 v17, vcc_lo, s2, v75, vcc_lo
	s_delay_alu instid0(VALU_DEP_2) | instskip(NEXT) | instid1(VALU_DEP_2)
	v_add_co_u32 v16, vcc_lo, v16, v194
	v_add_co_ci_u32_e32 v17, vcc_lo, 0, v17, vcc_lo
	v_add_co_u32 v18, vcc_lo, s1, v76
	v_add_co_ci_u32_e32 v19, vcc_lo, s2, v77, vcc_lo
	s_delay_alu instid0(VALU_DEP_2) | instskip(NEXT) | instid1(VALU_DEP_2)
	v_add_co_u32 v20, vcc_lo, v18, v194
	v_add_co_ci_u32_e32 v21, vcc_lo, 0, v19, vcc_lo
	s_clause 0x1
	global_load_b128 v[16:19], v[16:17], off
	global_load_b128 v[20:23], v[20:21], off
	s_waitcnt vmcnt(2)
	ds_store_b128 v172, v[64:67]
	s_waitcnt vmcnt(1)
	ds_store_b128 v174, v[16:19]
	v_add_co_u32 v16, vcc_lo, s1, v78
	v_add_co_ci_u32_e32 v17, vcc_lo, s2, v79, vcc_lo
	s_mul_i32 s1, s11, s64
	s_delay_alu instid0(VALU_DEP_2) | instskip(NEXT) | instid1(VALU_DEP_2)
	v_add_co_u32 v16, vcc_lo, v16, v194
	v_add_co_ci_u32_e32 v17, vcc_lo, 0, v17, vcc_lo
	v_cmp_lt_i32_e32 vcc_lo, v104, v145
	s_mul_i32 s2, s10, s64
	s_add_i32 s3, s3, s1
	global_load_b128 v[16:19], v[16:17], off
	s_lshl_b64 s[2:3], s[2:3], 2
	s_waitcnt vmcnt(1)
	ds_store_b128 v196, v[20:23]
	s_waitcnt vmcnt(0)
	ds_store_b128 v197, v[16:19]
	s_waitcnt lgkmcnt(0)
	s_waitcnt_vscnt null, 0x0
	s_barrier
	buffer_gl0_inv
	ds_load_b128 v[112:115], v233
	ds_load_b128 v[116:119], v233 offset:16
	ds_load_b128 v[120:123], v233 offset:3840
	ds_load_b128 v[124:127], v233 offset:3856
	ds_load_b128 v[128:131], v233 offset:7680
	ds_load_b128 v[132:135], v233 offset:7696
	ds_load_b128 v[136:139], v233 offset:11520
	ds_load_b128 v[140:143], v233 offset:11536
	s_clause 0x1
	scratch_load_b128 v[215:218], off, off offset:652
	scratch_load_b128 v[219:222], off, off offset:668
	v_dual_mov_b32 v16, s36 :: v_dual_mov_b32 v17, s37
	v_dual_mov_b32 v18, s38 :: v_dual_mov_b32 v19, s39
	;; [unrolled: 1-line block ×4, first 2 shown]
	s_add_u32 s1, s95, s2
	s_addc_u32 s2, s96, s3
	v_cmp_eq_u32_e64 s3, 1, v253
	s_cmp_eq_u64 s[72:73], 0
	s_waitcnt vmcnt(0) lgkmcnt(6)
	v_wmma_f32_16x16x16_f16 v[70:77], v[112:119], v[215:222], v[16:23]
	s_waitcnt lgkmcnt(4)
	v_wmma_f32_16x16x16_f16 v[78:85], v[120:127], v[215:222], v[16:23]
	s_waitcnt lgkmcnt(2)
	;; [unrolled: 2-line block ×3, first 2 shown]
	v_wmma_f32_16x16x16_f16 v[94:101], v[136:143], v[215:222], v[16:23]
	ds_load_b128 v[16:19], v233 offset:32
	ds_load_b128 v[20:23], v233 offset:48
	s_clause 0x1
	scratch_load_b128 v[105:108], off, off offset:620
	scratch_load_b128 v[109:112], off, off offset:636
	s_waitcnt vmcnt(0) lgkmcnt(0)
	v_wmma_f32_16x16x16_f16 v[70:77], v[16:23], v[105:112], v[70:77]
	ds_load_b128 v[16:19], v233 offset:3872
	ds_load_b128 v[20:23], v233 offset:3888
	s_waitcnt lgkmcnt(0)
	v_wmma_f32_16x16x16_f16 v[78:85], v[16:23], v[105:112], v[78:85]
	ds_load_b128 v[16:19], v233 offset:7712
	ds_load_b128 v[20:23], v233 offset:7728
	s_waitcnt lgkmcnt(0)
	v_wmma_f32_16x16x16_f16 v[86:93], v[16:23], v[105:112], v[86:93]
	ds_load_b128 v[16:19], v233 offset:11552
	ds_load_b128 v[20:23], v233 offset:11568
	s_waitcnt lgkmcnt(0)
	v_wmma_f32_16x16x16_f16 v[94:101], v[16:23], v[105:112], v[94:101]
	ds_load_b128 v[16:19], v233 offset:64
	ds_load_b128 v[20:23], v233 offset:80
	s_clause 0x1
	scratch_load_b128 v[105:108], off, off offset:588
	scratch_load_b128 v[109:112], off, off offset:604
	s_waitcnt vmcnt(0) lgkmcnt(0)
	v_wmma_f32_16x16x16_f16 v[70:77], v[16:23], v[105:112], v[70:77]
	ds_load_b128 v[16:19], v233 offset:3904
	ds_load_b128 v[20:23], v233 offset:3920
	s_waitcnt lgkmcnt(0)
	v_wmma_f32_16x16x16_f16 v[78:85], v[16:23], v[105:112], v[78:85]
	ds_load_b128 v[16:19], v233 offset:7744
	ds_load_b128 v[20:23], v233 offset:7760
	s_waitcnt lgkmcnt(0)
	;; [unrolled: 4-line block ×19, first 2 shown]
	s_barrier
	buffer_gl0_inv
	v_wmma_f32_16x16x16_f16 v[94:101], v[16:23], v[160:167], v[94:101]
	s_clause 0x1
	scratch_load_b32 v16, off, off offset:976
	scratch_load_b32 v17, off, off offset:980
	s_waitcnt vmcnt(0)
	v_add_nc_u32_e32 v16, v17, v16
	ds_load_u16 v17, v16 offset:15360
	ds_load_u16 v18, v16 offset:15364
	;; [unrolled: 1-line block ×8, first 2 shown]
	s_waitcnt lgkmcnt(7)
	v_cvt_f32_f16_e32 v17, v17
	s_waitcnt lgkmcnt(6)
	v_cvt_f32_f16_e32 v18, v18
	;; [unrolled: 2-line block ×7, first 2 shown]
	v_dual_add_f32 v70, v70, v17 :: v_dual_add_f32 v71, v71, v18
	v_dual_add_f32 v69, v72, v19 :: v_dual_add_f32 v68, v73, v20
	v_dual_add_f32 v67, v74, v21 :: v_dual_add_f32 v66, v75, v22
	s_delay_alu instid0(VALU_DEP_4)
	v_add_f32_e32 v65, v76, v23
	ds_load_u16 v17, v16 offset:15392
	ds_load_u16 v18, v16 offset:15396
	;; [unrolled: 1-line block ×8, first 2 shown]
	s_waitcnt lgkmcnt(8)
	v_cvt_f32_f16_e32 v64, v64
	s_waitcnt lgkmcnt(7)
	v_cvt_f32_f16_e32 v17, v17
	;; [unrolled: 2-line block ×9, first 2 shown]
	v_add_f32_e32 v128, v78, v17
	v_dual_add_f32 v132, v79, v18 :: v_dual_add_f32 v127, v80, v19
	v_dual_add_f32 v126, v81, v20 :: v_dual_add_f32 v125, v82, v21
	;; [unrolled: 1-line block ×3, first 2 shown]
	v_add_f32_e32 v122, v85, v72
	ds_load_u16 v17, v16 offset:15424
	ds_load_u16 v18, v16 offset:15428
	;; [unrolled: 1-line block ×8, first 2 shown]
	v_mov_b32_e32 v84, v103
	s_waitcnt lgkmcnt(7)
	v_cvt_f32_f16_e32 v17, v17
	s_waitcnt lgkmcnt(6)
	v_cvt_f32_f16_e32 v18, v18
	;; [unrolled: 2-line block ×7, first 2 shown]
	v_add_f32_e32 v64, v77, v64
	v_dual_add_f32 v176, v86, v17 :: v_dual_add_f32 v177, v87, v18
	v_add_f32_e32 v173, v88, v19
	v_dual_add_f32 v171, v89, v20 :: v_dual_add_f32 v170, v90, v21
	v_dual_add_f32 v167, v91, v22 :: v_dual_add_f32 v154, v92, v23
	ds_load_u16 v17, v16 offset:15456
	ds_load_u16 v18, v16 offset:15460
	;; [unrolled: 1-line block ×8, first 2 shown]
	s_waitcnt lgkmcnt(8)
	v_cvt_f32_f16_e32 v72, v72
	s_delay_alu instid0(VALU_DEP_1)
	v_add_f32_e32 v153, v93, v72
	s_waitcnt lgkmcnt(7)
	v_cvt_f32_f16_e32 v17, v17
	s_waitcnt lgkmcnt(6)
	v_cvt_f32_f16_e32 v18, v18
	;; [unrolled: 2-line block ×5, first 2 shown]
	v_add_f32_e32 v165, v94, v17
	v_add_f32_e32 v17, 0x40051340, v71
	s_waitcnt lgkmcnt(0)
	v_cvt_f32_f16_e32 v16, v16
	v_add_f32_e32 v166, v95, v18
	v_add_f32_e32 v18, 0x40051340, v68
	v_cvt_f32_f16_e32 v22, v22
	s_delay_alu instid0(VALU_DEP_4) | instskip(SKIP_2) | instid1(VALU_DEP_4)
	v_dual_add_f32 v164, v96, v19 :: v_dual_add_f32 v155, v101, v16
	v_add_f32_e32 v16, 0x40051340, v70
	v_cvt_f32_f16_e32 v23, v23
	v_dual_add_f32 v158, v98, v21 :: v_dual_add_f32 v157, v99, v22
	v_add_f32_e32 v159, v97, v20
	s_delay_alu instid0(VALU_DEP_4) | instskip(NEXT) | instid1(VALU_DEP_4)
	v_max3_f32 v16, v231, v16, v17
	v_dual_add_f32 v17, 0x40051340, v69 :: v_dual_add_f32 v156, v100, v23
	s_delay_alu instid0(VALU_DEP_1) | instskip(SKIP_1) | instid1(VALU_DEP_1)
	v_max3_f32 v16, v16, v17, v18
	v_dual_add_f32 v17, 0x40051340, v67 :: v_dual_add_f32 v18, 0x40051340, v66
	v_max3_f32 v16, v16, v17, v18
	v_dual_add_f32 v17, 0x40051340, v65 :: v_dual_add_f32 v18, 0x40051340, v64
	s_delay_alu instid0(VALU_DEP_1) | instskip(SKIP_2) | instid1(VALU_DEP_1)
	v_max3_f32 v16, v16, v17, v18
	v_add_f32_e32 v17, 0x40051340, v128
	v_add_f32_e32 v18, 0x40051340, v132
	v_max3_f32 v16, v16, v17, v18
	v_dual_add_f32 v17, 0x40051340, v127 :: v_dual_add_f32 v18, 0x40051340, v126
	s_delay_alu instid0(VALU_DEP_1) | instskip(SKIP_1) | instid1(VALU_DEP_1)
	v_max3_f32 v16, v16, v17, v18
	v_dual_add_f32 v17, 0x40051340, v125 :: v_dual_add_f32 v18, 0x40051340, v124
	v_max3_f32 v16, v16, v17, v18
	v_dual_add_f32 v17, 0x40051340, v123 :: v_dual_add_f32 v18, 0x40051340, v122
	s_delay_alu instid0(VALU_DEP_1) | instskip(SKIP_1) | instid1(VALU_DEP_1)
	v_max3_f32 v16, v16, v17, v18
	v_dual_add_f32 v17, 0x40051340, v176 :: v_dual_add_f32 v18, 0x40051340, v177
	;; [unrolled: 5-line block ×5, first 2 shown]
	v_max3_f32 v16, v16, v17, v18
	v_dual_add_f32 v17, 0x40051340, v156 :: v_dual_add_f32 v18, 0x40051340, v155
	s_delay_alu instid0(VALU_DEP_1) | instskip(SKIP_3) | instid1(VALU_DEP_1)
	v_max3_f32 v16, v16, v17, v18
	scratch_load_b32 v17, off, off offset:904 ; 4-byte Folded Reload
	s_waitcnt vmcnt(0)
	v_cndmask_b32_e32 v17, v17, v104, vcc_lo
	v_lshlrev_b32_e32 v162, 2, v17
	ds_bpermute_b32 v17, v162, v16
	s_waitcnt lgkmcnt(0)
	v_max_f32_e32 v17, v17, v17
	s_delay_alu instid0(VALU_DEP_1) | instskip(NEXT) | instid1(VALU_DEP_1)
	v_max_f32_e32 v161, v16, v17
	v_sub_f32_e32 v16, v231, v161
	v_dual_sub_f32 v64, v64, v161 :: v_dual_mov_b32 v231, v102
	s_delay_alu instid0(VALU_DEP_2) | instskip(NEXT) | instid1(VALU_DEP_1)
	v_mul_f32_e32 v17, 0x3fb8aa3b, v16
	v_fma_f32 v18, 0x3fb8aa3b, v16, -v17
	v_rndne_f32_e32 v19, v17
	s_delay_alu instid0(VALU_DEP_1) | instskip(NEXT) | instid1(VALU_DEP_1)
	v_dual_fmac_f32 v18, 0x32a5705f, v16 :: v_dual_sub_f32 v17, v17, v19
	v_add_f32_e32 v17, v17, v18
	v_cvt_i32_f32_e32 v18, v19
	v_cmp_ngt_f32_e32 vcc_lo, 0xc2ce8ed0, v16
	s_delay_alu instid0(VALU_DEP_3) | instskip(SKIP_2) | instid1(VALU_DEP_1)
	v_exp_f32_e32 v17, v17
	s_waitcnt_depctr 0xfff
	v_ldexp_f32 v17, v17, v18
	v_cndmask_b32_e32 v17, 0, v17, vcc_lo
	v_cmp_nlt_f32_e32 vcc_lo, 0x42b17218, v16
	s_delay_alu instid0(VALU_DEP_2) | instskip(SKIP_1) | instid1(VALU_DEP_2)
	v_cndmask_b32_e32 v17, 0x7f800000, v17, vcc_lo
	v_cmp_le_f32_e32 vcc_lo, 0xc1a00000, v16
	v_cndmask_b32_e32 v163, 0, v17, vcc_lo
	s_delay_alu instid0(VALU_DEP_1) | instskip(SKIP_4) | instid1(VALU_DEP_3)
	v_mul_f32_e32 v56, v56, v163
	v_mul_f32_e32 v16, v24, v163
	v_add_co_u32 v24, vcc_lo, s1, v178
	v_mul_f32_e32 v17, v25, v163
	v_add_co_ci_u32_e32 v25, vcc_lo, s2, v179, vcc_lo
	v_add_co_u32 v24, vcc_lo, v24, v175
	v_mul_f32_e32 v18, v26, v163
	s_delay_alu instid0(VALU_DEP_3) | instskip(SKIP_4) | instid1(VALU_DEP_3)
	v_add_co_ci_u32_e32 v25, vcc_lo, 0, v25, vcc_lo
	v_mul_f32_e32 v19, v27, v163
	v_add_co_u32 v26, vcc_lo, s1, v182
	v_add_co_ci_u32_e32 v27, vcc_lo, s2, v183, vcc_lo
	v_mul_f32_e32 v20, v28, v163
	v_add_co_u32 v28, vcc_lo, v26, v180
	v_mul_f32_e32 v21, v29, v163
	s_delay_alu instid0(VALU_DEP_4)
	v_add_co_ci_u32_e32 v29, vcc_lo, 0, v27, vcc_lo
	v_mul_f32_e32 v22, v30, v163
	v_mul_f32_e32 v23, v31, v163
	s_clause 0x1
	global_load_b128 v[24:27], v[24:25], off offset:192
	global_load_b128 v[28:31], v[28:29], off offset:128
	v_mul_f32_e32 v61, v61, v163
	v_mul_f32_e32 v63, v63, v163
	;; [unrolled: 1-line block ×22, first 2 shown]
	s_waitcnt vmcnt(1)
	ds_store_b128 v102, v[24:27]
	v_add_co_u32 v24, vcc_lo, s1, v184
	v_add_co_ci_u32_e32 v25, vcc_lo, s2, v185, vcc_lo
	s_delay_alu instid0(VALU_DEP_2) | instskip(NEXT) | instid1(VALU_DEP_2)
	v_add_co_u32 v24, vcc_lo, v24, v180
	v_add_co_ci_u32_e32 v25, vcc_lo, 0, v25, vcc_lo
	v_add_co_u32 v26, vcc_lo, s1, v186
	v_add_co_ci_u32_e32 v27, vcc_lo, s2, v187, vcc_lo
	s_delay_alu instid0(VALU_DEP_2) | instskip(NEXT) | instid1(VALU_DEP_2)
	v_add_co_u32 v72, vcc_lo, v26, v194
	v_add_co_ci_u32_e32 v73, vcc_lo, 0, v27, vcc_lo
	s_clause 0x1
	global_load_b128 v[24:27], v[24:25], off offset:128
	global_load_b128 v[72:75], v[72:73], off
	s_waitcnt vmcnt(2)
	ds_store_b128 v168, v[28:31]
	s_waitcnt vmcnt(1)
	ds_store_b128 v169, v[24:27]
	v_add_co_u32 v24, vcc_lo, s1, v188
	v_add_co_ci_u32_e32 v25, vcc_lo, s2, v189, vcc_lo
	s_delay_alu instid0(VALU_DEP_2) | instskip(NEXT) | instid1(VALU_DEP_2)
	v_add_co_u32 v24, vcc_lo, v24, v194
	v_add_co_ci_u32_e32 v25, vcc_lo, 0, v25, vcc_lo
	v_add_co_u32 v26, vcc_lo, s1, v190
	v_add_co_ci_u32_e32 v27, vcc_lo, s2, v191, vcc_lo
	s_delay_alu instid0(VALU_DEP_2) | instskip(NEXT) | instid1(VALU_DEP_2)
	v_add_co_u32 v28, vcc_lo, v26, v194
	v_add_co_ci_u32_e32 v29, vcc_lo, 0, v27, vcc_lo
	s_clause 0x1
	global_load_b128 v[24:27], v[24:25], off
	global_load_b128 v[28:31], v[28:29], off
	s_waitcnt vmcnt(2)
	ds_store_b128 v172, v[72:75]
	s_waitcnt vmcnt(1)
	ds_store_b128 v174, v[24:27]
	v_add_co_u32 v24, vcc_lo, s1, v192
	v_add_co_ci_u32_e32 v25, vcc_lo, s2, v193, vcc_lo
	v_cmp_eq_u32_e64 s2, 0, v253
	s_delay_alu instid0(VALU_DEP_3) | instskip(NEXT) | instid1(VALU_DEP_3)
	v_add_co_u32 v24, vcc_lo, v24, v194
	v_add_co_ci_u32_e32 v25, vcc_lo, 0, v25, vcc_lo
	global_load_b128 v[24:27], v[24:25], off
	s_waitcnt vmcnt(1)
	ds_store_b128 v196, v[28:31]
	s_waitcnt vmcnt(0)
	ds_store_b128 v197, v[24:27]
	v_sub_f32_e32 v24, v71, v161
	v_mul_f32_e32 v58, v58, v163
	s_waitcnt lgkmcnt(0)
	s_barrier
	buffer_gl0_inv
	v_mul_f32_e32 v25, 0x3fb8aa3b, v24
	v_cmp_ngt_f32_e32 vcc_lo, 0xc2ce8ed0, v24
	s_delay_alu instid0(VALU_DEP_2) | instskip(SKIP_1) | instid1(VALU_DEP_2)
	v_fma_f32 v26, 0x3fb8aa3b, v24, -v25
	v_rndne_f32_e32 v27, v25
	v_dual_mul_f32 v59, v59, v163 :: v_dual_fmac_f32 v26, 0x32a5705f, v24
	s_delay_alu instid0(VALU_DEP_2) | instskip(SKIP_2) | instid1(VALU_DEP_3)
	v_sub_f32_e32 v25, v25, v27
	v_mul_f32_e32 v60, v60, v163
	v_cvt_i32_f32_e32 v27, v27
	v_dual_add_f32 v25, v25, v26 :: v_dual_sub_f32 v26, v70, v161
	v_mul_f32_e32 v49, v49, v163
	s_delay_alu instid0(VALU_DEP_2) | instskip(NEXT) | instid1(VALU_DEP_2)
	v_exp_f32_e32 v25, v25
	v_mul_f32_e32 v28, 0x3fb8aa3b, v26
	v_cmp_ngt_f32_e64 s1, 0xc2ce8ed0, v26
	s_delay_alu instid0(VALU_DEP_2) | instskip(SKIP_3) | instid1(TRANS32_DEP_1)
	v_fma_f32 v29, 0x3fb8aa3b, v26, -v28
	v_rndne_f32_e32 v30, v28
	v_mul_f32_e32 v62, v62, v163
	v_mul_f32_e32 v51, v51, v163
	v_ldexp_f32 v25, v25, v27
	v_fmac_f32_e32 v29, 0x32a5705f, v26
	v_dual_sub_f32 v28, v28, v30 :: v_dual_mul_f32 v53, v53, v163
	s_delay_alu instid0(VALU_DEP_3) | instskip(SKIP_1) | instid1(VALU_DEP_3)
	v_dual_mul_f32 v48, v48, v163 :: v_dual_cndmask_b32 v25, 0, v25
	v_cmp_nlt_f32_e32 vcc_lo, 0x42b17218, v24
	v_add_f32_e32 v28, v28, v29
	s_delay_alu instid0(VALU_DEP_3) | instskip(NEXT) | instid1(VALU_DEP_2)
	v_dual_mul_f32 v50, v50, v163 :: v_dual_cndmask_b32 v169, 0x7f800000, v25
	v_exp_f32_e32 v27, v28
	v_cvt_i32_f32_e32 v28, v30
	v_cmp_eq_u32_e32 vcc_lo, 1, v195
	v_mul_f32_e32 v2, v2, v163
	s_waitcnt_depctr 0xfff
	v_ldexp_f32 v27, v27, v28
	s_delay_alu instid0(VALU_DEP_1)
	v_cndmask_b32_e64 v24, 0, v27, s1
	v_cmp_nlt_f32_e64 s1, 0x42b17218, v26
	ds_bpermute_b32 v26, v162, v169
	v_cndmask_b32_e64 v168, 0x7f800000, v24, s1
	v_cmp_eq_u32_e64 s1, 0, v195
	ds_bpermute_b32 v24, v162, v168
	v_mul_f32_e32 v55, v55, v163
	s_waitcnt lgkmcnt(0)
	v_cndmask_b32_e64 v25, v168, v24, s1
	v_cndmask_b32_e32 v24, v168, v24, vcc_lo
	s_delay_alu instid0(VALU_DEP_2) | instskip(NEXT) | instid1(VALU_DEP_2)
	v_cndmask_b32_e64 v27, v25, v169, s2
	v_cndmask_b32_e64 v28, v24, v169, s3
	v_mul_f32_e32 v41, v41, v163
	v_cvt_f16_f32_e32 v25, v25
	v_cvt_f16_f32_e32 v24, v24
	v_cndmask_b32_e64 v27, v27, v26, s1
	v_cndmask_b32_e32 v26, v28, v26, vcc_lo
	s_delay_alu instid0(VALU_DEP_3) | instskip(NEXT) | instid1(VALU_DEP_3)
	v_pack_b32_f16 v24, v25, v24
	v_cvt_f16_f32_e32 v28, v27
	s_delay_alu instid0(VALU_DEP_3) | instskip(NEXT) | instid1(VALU_DEP_1)
	v_cvt_f16_f32_e32 v29, v26
	v_pack_b32_f16 v25, v28, v29
	v_sub_f32_e32 v28, v69, v161
	s_delay_alu instid0(VALU_DEP_1) | instskip(SKIP_1) | instid1(VALU_DEP_2)
	v_dual_mul_f32 v52, v52, v163 :: v_dual_mul_f32 v29, 0x3fb8aa3b, v28
	v_cmp_ngt_f32_e64 s4, 0xc2ce8ed0, v28
	v_fma_f32 v30, 0x3fb8aa3b, v28, -v29
	v_rndne_f32_e32 v31, v29
	s_delay_alu instid0(VALU_DEP_2) | instskip(NEXT) | instid1(VALU_DEP_2)
	v_dual_mul_f32 v45, v45, v163 :: v_dual_fmac_f32 v30, 0x32a5705f, v28
	v_sub_f32_e32 v29, v29, v31
	s_delay_alu instid0(VALU_DEP_1) | instskip(SKIP_1) | instid1(VALU_DEP_2)
	v_dual_mul_f32 v54, v54, v163 :: v_dual_add_f32 v29, v29, v30
	v_cvt_i32_f32_e32 v30, v31
	v_exp_f32_e32 v29, v29
	s_waitcnt_depctr 0xfff
	v_ldexp_f32 v29, v29, v30
	s_delay_alu instid0(VALU_DEP_1) | instskip(SKIP_1) | instid1(VALU_DEP_1)
	v_cndmask_b32_e64 v29, 0, v29, s4
	v_cmp_nlt_f32_e64 s4, 0x42b17218, v28
	v_cndmask_b32_e64 v172, 0x7f800000, v29, s4
	ds_bpermute_b32 v28, v162, v172
	v_cndmask_b32_e64 v27, v27, v172, s2
	v_cndmask_b32_e64 v26, v26, v172, s3
	v_mul_f32_e32 v47, v47, v163
	s_waitcnt lgkmcnt(0)
	s_delay_alu instid0(VALU_DEP_3) | instskip(NEXT) | instid1(VALU_DEP_3)
	v_cndmask_b32_e64 v27, v27, v28, s1
	v_cndmask_b32_e32 v28, v26, v28, vcc_lo
	s_delay_alu instid0(VALU_DEP_2) | instskip(NEXT) | instid1(VALU_DEP_2)
	v_cvt_f16_f32_e32 v26, v27
	v_cvt_f16_f32_e32 v29, v28
	s_delay_alu instid0(VALU_DEP_1) | instskip(SKIP_1) | instid1(VALU_DEP_1)
	v_pack_b32_f16 v26, v26, v29
	v_sub_f32_e32 v29, v68, v161
	v_dual_mul_f32 v33, v33, v163 :: v_dual_mul_f32 v30, 0x3fb8aa3b, v29
	v_cmp_ngt_f32_e64 s4, 0xc2ce8ed0, v29
	s_delay_alu instid0(VALU_DEP_2) | instskip(SKIP_3) | instid1(VALU_DEP_3)
	v_fma_f32 v31, 0x3fb8aa3b, v29, -v30
	v_rndne_f32_e32 v68, v30
	v_mul_f32_e32 v40, v40, v163
	v_mul_f32_e32 v35, v35, v163
	v_dual_fmac_f32 v31, 0x32a5705f, v29 :: v_dual_sub_f32 v30, v30, v68
	s_delay_alu instid0(VALU_DEP_1) | instskip(SKIP_1) | instid1(VALU_DEP_2)
	v_add_f32_e32 v30, v30, v31
	v_cvt_i32_f32_e32 v31, v68
	v_exp_f32_e32 v30, v30
	s_waitcnt_depctr 0xfff
	v_ldexp_f32 v30, v30, v31
	s_delay_alu instid0(VALU_DEP_1) | instskip(SKIP_1) | instid1(VALU_DEP_1)
	v_cndmask_b32_e64 v30, 0, v30, s4
	v_cmp_nlt_f32_e64 s4, 0x42b17218, v29
	v_cndmask_b32_e64 v174, 0x7f800000, v30, s4
	ds_bpermute_b32 v29, v162, v174
	v_cndmask_b32_e64 v27, v27, v174, s2
	v_cndmask_b32_e64 v28, v28, v174, s3
	s_waitcnt lgkmcnt(0)
	s_delay_alu instid0(VALU_DEP_1) | instskip(NEXT) | instid1(VALU_DEP_3)
	v_dual_mul_f32 v37, v37, v163 :: v_dual_cndmask_b32 v28, v28, v29
	v_cndmask_b32_e64 v30, v27, v29, s1
	s_delay_alu instid0(VALU_DEP_2) | instskip(NEXT) | instid1(VALU_DEP_2)
	v_cvt_f16_f32_e32 v29, v28
	v_cvt_f16_f32_e32 v27, v30
	s_delay_alu instid0(VALU_DEP_1) | instskip(SKIP_1) | instid1(VALU_DEP_1)
	v_pack_b32_f16 v27, v27, v29
	v_dual_sub_f32 v29, v67, v161 :: v_dual_mul_f32 v46, v46, v163
	v_mul_f32_e32 v31, 0x3fb8aa3b, v29
	v_cmp_ngt_f32_e64 s4, 0xc2ce8ed0, v29
	s_delay_alu instid0(VALU_DEP_2) | instskip(SKIP_2) | instid1(VALU_DEP_3)
	v_fma_f32 v67, 0x3fb8aa3b, v29, -v31
	v_rndne_f32_e32 v68, v31
	v_mul_f32_e32 v32, v32, v163
	v_dual_mul_f32 v34, v34, v163 :: v_dual_fmac_f32 v67, 0x32a5705f, v29
	s_delay_alu instid0(VALU_DEP_3) | instskip(NEXT) | instid1(VALU_DEP_1)
	v_sub_f32_e32 v31, v31, v68
	v_add_f32_e32 v31, v31, v67
	v_cvt_i32_f32_e32 v67, v68
	s_delay_alu instid0(VALU_DEP_2) | instskip(SKIP_2) | instid1(VALU_DEP_1)
	v_exp_f32_e32 v31, v31
	s_waitcnt_depctr 0xfff
	v_ldexp_f32 v31, v31, v67
	v_cndmask_b32_e64 v31, 0, v31, s4
	v_cmp_nlt_f32_e64 s4, 0x42b17218, v29
	s_delay_alu instid0(VALU_DEP_1) | instskip(NEXT) | instid1(VALU_DEP_1)
	v_cndmask_b32_e64 v175, 0x7f800000, v31, s4
	v_cndmask_b32_e64 v29, v30, v175, s2
	ds_bpermute_b32 v30, v162, v175
	v_cndmask_b32_e64 v28, v28, v175, s3
	v_mul_f32_e32 v39, v39, v163
	s_waitcnt lgkmcnt(0)
	v_cndmask_b32_e64 v29, v29, v30, s1
	s_delay_alu instid0(VALU_DEP_3) | instskip(NEXT) | instid1(VALU_DEP_2)
	v_cndmask_b32_e32 v30, v28, v30, vcc_lo
	v_cvt_f16_f32_e32 v28, v29
	s_delay_alu instid0(VALU_DEP_2) | instskip(NEXT) | instid1(VALU_DEP_1)
	v_cvt_f16_f32_e32 v31, v30
	v_pack_b32_f16 v28, v28, v31
	v_sub_f32_e32 v31, v66, v161
	s_delay_alu instid0(VALU_DEP_1) | instskip(SKIP_1) | instid1(VALU_DEP_2)
	v_mul_f32_e32 v66, 0x3fb8aa3b, v31
	v_cmp_ngt_f32_e64 s4, 0xc2ce8ed0, v31
	v_fma_f32 v67, 0x3fb8aa3b, v31, -v66
	v_rndne_f32_e32 v68, v66
	s_delay_alu instid0(VALU_DEP_1) | instskip(NEXT) | instid1(VALU_DEP_1)
	v_dual_fmac_f32 v67, 0x32a5705f, v31 :: v_dual_sub_f32 v66, v66, v68
	v_add_f32_e32 v66, v66, v67
	v_cvt_i32_f32_e32 v67, v68
	s_delay_alu instid0(VALU_DEP_2) | instskip(SKIP_2) | instid1(VALU_DEP_1)
	v_exp_f32_e32 v66, v66
	s_waitcnt_depctr 0xfff
	v_ldexp_f32 v66, v66, v67
	v_cndmask_b32_e64 v66, 0, v66, s4
	v_cmp_nlt_f32_e64 s4, 0x42b17218, v31
	s_delay_alu instid0(VALU_DEP_1) | instskip(SKIP_4) | instid1(VALU_DEP_2)
	v_cndmask_b32_e64 v178, 0x7f800000, v66, s4
	ds_bpermute_b32 v31, v162, v178
	v_cndmask_b32_e64 v29, v29, v178, s2
	v_cndmask_b32_e64 v30, v30, v178, s3
	s_waitcnt lgkmcnt(0)
	v_cndmask_b32_e64 v66, v29, v31, s1
	s_delay_alu instid0(VALU_DEP_2) | instskip(NEXT) | instid1(VALU_DEP_2)
	v_cndmask_b32_e32 v30, v30, v31, vcc_lo
	v_cvt_f16_f32_e32 v29, v66
	s_delay_alu instid0(VALU_DEP_2) | instskip(NEXT) | instid1(VALU_DEP_1)
	v_cvt_f16_f32_e32 v31, v30
	v_pack_b32_f16 v29, v29, v31
	v_sub_f32_e32 v31, v65, v161
	s_delay_alu instid0(VALU_DEP_1) | instskip(SKIP_1) | instid1(VALU_DEP_2)
	v_mul_f32_e32 v65, 0x3fb8aa3b, v31
	v_cmp_ngt_f32_e64 s4, 0xc2ce8ed0, v31
	v_fma_f32 v67, 0x3fb8aa3b, v31, -v65
	v_rndne_f32_e32 v68, v65
	s_delay_alu instid0(VALU_DEP_2) | instskip(NEXT) | instid1(VALU_DEP_2)
	v_fmac_f32_e32 v67, 0x32a5705f, v31
	v_sub_f32_e32 v65, v65, v68
	s_delay_alu instid0(VALU_DEP_1) | instskip(SKIP_1) | instid1(VALU_DEP_2)
	v_add_f32_e32 v65, v65, v67
	v_cvt_i32_f32_e32 v67, v68
	v_exp_f32_e32 v65, v65
	s_waitcnt_depctr 0xfff
	v_ldexp_f32 v65, v65, v67
	s_delay_alu instid0(VALU_DEP_1) | instskip(SKIP_1) | instid1(VALU_DEP_1)
	v_cndmask_b32_e64 v65, 0, v65, s4
	v_cmp_nlt_f32_e64 s4, 0x42b17218, v31
	v_cndmask_b32_e64 v179, 0x7f800000, v65, s4
	v_cmp_ngt_f32_e64 s4, 0xc2ce8ed0, v64
	ds_bpermute_b32 v65, v162, v179
	v_cndmask_b32_e64 v31, v66, v179, s2
	v_cndmask_b32_e64 v30, v30, v179, s3
	s_waitcnt lgkmcnt(0)
	s_delay_alu instid0(VALU_DEP_2) | instskip(NEXT) | instid1(VALU_DEP_2)
	v_cndmask_b32_e64 v31, v31, v65, s1
	v_cndmask_b32_e32 v65, v30, v65, vcc_lo
	s_delay_alu instid0(VALU_DEP_2) | instskip(NEXT) | instid1(VALU_DEP_2)
	v_cvt_f16_f32_e32 v30, v31
	v_cvt_f16_f32_e32 v66, v65
	s_delay_alu instid0(VALU_DEP_1) | instskip(SKIP_1) | instid1(VALU_DEP_1)
	v_pack_b32_f16 v30, v30, v66
	v_mul_f32_e32 v66, 0x3fb8aa3b, v64
	v_fma_f32 v67, 0x3fb8aa3b, v64, -v66
	v_rndne_f32_e32 v68, v66
	s_delay_alu instid0(VALU_DEP_2) | instskip(NEXT) | instid1(VALU_DEP_2)
	v_fmac_f32_e32 v67, 0x32a5705f, v64
	v_sub_f32_e32 v66, v66, v68
	s_delay_alu instid0(VALU_DEP_1) | instskip(SKIP_1) | instid1(VALU_DEP_2)
	v_add_f32_e32 v66, v66, v67
	v_cvt_i32_f32_e32 v67, v68
	v_exp_f32_e32 v66, v66
	s_waitcnt_depctr 0xfff
	v_ldexp_f32 v66, v66, v67
	s_delay_alu instid0(VALU_DEP_1) | instskip(SKIP_1) | instid1(VALU_DEP_1)
	v_cndmask_b32_e64 v66, 0, v66, s4
	v_cmp_nlt_f32_e64 s4, 0x42b17218, v64
	v_cndmask_b32_e64 v180, 0x7f800000, v66, s4
	s_delay_alu instid0(VALU_DEP_1) | instskip(SKIP_4) | instid1(VALU_DEP_2)
	v_cndmask_b32_e64 v64, v65, v180, s3
	ds_bpermute_b32 v65, v162, v180
	v_cndmask_b32_e64 v31, v31, v180, s2
	s_waitcnt lgkmcnt(0)
	v_dual_mul_f32 v9, v9, v163 :: v_dual_cndmask_b32 v64, v64, v65
	v_cndmask_b32_e64 v31, v31, v65, s1
	s_delay_alu instid0(VALU_DEP_2) | instskip(NEXT) | instid1(VALU_DEP_2)
	v_cvt_f16_f32_e32 v64, v64
	v_cvt_f16_f32_e32 v31, v31
	s_delay_alu instid0(VALU_DEP_1)
	v_pack_b32_f16 v31, v31, v64
	ds_load_u16 v64, v235
	ds_load_u16 v65, v235 offset:480
	ds_load_u16 v70, v235 offset:2880
	;; [unrolled: 1-line block ×14, first 2 shown]
	s_waitcnt lgkmcnt(14)
	ds_load_u16_d16_hi v64, v235 offset:240
	ds_load_u16 v75, v250 offset:1440
	s_waitcnt lgkmcnt(15)
	ds_load_u16_d16_hi v65, v235 offset:720
	ds_load_u16 v76, v250 offset:1920
	ds_load_u16 v121, v237 offset:480
	;; [unrolled: 1-line block ×3, first 2 shown]
	s_waitcnt lgkmcnt(16)
	ds_load_u16_d16_hi v78, v235 offset:3152
	ds_load_u16 v87, v103 offset:3360
	scratch_load_b32 v135, off, off offset:8 ; 4-byte Folded Reload
	s_waitcnt vmcnt(0)
	ds_load_u16 v129, v135 offset:480
	ds_load_u16 v130, v135 offset:960
	ds_load_u16 v133, v135 offset:2400
	ds_load_u16 v131, v135 offset:1440
	s_waitcnt lgkmcnt(19)
	ds_load_u16_d16_hi v85, v235 offset:2832
	ds_load_u16_d16_hi v70, v235 offset:3120
	;; [unrolled: 1-line block ×3, first 2 shown]
	s_waitcnt lgkmcnt(21)
	ds_load_u16_d16_hi v86, v235 offset:3312
	ds_load_u16_d16_hi v71, v235 offset:3600
	ds_load_u16 v73, v250 offset:480
	ds_load_u16 v66, v235 offset:960
	ds_load_u16_d16_hi v74, v235 offset:1232
	ds_load_u16 v67, v235 offset:1440
	s_waitcnt lgkmcnt(19)
	ds_load_u16_d16_hi v75, v235 offset:1712
	ds_load_u16 v68, v235 offset:1920
	s_waitcnt lgkmcnt(19)
	;; [unrolled: 3-line block ×3, first 2 shown]
	ds_load_u16_d16_hi v77, v235 offset:2672
	scratch_load_b32 v81, off, off offset:712 ; 4-byte Folded Reload
	s_waitcnt vmcnt(0)
	ds_load_u16 v115, v81 offset:1440
	ds_load_u16 v116, v81 offset:1920
	;; [unrolled: 1-line block ×7, first 2 shown]
	scratch_load_b32 v81, off, off offset:716 ; 4-byte Folded Reload
	s_waitcnt vmcnt(0)
	ds_load_u16 v106, v81 offset:960
	ds_load_u16 v107, v81 offset:1440
	;; [unrolled: 1-line block ×6, first 2 shown]
	scratch_load_b32 v134, off, off offset:720 ; 4-byte Folded Reload
	s_waitcnt vmcnt(0)
	ds_load_u16 v137, v134 offset:480
	ds_load_u16 v105, v81 offset:480
	;; [unrolled: 1-line block ×21, first 2 shown]
	scratch_load_b32 v251, off, off         ; 4-byte Folded Reload
	s_waitcnt vmcnt(0)
	ds_load_u16 v152, v251 offset:3360
	s_waitcnt lgkmcnt(19)
	ds_load_u16_d16_hi v81, v235 offset:912
	ds_load_u16_d16_hi v66, v235 offset:1200
	;; [unrolled: 1-line block ×4, first 2 shown]
	s_waitcnt lgkmcnt(22)
	ds_load_u16_d16_hi v98, v235 offset:1328
	s_waitcnt lgkmcnt(20)
	ds_load_u16_d16_hi v90, v235 offset:1360
	;; [unrolled: 2-line block ×3, first 2 shown]
	ds_load_u16_d16_hi v67, v235 offset:1680
	ds_load_u16_d16_hi v115, v235 offset:1744
	;; [unrolled: 1-line block ×4, first 2 shown]
	s_waitcnt lgkmcnt(19)
	ds_load_u16_d16_hi v91, v235 offset:1840
	ds_load_u16_d16_hi v83, v235 offset:1872
	;; [unrolled: 1-line block ×6, first 2 shown]
	s_waitcnt lgkmcnt(24)
	ds_load_u16_d16_hi v92, v235 offset:2320
	s_waitcnt lgkmcnt(19)
	ds_load_u16_d16_hi v84, v235 offset:2352
	scratch_load_b32 v136, off, off offset:684 ; 4-byte Folded Reload
	s_waitcnt vmcnt(0)
	ds_load_u16 v184, v136 offset:1440
	ds_load_u16 v185, v136 offset:1920
	;; [unrolled: 1-line block ×6, first 2 shown]
	ds_load_u16_d16_hi v69, v235 offset:2640
	ds_load_u16_d16_hi v117, v235 offset:2704
	;; [unrolled: 1-line block ×15, first 2 shown]
	ds_load_u16 v120, v235 offset:3872
	ds_load_u16_d16_hi v119, v235 offset:3664
	ds_load_u16_d16_hi v111, v235 offset:3696
	;; [unrolled: 1-line block ×5, first 2 shown]
	ds_load_u16 v195, v235 offset:3840
	s_waitcnt lgkmcnt(21)
	v_wmma_f32_16x16x16_f16 v[56:63], v[64:71], v[24:31], v[56:63]
	ds_load_u16_d16_hi v73, v235 offset:752
	ds_load_u16 v160, v232 offset:3360
	ds_load_u16_d16_hi v113, v235 offset:784
	ds_load_u16_d16_hi v105, v235 offset:816
	ds_load_u16 v71, v252 offset:3360
	ds_load_u16_d16_hi v97, v235 offset:848
	ds_load_u16_d16_hi v89, v235 offset:880
	s_waitcnt lgkmcnt(6)
	v_wmma_f32_16x16x16_f16 v[48:55], v[72:79], v[24:31], v[48:55]
	s_waitcnt lgkmcnt(4)
	v_wmma_f32_16x16x16_f16 v[40:47], v[112:119], v[24:31], v[40:47]
	;; [unrolled: 2-line block ×3, first 2 shown]
	v_wmma_f32_16x16x16_f16 v[0:7], v[80:87], v[24:31], v[0:7]
	s_waitcnt lgkmcnt(1)
	v_wmma_f32_16x16x16_f16 v[16:23], v[96:103], v[24:31], v[16:23]
	s_waitcnt lgkmcnt(0)
	v_wmma_f32_16x16x16_f16 v[8:15], v[88:95], v[24:31], v[8:15]
	v_sub_f32_e32 v24, v132, v161
	ds_load_u16 v199, v247 offset:1920
	ds_load_u16 v201, v247 offset:2880
	;; [unrolled: 1-line block ×11, first 2 shown]
	v_mul_f32_e32 v25, 0x3fb8aa3b, v24
	v_cmp_ngt_f32_e64 s4, 0xc2ce8ed0, v24
	s_delay_alu instid0(VALU_DEP_2) | instskip(SKIP_1) | instid1(VALU_DEP_1)
	v_fma_f32 v26, 0x3fb8aa3b, v24, -v25
	v_rndne_f32_e32 v27, v25
	v_dual_fmac_f32 v26, 0x32a5705f, v24 :: v_dual_sub_f32 v25, v25, v27
	v_cvt_i32_f32_e32 v27, v27
	s_delay_alu instid0(VALU_DEP_2) | instskip(NEXT) | instid1(VALU_DEP_1)
	v_dual_add_f32 v25, v25, v26 :: v_dual_sub_f32 v26, v128, v161
	v_exp_f32_e32 v25, v25
	s_delay_alu instid0(VALU_DEP_1) | instskip(SKIP_1) | instid1(VALU_DEP_2)
	v_mul_f32_e32 v28, 0x3fb8aa3b, v26
	v_cmp_ngt_f32_e64 s5, 0xc2ce8ed0, v26
	v_fma_f32 v29, 0x3fb8aa3b, v26, -v28
	v_rndne_f32_e32 v30, v28
	s_waitcnt_depctr 0xfff
	v_ldexp_f32 v25, v25, v27
	v_fmac_f32_e32 v29, 0x32a5705f, v26
	v_sub_f32_e32 v28, v28, v30
	s_delay_alu instid0(VALU_DEP_3) | instskip(SKIP_1) | instid1(VALU_DEP_3)
	v_cndmask_b32_e64 v25, 0, v25, s4
	v_cmp_nlt_f32_e64 s4, 0x42b17218, v24
	v_add_f32_e32 v28, v28, v29
	s_delay_alu instid0(VALU_DEP_2) | instskip(NEXT) | instid1(VALU_DEP_2)
	v_cndmask_b32_e64 v73, 0x7f800000, v25, s4
	v_exp_f32_e32 v27, v28
	v_cvt_i32_f32_e32 v28, v30
	s_waitcnt_depctr 0xfff
	v_ldexp_f32 v27, v27, v28
	s_delay_alu instid0(VALU_DEP_1)
	v_cndmask_b32_e64 v24, 0, v27, s5
	v_cmp_nlt_f32_e64 s5, 0x42b17218, v26
	ds_bpermute_b32 v26, v162, v73
	v_cndmask_b32_e64 v72, 0x7f800000, v24, s5
	ds_bpermute_b32 v24, v162, v72
	s_waitcnt lgkmcnt(0)
	v_cndmask_b32_e64 v25, v72, v24, s1
	v_cndmask_b32_e32 v24, v72, v24, vcc_lo
	s_delay_alu instid0(VALU_DEP_2) | instskip(NEXT) | instid1(VALU_DEP_2)
	v_cndmask_b32_e64 v27, v25, v73, s2
	v_cndmask_b32_e64 v28, v24, v73, s3
	v_cvt_f16_f32_e32 v25, v25
	v_cvt_f16_f32_e32 v24, v24
	s_delay_alu instid0(VALU_DEP_4) | instskip(NEXT) | instid1(VALU_DEP_4)
	v_cndmask_b32_e64 v27, v27, v26, s1
	v_cndmask_b32_e32 v26, v28, v26, vcc_lo
	s_delay_alu instid0(VALU_DEP_3) | instskip(SKIP_1) | instid1(VALU_DEP_4)
	v_pack_b32_f16 v80, v25, v24
	v_sub_f32_e32 v24, v127, v161
	v_cvt_f16_f32_e32 v28, v27
	s_delay_alu instid0(VALU_DEP_4) | instskip(NEXT) | instid1(VALU_DEP_3)
	v_cvt_f16_f32_e32 v29, v26
	v_mul_f32_e32 v25, 0x3fb8aa3b, v24
	v_cmp_ngt_f32_e64 s4, 0xc2ce8ed0, v24
	s_delay_alu instid0(VALU_DEP_3) | instskip(NEXT) | instid1(VALU_DEP_3)
	v_pack_b32_f16 v81, v28, v29
	v_fma_f32 v28, 0x3fb8aa3b, v24, -v25
	v_rndne_f32_e32 v29, v25
	s_delay_alu instid0(VALU_DEP_1) | instskip(NEXT) | instid1(VALU_DEP_1)
	v_dual_fmac_f32 v28, 0x32a5705f, v24 :: v_dual_sub_f32 v25, v25, v29
	v_add_f32_e32 v25, v25, v28
	v_cvt_i32_f32_e32 v28, v29
	s_delay_alu instid0(VALU_DEP_2) | instskip(SKIP_2) | instid1(VALU_DEP_1)
	v_exp_f32_e32 v25, v25
	s_waitcnt_depctr 0xfff
	v_ldexp_f32 v25, v25, v28
	v_cndmask_b32_e64 v25, 0, v25, s4
	v_cmp_nlt_f32_e64 s4, 0x42b17218, v24
	s_delay_alu instid0(VALU_DEP_1) | instskip(NEXT) | instid1(VALU_DEP_1)
	v_cndmask_b32_e64 v74, 0x7f800000, v25, s4
	v_cndmask_b32_e64 v25, v26, v74, s3
	ds_bpermute_b32 v26, v162, v74
	v_cndmask_b32_e64 v24, v27, v74, s2
	s_waitcnt lgkmcnt(0)
	s_delay_alu instid0(VALU_DEP_1) | instskip(SKIP_1) | instid1(VALU_DEP_2)
	v_cndmask_b32_e64 v24, v24, v26, s1
	v_cndmask_b32_e32 v25, v25, v26, vcc_lo
	v_cvt_f16_f32_e32 v26, v24
	s_delay_alu instid0(VALU_DEP_2) | instskip(NEXT) | instid1(VALU_DEP_1)
	v_cvt_f16_f32_e32 v27, v25
	v_pack_b32_f16 v82, v26, v27
	v_sub_f32_e32 v26, v126, v161
	s_delay_alu instid0(VALU_DEP_1) | instskip(SKIP_1) | instid1(VALU_DEP_2)
	v_mul_f32_e32 v27, 0x3fb8aa3b, v26
	v_cmp_ngt_f32_e64 s4, 0xc2ce8ed0, v26
	v_fma_f32 v28, 0x3fb8aa3b, v26, -v27
	v_rndne_f32_e32 v29, v27
	s_delay_alu instid0(VALU_DEP_1) | instskip(NEXT) | instid1(VALU_DEP_1)
	v_dual_fmac_f32 v28, 0x32a5705f, v26 :: v_dual_sub_f32 v27, v27, v29
	v_add_f32_e32 v27, v27, v28
	v_cvt_i32_f32_e32 v28, v29
	s_delay_alu instid0(VALU_DEP_2) | instskip(SKIP_2) | instid1(VALU_DEP_1)
	v_exp_f32_e32 v27, v27
	s_waitcnt_depctr 0xfff
	v_ldexp_f32 v27, v27, v28
	v_cndmask_b32_e64 v27, 0, v27, s4
	v_cmp_nlt_f32_e64 s4, 0x42b17218, v26
	s_delay_alu instid0(VALU_DEP_1) | instskip(SKIP_4) | instid1(VALU_DEP_2)
	v_cndmask_b32_e64 v75, 0x7f800000, v27, s4
	ds_bpermute_b32 v26, v162, v75
	v_cndmask_b32_e64 v24, v24, v75, s2
	v_cndmask_b32_e64 v25, v25, v75, s3
	s_waitcnt lgkmcnt(0)
	v_cndmask_b32_e64 v24, v24, v26, s1
	s_delay_alu instid0(VALU_DEP_2) | instskip(NEXT) | instid1(VALU_DEP_2)
	v_cndmask_b32_e32 v25, v25, v26, vcc_lo
	v_cvt_f16_f32_e32 v26, v24
	s_delay_alu instid0(VALU_DEP_2) | instskip(NEXT) | instid1(VALU_DEP_1)
	v_cvt_f16_f32_e32 v27, v25
	v_pack_b32_f16 v83, v26, v27
	v_sub_f32_e32 v26, v125, v161
	s_delay_alu instid0(VALU_DEP_1) | instskip(SKIP_1) | instid1(VALU_DEP_2)
	v_mul_f32_e32 v27, 0x3fb8aa3b, v26
	v_cmp_ngt_f32_e64 s4, 0xc2ce8ed0, v26
	v_fma_f32 v28, 0x3fb8aa3b, v26, -v27
	v_rndne_f32_e32 v29, v27
	s_delay_alu instid0(VALU_DEP_1) | instskip(NEXT) | instid1(VALU_DEP_1)
	v_dual_fmac_f32 v28, 0x32a5705f, v26 :: v_dual_sub_f32 v27, v27, v29
	v_add_f32_e32 v27, v27, v28
	v_cvt_i32_f32_e32 v28, v29
	s_delay_alu instid0(VALU_DEP_2) | instskip(SKIP_2) | instid1(VALU_DEP_1)
	v_exp_f32_e32 v27, v27
	s_waitcnt_depctr 0xfff
	v_ldexp_f32 v27, v27, v28
	v_cndmask_b32_e64 v27, 0, v27, s4
	v_cmp_nlt_f32_e64 s4, 0x42b17218, v26
	s_delay_alu instid0(VALU_DEP_1) | instskip(SKIP_4) | instid1(VALU_DEP_2)
	v_cndmask_b32_e64 v76, 0x7f800000, v27, s4
	ds_bpermute_b32 v26, v162, v76
	v_cndmask_b32_e64 v24, v24, v76, s2
	v_cndmask_b32_e64 v25, v25, v76, s3
	s_waitcnt lgkmcnt(0)
	v_cndmask_b32_e64 v24, v24, v26, s1
	s_delay_alu instid0(VALU_DEP_2) | instskip(NEXT) | instid1(VALU_DEP_2)
	;; [unrolled: 29-line block ×4, first 2 shown]
	v_cndmask_b32_e32 v25, v25, v26, vcc_lo
	v_cvt_f16_f32_e32 v26, v24
	s_delay_alu instid0(VALU_DEP_2) | instskip(NEXT) | instid1(VALU_DEP_1)
	v_cvt_f16_f32_e32 v27, v25
	v_pack_b32_f16 v86, v26, v27
	v_sub_f32_e32 v26, v122, v161
	ds_load_u16_d16_hi v199, v235 offset:6000
	ds_load_u16 v92, v144 offset:1920
	ds_load_u16 v93, v144 offset:2400
	;; [unrolled: 1-line block ×6, first 2 shown]
	ds_load_u16_d16_hi v201, v235 offset:6960
	ds_load_u16_d16_hi v195, v235 offset:4080
	ds_load_u16 v127, v237 offset:3360
	ds_load_u16 v122, v237 offset:960
	;; [unrolled: 1-line block ×8, first 2 shown]
	scratch_load_b32 v238, off, off offset:708 ; 4-byte Folded Reload
	s_waitcnt vmcnt(0)
	ds_load_u16 v31, v238 offset:3360
	ds_load_u16 v30, v238 offset:2880
	s_waitcnt lgkmcnt(1)
	ds_load_u16_d16_hi v31, v235 offset:15312
	ds_load_u16_d16_hi v196, v235 offset:4560
	ds_load_u16_d16_hi v120, v235 offset:4112
	ds_load_u16_d16_hi v202, v235 offset:7440
	ds_load_u16_d16_hi v127, v235 offset:7472
	ds_load_u16 v139, v134 offset:1440
	ds_load_u16 v147, v146 offset:1440
	;; [unrolled: 1-line block ×5, first 2 shown]
	scratch_load_b32 v66, off, off offset:696 ; 4-byte Folded Reload
	v_mul_f32_e32 v27, 0x3fb8aa3b, v26
	v_cmp_ngt_f32_e64 s4, 0xc2ce8ed0, v26
	s_waitcnt vmcnt(0)
	ds_load_u16 v104, v66 offset:480
	ds_load_u16 v140, v134 offset:1920
	;; [unrolled: 1-line block ×3, first 2 shown]
	ds_load_u16_d16_hi v197, v235 offset:5040
	ds_load_u16_d16_hi v122, v235 offset:5072
	;; [unrolled: 1-line block ×5, first 2 shown]
	ds_load_u16 v150, v146 offset:2880
	ds_load_u16 v151, v146 offset:3360
	scratch_load_b32 v68, off, off offset:700 ; 4-byte Folded Reload
	v_fma_f32 v28, 0x3fb8aa3b, v26, -v27
	v_rndne_f32_e32 v29, v27
	s_waitcnt vmcnt(0)
	ds_load_u16 v112, v68 offset:480
	ds_load_u16 v148, v146 offset:1920
	;; [unrolled: 1-line block ×3, first 2 shown]
	ds_load_u16_d16_hi v198, v235 offset:5520
	ds_load_u16_d16_hi v123, v235 offset:5552
	;; [unrolled: 1-line block ×3, first 2 shown]
	s_waitcnt lgkmcnt(20)
	ds_load_u16_d16_hi v139, v235 offset:5616
	ds_load_u16_d16_hi v192, v235 offset:5648
	s_waitcnt lgkmcnt(21)
	ds_load_u16_d16_hi v147, v235 offset:5680
	ds_load_u16 v134, v135 offset:2880
	ds_load_u16_d16_hi v200, v235 offset:6480
	ds_load_u16_d16_hi v125, v235 offset:6512
	;; [unrolled: 1-line block ×3, first 2 shown]
	s_waitcnt lgkmcnt(25)
	ds_load_u16_d16_hi v141, v235 offset:6576
	ds_load_u16_d16_hi v194, v235 offset:6608
	s_waitcnt lgkmcnt(22)
	ds_load_u16_d16_hi v149, v235 offset:6640
	ds_load_u16 v128, v235 offset:4032
	ds_load_u16_d16_hi v129, v235 offset:4752
	ds_load_u16_d16_hi v130, v235 offset:5232
	;; [unrolled: 1-line block ×6, first 2 shown]
	s_waitcnt lgkmcnt(21)
	ds_load_u16_d16_hi v148, v235 offset:6160
	ds_load_u16_d16_hi v132, v235 offset:6192
	;; [unrolled: 1-line block ×4, first 2 shown]
	ds_load_u16 v135, v135 offset:3360
	scratch_load_b32 v69, off, off offset:704 ; 4-byte Folded Reload
	v_dual_fmac_f32 v28, 0x32a5705f, v26 :: v_dual_sub_f32 v27, v27, v29
	s_waitcnt vmcnt(0)
	ds_load_u16 v203, v69 offset:480
	ds_load_u16 v206, v69 offset:1920
	ds_load_u16 v207, v69 offset:2400
	ds_load_u16 v208, v69 offset:2880
	ds_load_u16 v204, v69 offset:960
	s_waitcnt lgkmcnt(23)
	ds_load_u16_d16_hi v134, v235 offset:7152
	v_add_f32_e32 v27, v27, v28
	v_cvt_i32_f32_e32 v28, v29
	s_delay_alu instid0(VALU_DEP_2) | instskip(SKIP_2) | instid1(VALU_DEP_1)
	v_exp_f32_e32 v27, v27
	s_waitcnt_depctr 0xfff
	v_ldexp_f32 v27, v27, v28
	v_cndmask_b32_e64 v27, 0, v27, s4
	v_cmp_nlt_f32_e64 s4, 0x42b17218, v26
	s_delay_alu instid0(VALU_DEP_1) | instskip(SKIP_4) | instid1(VALU_DEP_2)
	v_cndmask_b32_e64 v79, 0x7f800000, v27, s4
	ds_bpermute_b32 v26, v162, v79
	v_cndmask_b32_e64 v24, v24, v79, s2
	v_cndmask_b32_e64 v25, v25, v79, s3
	s_waitcnt lgkmcnt(0)
	v_cndmask_b32_e64 v24, v24, v26, s1
	s_delay_alu instid0(VALU_DEP_2) | instskip(NEXT) | instid1(VALU_DEP_2)
	v_cndmask_b32_e32 v25, v25, v26, vcc_lo
	v_cvt_f16_f32_e32 v24, v24
	s_delay_alu instid0(VALU_DEP_2) | instskip(NEXT) | instid1(VALU_DEP_1)
	v_cvt_f16_f32_e32 v25, v25
	v_pack_b32_f16 v87, v24, v25
	v_sub_f32_e32 v24, v177, v161
	s_delay_alu instid0(VALU_DEP_2)
	v_wmma_f32_16x16x16_f16 v[56:63], v[195:202], v[80:87], v[56:63]
	ds_load_u16 v187, v136 offset:2880
	ds_load_u16 v195, v181 offset:2880
	ds_load_u16_d16_hi v121, v235 offset:4592
	ds_load_u16_d16_hi v126, v235 offset:6992
	ds_load_u16 v188, v136 offset:3360
	ds_load_u16 v196, v181 offset:3360
	scratch_load_b32 v65, off, off offset:688 ; 4-byte Folded Reload
	v_mul_f32_e32 v25, 0x3fb8aa3b, v24
	v_cmp_ngt_f32_e64 s4, 0xc2ce8ed0, v24
	s_waitcnt vmcnt(0)
	ds_load_u16 v214, v65 offset:2400
	ds_load_u16 v215, v65 offset:2880
	;; [unrolled: 1-line block ×4, first 2 shown]
	scratch_load_b32 v67, off, off offset:244 ; 4-byte Folded Reload
	v_fma_f32 v26, 0x3fb8aa3b, v24, -v25
	v_rndne_f32_e32 v27, v25
	s_waitcnt lgkmcnt(6)
	v_wmma_f32_16x16x16_f16 v[48:55], v[120:127], v[80:87], v[48:55]
	s_waitcnt vmcnt(0)
	ds_load_u16 v221, v67 offset:2400
	ds_load_u16 v222, v67 offset:2880
	;; [unrolled: 1-line block ×4, first 2 shown]
	ds_load_u16_d16_hi v187, v235 offset:7024
	ds_load_u16_d16_hi v142, v235 offset:7056
	;; [unrolled: 1-line block ×7, first 2 shown]
	v_dual_fmac_f32 v26, 0x32a5705f, v24 :: v_dual_sub_f32 v25, v25, v27
	ds_load_u16 v181, v235 offset:3904
	ds_load_u16 v136, v235 offset:3936
	;; [unrolled: 1-line block ×4, first 2 shown]
	s_waitcnt lgkmcnt(20)
	ds_load_u16_d16_hi v188, v235 offset:7504
	ds_load_u16_d16_hi v143, v235 offset:7536
	v_cvt_i32_f32_e32 v27, v27
	s_waitcnt lgkmcnt(5)
	ds_load_u16_d16_hi v181, v235 offset:4144
	s_waitcnt lgkmcnt(5)
	ds_load_u16_d16_hi v136, v235 offset:4176
	;; [unrolled: 2-line block ×4, first 2 shown]
	ds_load_u16_d16_hi v196, v235 offset:7568
	ds_load_u16_d16_hi v151, v235 offset:7600
	;; [unrolled: 1-line block ×3, first 2 shown]
	ds_load_u16 v88, v235 offset:7680
	ds_load_u16 v96, v235 offset:7712
	;; [unrolled: 1-line block ×3, first 2 shown]
	v_dual_add_f32 v25, v25, v26 :: v_dual_sub_f32 v26, v176, v161
	ds_load_u16_d16_hi v190, v235 offset:4688
	ds_load_u16_d16_hi v145, v235 offset:4720
	;; [unrolled: 1-line block ×3, first 2 shown]
	v_exp_f32_e32 v25, v25
	v_mul_f32_e32 v28, 0x3fb8aa3b, v26
	v_cmp_ngt_f32_e64 s5, 0xc2ce8ed0, v26
	s_waitcnt lgkmcnt(12)
	v_wmma_f32_16x16x16_f16 v[40:47], v[181:188], v[80:87], v[40:47]
	s_delay_alu instid0(VALU_DEP_3) | instskip(SKIP_3) | instid1(TRANS32_DEP_1)
	v_fma_f32 v29, 0x3fb8aa3b, v26, -v28
	v_rndne_f32_e32 v64, v28
	s_waitcnt lgkmcnt(11)
	v_wmma_f32_16x16x16_f16 v[32:39], v[136:143], v[80:87], v[32:39]
	v_ldexp_f32 v25, v25, v27
	s_delay_alu instid0(VALU_DEP_3) | instskip(SKIP_2) | instid1(VALU_DEP_3)
	v_dual_fmac_f32 v29, 0x32a5705f, v26 :: v_dual_sub_f32 v28, v28, v64
	s_waitcnt lgkmcnt(6)
	v_wmma_f32_16x16x16_f16 v[0:7], v[128:135], v[80:87], v[0:7]
	v_cndmask_b32_e64 v25, 0, v25, s4
	v_cmp_nlt_f32_e64 s4, 0x42b17218, v24
	v_add_f32_e32 v28, v28, v29
	s_waitcnt lgkmcnt(2)
	v_wmma_f32_16x16x16_f16 v[16:23], v[189:196], v[80:87], v[16:23]
	s_waitcnt lgkmcnt(0)
	v_wmma_f32_16x16x16_f16 v[8:15], v[144:151], v[80:87], v[8:15]
	scratch_load_b32 v144, off, off offset:984 ; 4-byte Folded Reload
	v_cndmask_b32_e64 v81, 0x7f800000, v25, s4
	v_exp_f32_e32 v27, v28
	v_cvt_i32_f32_e32 v28, v64
	s_waitcnt vmcnt(0)
	ds_load_u16 v91, v144 offset:1440
	ds_load_u16 v211, v65 offset:960
	;; [unrolled: 1-line block ×12, first 2 shown]
	v_ldexp_f32 v27, v27, v28
	s_delay_alu instid0(VALU_DEP_1)
	v_cndmask_b32_e64 v24, 0, v27, s5
	v_cmp_nlt_f32_e64 s5, 0x42b17218, v26
	ds_bpermute_b32 v26, v162, v81
	v_cndmask_b32_e64 v80, 0x7f800000, v24, s5
	ds_bpermute_b32 v24, v162, v80
	s_waitcnt lgkmcnt(0)
	v_cndmask_b32_e32 v25, v80, v24, vcc_lo
	v_cndmask_b32_e64 v24, v80, v24, s1
	s_delay_alu instid0(VALU_DEP_2) | instskip(NEXT) | instid1(VALU_DEP_2)
	v_cndmask_b32_e64 v28, v25, v81, s3
	v_cndmask_b32_e64 v27, v24, v81, s2
	v_cvt_f16_f32_e32 v24, v24
	v_cvt_f16_f32_e32 v25, v25
	s_delay_alu instid0(VALU_DEP_3) | instskip(SKIP_1) | instid1(VALU_DEP_3)
	v_cndmask_b32_e64 v27, v27, v26, s1
	v_cndmask_b32_e32 v26, v28, v26, vcc_lo
	v_pack_b32_f16 v119, v24, v25
	v_sub_f32_e32 v24, v173, v161
	s_delay_alu instid0(VALU_DEP_4) | instskip(NEXT) | instid1(VALU_DEP_4)
	v_cvt_f16_f32_e32 v28, v27
	v_cvt_f16_f32_e32 v29, v26
	s_delay_alu instid0(VALU_DEP_3) | instskip(SKIP_1) | instid1(VALU_DEP_3)
	v_mul_f32_e32 v25, 0x3fb8aa3b, v24
	v_cmp_ngt_f32_e64 s4, 0xc2ce8ed0, v24
	v_pack_b32_f16 v120, v28, v29
	s_delay_alu instid0(VALU_DEP_3) | instskip(SKIP_1) | instid1(VALU_DEP_1)
	v_fma_f32 v28, 0x3fb8aa3b, v24, -v25
	v_rndne_f32_e32 v29, v25
	v_dual_fmac_f32 v28, 0x32a5705f, v24 :: v_dual_sub_f32 v25, v25, v29
	s_delay_alu instid0(VALU_DEP_1) | instskip(SKIP_1) | instid1(VALU_DEP_2)
	v_add_f32_e32 v25, v25, v28
	v_cvt_i32_f32_e32 v28, v29
	v_exp_f32_e32 v25, v25
	s_waitcnt_depctr 0xfff
	v_ldexp_f32 v25, v25, v28
	s_delay_alu instid0(VALU_DEP_1) | instskip(SKIP_1) | instid1(VALU_DEP_1)
	v_cndmask_b32_e64 v25, 0, v25, s4
	v_cmp_nlt_f32_e64 s4, 0x42b17218, v24
	v_cndmask_b32_e64 v82, 0x7f800000, v25, s4
	s_delay_alu instid0(VALU_DEP_1) | instskip(SKIP_3) | instid1(VALU_DEP_1)
	v_cndmask_b32_e64 v25, v26, v82, s3
	ds_bpermute_b32 v26, v162, v82
	v_cndmask_b32_e64 v24, v27, v82, s2
	s_waitcnt lgkmcnt(0)
	v_cndmask_b32_e64 v24, v24, v26, s1
	v_cndmask_b32_e32 v25, v25, v26, vcc_lo
	s_delay_alu instid0(VALU_DEP_2) | instskip(NEXT) | instid1(VALU_DEP_2)
	v_cvt_f16_f32_e32 v26, v24
	v_cvt_f16_f32_e32 v27, v25
	s_delay_alu instid0(VALU_DEP_1) | instskip(SKIP_1) | instid1(VALU_DEP_1)
	v_pack_b32_f16 v121, v26, v27
	v_sub_f32_e32 v26, v171, v161
	v_mul_f32_e32 v27, 0x3fb8aa3b, v26
	v_cmp_ngt_f32_e64 s4, 0xc2ce8ed0, v26
	s_delay_alu instid0(VALU_DEP_2) | instskip(SKIP_1) | instid1(VALU_DEP_1)
	v_fma_f32 v28, 0x3fb8aa3b, v26, -v27
	v_rndne_f32_e32 v29, v27
	v_dual_fmac_f32 v28, 0x32a5705f, v26 :: v_dual_sub_f32 v27, v27, v29
	s_delay_alu instid0(VALU_DEP_1) | instskip(SKIP_1) | instid1(VALU_DEP_2)
	v_add_f32_e32 v27, v27, v28
	v_cvt_i32_f32_e32 v28, v29
	v_exp_f32_e32 v27, v27
	s_waitcnt_depctr 0xfff
	v_ldexp_f32 v27, v27, v28
	s_delay_alu instid0(VALU_DEP_1) | instskip(SKIP_1) | instid1(VALU_DEP_1)
	v_cndmask_b32_e64 v27, 0, v27, s4
	v_cmp_nlt_f32_e64 s4, 0x42b17218, v26
	v_cndmask_b32_e64 v135, 0x7f800000, v27, s4
	ds_bpermute_b32 v26, v162, v135
	v_cndmask_b32_e64 v24, v24, v135, s2
	v_cndmask_b32_e64 v25, v25, v135, s3
	s_waitcnt lgkmcnt(0)
	s_delay_alu instid0(VALU_DEP_2) | instskip(NEXT) | instid1(VALU_DEP_2)
	v_cndmask_b32_e64 v24, v24, v26, s1
	v_cndmask_b32_e32 v25, v25, v26, vcc_lo
	s_delay_alu instid0(VALU_DEP_2) | instskip(NEXT) | instid1(VALU_DEP_2)
	v_cvt_f16_f32_e32 v26, v24
	v_cvt_f16_f32_e32 v27, v25
	s_delay_alu instid0(VALU_DEP_1) | instskip(SKIP_1) | instid1(VALU_DEP_1)
	v_pack_b32_f16 v122, v26, v27
	v_sub_f32_e32 v26, v170, v161
	v_mul_f32_e32 v27, 0x3fb8aa3b, v26
	v_cmp_ngt_f32_e64 s4, 0xc2ce8ed0, v26
	s_delay_alu instid0(VALU_DEP_2) | instskip(SKIP_1) | instid1(VALU_DEP_1)
	v_fma_f32 v28, 0x3fb8aa3b, v26, -v27
	v_rndne_f32_e32 v29, v27
	v_dual_fmac_f32 v28, 0x32a5705f, v26 :: v_dual_sub_f32 v27, v27, v29
	s_delay_alu instid0(VALU_DEP_1) | instskip(SKIP_1) | instid1(VALU_DEP_2)
	v_add_f32_e32 v27, v27, v28
	v_cvt_i32_f32_e32 v28, v29
	v_exp_f32_e32 v27, v27
	s_waitcnt_depctr 0xfff
	v_ldexp_f32 v27, v27, v28
	s_delay_alu instid0(VALU_DEP_1) | instskip(SKIP_1) | instid1(VALU_DEP_1)
	v_cndmask_b32_e64 v27, 0, v27, s4
	v_cmp_nlt_f32_e64 s4, 0x42b17218, v26
	v_cndmask_b32_e64 v136, 0x7f800000, v27, s4
	ds_bpermute_b32 v26, v162, v136
	v_cndmask_b32_e64 v24, v24, v136, s2
	v_cndmask_b32_e64 v25, v25, v136, s3
	s_waitcnt lgkmcnt(0)
	s_delay_alu instid0(VALU_DEP_2) | instskip(NEXT) | instid1(VALU_DEP_2)
	;; [unrolled: 29-line block ×3, first 2 shown]
	v_cndmask_b32_e64 v24, v24, v26, s1
	v_cndmask_b32_e32 v25, v25, v26, vcc_lo
	s_delay_alu instid0(VALU_DEP_2) | instskip(NEXT) | instid1(VALU_DEP_2)
	v_cvt_f16_f32_e32 v26, v24
	v_cvt_f16_f32_e32 v27, v25
	s_delay_alu instid0(VALU_DEP_1)
	v_pack_b32_f16 v124, v26, v27
	v_sub_f32_e32 v26, v154, v161
	ds_load_u16_d16_hi v91, v235 offset:9360
	ds_load_u16_d16_hi v92, v235 offset:9840
	;; [unrolled: 1-line block ×3, first 2 shown]
	ds_load_u16 v154, v232 offset:480
	ds_load_u16 v101, v249 offset:2400
	;; [unrolled: 1-line block ×4, first 2 shown]
	ds_load_u16_d16_hi v88, v235 offset:7920
	ds_load_u16_d16_hi v96, v235 offset:7952
	;; [unrolled: 1-line block ×4, first 2 shown]
	ds_load_u16 v216, v65 offset:3360
	ds_load_u16 v130, v234 offset:1440
	;; [unrolled: 1-line block ×7, first 2 shown]
	ds_load_u16_d16_hi v95, v235 offset:11280
	ds_load_u16_d16_hi v103, v235 offset:11312
	;; [unrolled: 1-line block ×4, first 2 shown]
	ds_load_u16 v107, v66 offset:1920
	ds_load_u16 v108, v66 offset:2400
	;; [unrolled: 1-line block ×12, first 2 shown]
	scratch_load_b32 v85, off, off offset:692 ; 4-byte Folded Reload
	s_waitcnt vmcnt(0)
	ds_load_u16 v84, v85 offset:480
	s_waitcnt lgkmcnt(23)
	ds_load_u16_d16_hi v216, v235 offset:11344
	ds_load_u16_d16_hi v90, v235 offset:8880
	;; [unrolled: 1-line block ×9, first 2 shown]
	s_waitcnt lgkmcnt(21)
	ds_load_u16_d16_hi v107, v235 offset:9936
	ds_load_u16_d16_hi v220, v235 offset:9968
	s_waitcnt lgkmcnt(19)
	ds_load_u16_d16_hi v115, v235 offset:10000
	ds_load_u16 v202, v235 offset:7872
	ds_load_u16_d16_hi v203, v235 offset:8592
	ds_load_u16_d16_hi v99, v235 offset:9392
	;; [unrolled: 1-line block ×3, first 2 shown]
	s_waitcnt lgkmcnt(22)
	ds_load_u16_d16_hi v106, v235 offset:9456
	ds_load_u16_d16_hi v219, v235 offset:9488
	s_waitcnt lgkmcnt(19)
	ds_load_u16_d16_hi v114, v235 offset:9520
	ds_load_u16_d16_hi v205, v235 offset:9552
	;; [unrolled: 1-line block ×6, first 2 shown]
	v_mul_f32_e32 v27, 0x3fb8aa3b, v26
	v_cmp_ngt_f32_e64 s4, 0xc2ce8ed0, v26
	ds_load_u16_d16_hi v97, v235 offset:8432
	ds_load_u16_d16_hi v101, v235 offset:10352
	;; [unrolled: 1-line block ×9, first 2 shown]
	s_waitcnt lgkmcnt(20)
	ds_load_u16_d16_hi v202, v235 offset:8112
	v_fma_f32 v28, 0x3fb8aa3b, v26, -v27
	v_rndne_f32_e32 v29, v27
	ds_load_u16_d16_hi v215, v235 offset:10864
	ds_load_u16_d16_hi v109, v235 offset:10896
	;; [unrolled: 1-line block ×4, first 2 shown]
	v_dual_fmac_f32 v28, 0x32a5705f, v26 :: v_dual_sub_f32 v27, v27, v29
	s_delay_alu instid0(VALU_DEP_1) | instskip(SKIP_1) | instid1(VALU_DEP_2)
	v_add_f32_e32 v27, v27, v28
	v_cvt_i32_f32_e32 v28, v29
	v_exp_f32_e32 v27, v27
	s_waitcnt_depctr 0xfff
	v_ldexp_f32 v27, v27, v28
	s_delay_alu instid0(VALU_DEP_1) | instskip(SKIP_1) | instid1(VALU_DEP_1)
	v_cndmask_b32_e64 v27, 0, v27, s4
	v_cmp_nlt_f32_e64 s4, 0x42b17218, v26
	v_cndmask_b32_e64 v138, 0x7f800000, v27, s4
	ds_bpermute_b32 v26, v162, v138
	v_cndmask_b32_e64 v24, v24, v138, s2
	v_cndmask_b32_e64 v25, v25, v138, s3
	s_waitcnt lgkmcnt(0)
	s_delay_alu instid0(VALU_DEP_2) | instskip(NEXT) | instid1(VALU_DEP_2)
	v_cndmask_b32_e64 v24, v24, v26, s1
	v_cndmask_b32_e32 v25, v25, v26, vcc_lo
	s_delay_alu instid0(VALU_DEP_2) | instskip(NEXT) | instid1(VALU_DEP_2)
	v_cvt_f16_f32_e32 v26, v24
	v_cvt_f16_f32_e32 v27, v25
	s_delay_alu instid0(VALU_DEP_1) | instskip(SKIP_1) | instid1(VALU_DEP_1)
	v_pack_b32_f16 v125, v26, v27
	v_sub_f32_e32 v26, v153, v161
	v_mul_f32_e32 v27, 0x3fb8aa3b, v26
	v_cmp_ngt_f32_e64 s4, 0xc2ce8ed0, v26
	s_delay_alu instid0(VALU_DEP_2) | instskip(SKIP_1) | instid1(VALU_DEP_1)
	v_fma_f32 v28, 0x3fb8aa3b, v26, -v27
	v_rndne_f32_e32 v29, v27
	v_dual_fmac_f32 v28, 0x32a5705f, v26 :: v_dual_sub_f32 v27, v27, v29
	s_delay_alu instid0(VALU_DEP_1) | instskip(SKIP_1) | instid1(VALU_DEP_2)
	v_add_f32_e32 v27, v27, v28
	v_cvt_i32_f32_e32 v28, v29
	v_exp_f32_e32 v27, v27
	s_waitcnt_depctr 0xfff
	v_ldexp_f32 v27, v27, v28
	s_delay_alu instid0(VALU_DEP_1) | instskip(SKIP_1) | instid1(VALU_DEP_1)
	v_cndmask_b32_e64 v27, 0, v27, s4
	v_cmp_nlt_f32_e64 s4, 0x42b17218, v26
	v_cndmask_b32_e64 v139, 0x7f800000, v27, s4
	ds_bpermute_b32 v26, v162, v139
	v_cndmask_b32_e64 v24, v24, v139, s2
	v_cndmask_b32_e64 v25, v25, v139, s3
	s_waitcnt lgkmcnt(0)
	s_delay_alu instid0(VALU_DEP_2) | instskip(NEXT) | instid1(VALU_DEP_2)
	v_cndmask_b32_e64 v24, v24, v26, s1
	v_cndmask_b32_e32 v25, v25, v26, vcc_lo
	s_delay_alu instid0(VALU_DEP_2) | instskip(NEXT) | instid1(VALU_DEP_2)
	v_cvt_f16_f32_e32 v24, v24
	v_cvt_f16_f32_e32 v25, v25
	s_delay_alu instid0(VALU_DEP_1) | instskip(SKIP_1) | instid1(VALU_DEP_2)
	v_pack_b32_f16 v126, v24, v25
	v_sub_f32_e32 v24, v166, v161
	v_wmma_f32_16x16x16_f16 v[56:63], v[88:95], v[119:126], v[56:63]
	v_wmma_f32_16x16x16_f16 v[48:55], v[96:103], v[119:126], v[48:55]
	;; [unrolled: 1-line block ×3, first 2 shown]
	ds_load_u16 v223, v67 offset:3360
	ds_load_u16 v103, v235 offset:7776
	;; [unrolled: 1-line block ×5, first 2 shown]
	ds_load_u16_d16_hi v110, v235 offset:11376
	scratch_load_b32 v92, off, off offset:252 ; 4-byte Folded Reload
	v_mul_f32_e32 v26, 0x3fb8aa3b, v24
	v_cmp_ngt_f32_e64 s4, 0xc2ce8ed0, v24
	s_waitcnt vmcnt(0)
	ds_load_u16 v91, v92 offset:480
	s_waitcnt lgkmcnt(6)
	ds_load_u16_d16_hi v223, v235 offset:11408
	s_waitcnt lgkmcnt(6)
	ds_load_u16_d16_hi v103, v235 offset:8016
	;; [unrolled: 2-line block ×4, first 2 shown]
	ds_load_u16 v27, v238 offset:1440
	ds_load_u16 v28, v238 offset:1920
	;; [unrolled: 1-line block ×4, first 2 shown]
	ds_load_u16_d16_hi v118, v235 offset:11440
	s_waitcnt lgkmcnt(11)
	ds_load_u16_d16_hi v209, v235 offset:11472
	ds_load_u16 v127, v235 offset:11520
	ds_load_u16 v153, v235 offset:11552
	;; [unrolled: 1-line block ×4, first 2 shown]
	v_fma_f32 v66, 0x3fb8aa3b, v24, -v26
	v_rndne_f32_e32 v67, v26
	ds_load_u16_d16_hi v112, v235 offset:8560
	v_fmac_f32_e32 v66, 0x32a5705f, v24
	v_sub_f32_e32 v26, v26, v67
	v_cvt_i32_f32_e32 v67, v67
	s_waitcnt lgkmcnt(13)
	v_wmma_f32_16x16x16_f16 v[32:39], v[103:110], v[119:126], v[32:39]
	s_waitcnt lgkmcnt(12)
	v_wmma_f32_16x16x16_f16 v[16:23], v[216:223], v[119:126], v[16:23]
	v_add_f32_e32 v26, v26, v66
	v_sub_f32_e32 v66, v165, v161
	s_waitcnt lgkmcnt(5)
	v_wmma_f32_16x16x16_f16 v[0:7], v[202:209], v[119:126], v[0:7]
	s_delay_alu instid0(VALU_DEP_3) | instskip(NEXT) | instid1(VALU_DEP_2)
	v_exp_f32_e32 v26, v26
	v_mul_f32_e32 v68, 0x3fb8aa3b, v66
	v_cmp_ngt_f32_e64 s5, 0xc2ce8ed0, v66
	s_delay_alu instid0(VALU_DEP_2)
	v_fma_f32 v69, 0x3fb8aa3b, v66, -v68
	v_rndne_f32_e32 v70, v68
	s_waitcnt lgkmcnt(0)
	v_wmma_f32_16x16x16_f16 v[8:15], v[111:118], v[119:126], v[8:15]
	s_waitcnt_depctr 0xfff
	v_ldexp_f32 v26, v26, v67
	v_fmac_f32_e32 v69, 0x32a5705f, v66
	v_sub_f32_e32 v68, v68, v70
	s_delay_alu instid0(VALU_DEP_3) | instskip(SKIP_1) | instid1(VALU_DEP_3)
	v_cndmask_b32_e64 v26, 0, v26, s4
	v_cmp_nlt_f32_e64 s4, 0x42b17218, v24
	v_add_f32_e32 v68, v68, v69
	s_delay_alu instid0(VALU_DEP_2) | instskip(NEXT) | instid1(VALU_DEP_2)
	v_cndmask_b32_e64 v107, 0x7f800000, v26, s4
	v_exp_f32_e32 v67, v68
	v_cvt_i32_f32_e32 v68, v70
	s_waitcnt_depctr 0xfff
	v_ldexp_f32 v67, v67, v68
	s_delay_alu instid0(VALU_DEP_1)
	v_cndmask_b32_e64 v24, 0, v67, s5
	v_cmp_nlt_f32_e64 s5, 0x42b17218, v66
	ds_bpermute_b32 v66, v162, v107
	v_cndmask_b32_e64 v106, 0x7f800000, v24, s5
	ds_bpermute_b32 v24, v162, v106
	s_waitcnt lgkmcnt(0)
	v_cndmask_b32_e32 v26, v106, v24, vcc_lo
	v_cndmask_b32_e64 v24, v106, v24, s1
	s_delay_alu instid0(VALU_DEP_2) | instskip(NEXT) | instid1(VALU_DEP_2)
	v_cndmask_b32_e64 v68, v26, v107, s3
	v_cndmask_b32_e64 v67, v24, v107, s2
	v_cvt_f16_f32_e32 v24, v24
	v_cvt_f16_f32_e32 v26, v26
	s_delay_alu instid0(VALU_DEP_3) | instskip(SKIP_1) | instid1(VALU_DEP_3)
	v_cndmask_b32_e64 v67, v67, v66, s1
	v_cndmask_b32_e32 v66, v68, v66, vcc_lo
	v_pack_b32_f16 v98, v24, v26
	v_sub_f32_e32 v24, v164, v161
	s_delay_alu instid0(VALU_DEP_4) | instskip(NEXT) | instid1(VALU_DEP_4)
	v_cvt_f16_f32_e32 v68, v67
	v_cvt_f16_f32_e32 v69, v66
	s_delay_alu instid0(VALU_DEP_3) | instskip(SKIP_1) | instid1(VALU_DEP_3)
	v_mul_f32_e32 v26, 0x3fb8aa3b, v24
	v_cmp_ngt_f32_e64 s4, 0xc2ce8ed0, v24
	v_pack_b32_f16 v99, v68, v69
	s_delay_alu instid0(VALU_DEP_3) | instskip(SKIP_1) | instid1(VALU_DEP_2)
	v_fma_f32 v68, 0x3fb8aa3b, v24, -v26
	v_rndne_f32_e32 v69, v26
	v_fmac_f32_e32 v68, 0x32a5705f, v24
	s_delay_alu instid0(VALU_DEP_2) | instskip(NEXT) | instid1(VALU_DEP_1)
	v_sub_f32_e32 v26, v26, v69
	v_add_f32_e32 v26, v26, v68
	v_cvt_i32_f32_e32 v68, v69
	s_delay_alu instid0(VALU_DEP_2) | instskip(SKIP_2) | instid1(VALU_DEP_1)
	v_exp_f32_e32 v26, v26
	s_waitcnt_depctr 0xfff
	v_ldexp_f32 v26, v26, v68
	v_cndmask_b32_e64 v26, 0, v26, s4
	v_cmp_nlt_f32_e64 s4, 0x42b17218, v24
	s_delay_alu instid0(VALU_DEP_1) | instskip(NEXT) | instid1(VALU_DEP_1)
	v_cndmask_b32_e64 v108, 0x7f800000, v26, s4
	v_cndmask_b32_e64 v26, v66, v108, s3
	ds_bpermute_b32 v66, v162, v108
	v_cndmask_b32_e64 v24, v67, v108, s2
	s_waitcnt lgkmcnt(0)
	s_delay_alu instid0(VALU_DEP_1) | instskip(SKIP_1) | instid1(VALU_DEP_2)
	v_cndmask_b32_e64 v24, v24, v66, s1
	v_cndmask_b32_e32 v26, v26, v66, vcc_lo
	v_cvt_f16_f32_e32 v66, v24
	s_delay_alu instid0(VALU_DEP_2) | instskip(NEXT) | instid1(VALU_DEP_1)
	v_cvt_f16_f32_e32 v67, v26
	v_pack_b32_f16 v100, v66, v67
	v_sub_f32_e32 v66, v159, v161
	s_delay_alu instid0(VALU_DEP_1) | instskip(SKIP_1) | instid1(VALU_DEP_2)
	v_mul_f32_e32 v67, 0x3fb8aa3b, v66
	v_cmp_ngt_f32_e64 s4, 0xc2ce8ed0, v66
	v_fma_f32 v68, 0x3fb8aa3b, v66, -v67
	v_rndne_f32_e32 v69, v67
	s_delay_alu instid0(VALU_DEP_1) | instskip(NEXT) | instid1(VALU_DEP_1)
	v_dual_fmac_f32 v68, 0x32a5705f, v66 :: v_dual_sub_f32 v67, v67, v69
	v_add_f32_e32 v67, v67, v68
	v_cvt_i32_f32_e32 v68, v69
	s_delay_alu instid0(VALU_DEP_2) | instskip(SKIP_2) | instid1(VALU_DEP_1)
	v_exp_f32_e32 v67, v67
	s_waitcnt_depctr 0xfff
	v_ldexp_f32 v67, v67, v68
	v_cndmask_b32_e64 v67, 0, v67, s4
	v_cmp_nlt_f32_e64 s4, 0x42b17218, v66
	s_delay_alu instid0(VALU_DEP_1) | instskip(SKIP_4) | instid1(VALU_DEP_1)
	v_cndmask_b32_e64 v109, 0x7f800000, v67, s4
	ds_bpermute_b32 v66, v162, v109
	v_cndmask_b32_e64 v24, v24, v109, s2
	v_cndmask_b32_e64 v26, v26, v109, s3
	s_waitcnt lgkmcnt(0)
	v_cndmask_b32_e32 v26, v26, v66, vcc_lo
	s_delay_alu instid0(VALU_DEP_3) | instskip(NEXT) | instid1(VALU_DEP_2)
	v_cndmask_b32_e64 v24, v24, v66, s1
	v_cvt_f16_f32_e32 v67, v26
	s_delay_alu instid0(VALU_DEP_2) | instskip(NEXT) | instid1(VALU_DEP_1)
	v_cvt_f16_f32_e32 v66, v24
	v_pack_b32_f16 v101, v66, v67
	v_sub_f32_e32 v66, v158, v161
	s_delay_alu instid0(VALU_DEP_1) | instskip(SKIP_1) | instid1(VALU_DEP_2)
	v_mul_f32_e32 v67, 0x3fb8aa3b, v66
	v_cmp_ngt_f32_e64 s4, 0xc2ce8ed0, v66
	v_fma_f32 v68, 0x3fb8aa3b, v66, -v67
	v_rndne_f32_e32 v69, v67
	s_delay_alu instid0(VALU_DEP_1) | instskip(NEXT) | instid1(VALU_DEP_1)
	v_dual_fmac_f32 v68, 0x32a5705f, v66 :: v_dual_sub_f32 v67, v67, v69
	v_add_f32_e32 v67, v67, v68
	v_cvt_i32_f32_e32 v68, v69
	s_delay_alu instid0(VALU_DEP_2) | instskip(SKIP_2) | instid1(VALU_DEP_1)
	v_exp_f32_e32 v67, v67
	s_waitcnt_depctr 0xfff
	v_ldexp_f32 v67, v67, v68
	v_cndmask_b32_e64 v67, 0, v67, s4
	v_cmp_nlt_f32_e64 s4, 0x42b17218, v66
	s_delay_alu instid0(VALU_DEP_1) | instskip(SKIP_4) | instid1(VALU_DEP_1)
	v_cndmask_b32_e64 v110, 0x7f800000, v67, s4
	ds_bpermute_b32 v66, v162, v110
	v_cndmask_b32_e64 v24, v24, v110, s2
	v_cndmask_b32_e64 v26, v26, v110, s3
	s_waitcnt lgkmcnt(0)
	v_cndmask_b32_e32 v26, v26, v66, vcc_lo
	s_delay_alu instid0(VALU_DEP_3) | instskip(NEXT) | instid1(VALU_DEP_2)
	v_cndmask_b32_e64 v24, v24, v66, s1
	;; [unrolled: 29-line block ×5, first 2 shown]
	v_cvt_f16_f32_e32 v26, v26
	s_delay_alu instid0(VALU_DEP_2) | instskip(NEXT) | instid1(VALU_DEP_1)
	v_cvt_f16_f32_e32 v24, v24
	v_pack_b32_f16 v105, v24, v26
	ds_load_u16 v129, v234 offset:960
	ds_load_u16 v26, v238 offset:960
	;; [unrolled: 1-line block ×22, first 2 shown]
	s_waitcnt lgkmcnt(21)
	ds_load_u16_d16_hi v129, v235 offset:12720
	ds_load_u16_d16_hi v130, v235 offset:13200
	;; [unrolled: 1-line block ×3, first 2 shown]
	ds_load_u16 v157, v232 offset:1920
	ds_load_u16_d16_hi v132, v235 offset:14160
	s_waitcnt lgkmcnt(24)
	ds_load_u16_d16_hi v158, v235 offset:14192
	ds_load_u16_d16_hi v127, v235 offset:11760
	;; [unrolled: 1-line block ×5, first 2 shown]
	s_waitcnt lgkmcnt(28)
	ds_load_u16_d16_hi v159, v235 offset:14672
	s_waitcnt lgkmcnt(24)
	ds_load_u16_d16_hi v89, v235 offset:14704
	ds_load_u16 v70, v252 offset:2880
	ds_load_u16_d16_hi v128, v235 offset:12240
	ds_load_u16_d16_hi v64, v235 offset:11856
	ds_load_u16_d16_hi v134, v235 offset:15120
	ds_load_u16_d16_hi v160, v235 offset:15152
	ds_load_u16_d16_hi v90, v235 offset:15184
	ds_load_u16_d16_hi v71, v235 offset:15216
	ds_load_u16_d16_hi v156, v235 offset:13232
	s_waitcnt lgkmcnt(31)
	ds_load_u16_d16_hi v86, v235 offset:13264
	s_waitcnt lgkmcnt(30)
	ds_load_u16_d16_hi v67, v235 offset:13296
	;; [unrolled: 2-line block ×4, first 2 shown]
	ds_load_u16 v24, v235 offset:11712
	ds_load_u16_d16_hi v155, v235 offset:12752
	ds_load_u16_d16_hi v85, v235 offset:12784
	;; [unrolled: 1-line block ×4, first 2 shown]
	s_waitcnt lgkmcnt(29)
	ds_load_u16_d16_hi v147, v235 offset:12880
	ds_load_u16_d16_hi v26, v235 offset:12912
	;; [unrolled: 1-line block ×7, first 2 shown]
	ds_load_u16 v68, v252 offset:1920
	ds_load_u16 v149, v251 offset:1920
	ds_load_u16_d16_hi v154, v235 offset:12272
	s_waitcnt lgkmcnt(35)
	ds_load_u16_d16_hi v157, v235 offset:13712
	ds_load_u16 v69, v252 offset:2400
	ds_load_u16 v150, v251 offset:2400
	;; [unrolled: 1-line block ×3, first 2 shown]
	ds_load_u16_d16_hi v87, v235 offset:13744
	s_waitcnt lgkmcnt(7)
	ds_load_u16_d16_hi v68, v235 offset:13776
	ds_load_u16_d16_hi v94, v235 offset:13808
	s_waitcnt lgkmcnt(8)
	ds_load_u16_d16_hi v149, v235 offset:13840
	ds_load_u16_d16_hi v84, v235 offset:12304
	;; [unrolled: 1-line block ×7, first 2 shown]
	s_waitcnt lgkmcnt(12)
	ds_load_u16_d16_hi v69, v235 offset:14256
	ds_load_u16_d16_hi v95, v235 offset:14288
	s_waitcnt lgkmcnt(13)
	ds_load_u16_d16_hi v150, v235 offset:14320
	ds_load_u16_d16_hi v70, v235 offset:14736
	;; [unrolled: 1-line block ×3, first 2 shown]
	s_waitcnt lgkmcnt(15)
	ds_load_u16_d16_hi v151, v235 offset:14800
	v_wmma_f32_16x16x16_f16 v[56:63], v[127:134], v[98:105], v[56:63]
	v_wmma_f32_16x16x16_f16 v[48:55], v[153:160], v[98:105], v[48:55]
	s_waitcnt lgkmcnt(7)
	v_wmma_f32_16x16x16_f16 v[0:7], v[24:31], v[98:105], v[0:7]
	v_add_f32_e32 v24, v168, v169
	s_waitcnt lgkmcnt(6)
	v_wmma_f32_16x16x16_f16 v[40:47], v[83:90], v[98:105], v[40:47]
	ds_load_u16 v90, v235 offset:11648
	ds_load_u16 v145, v235 offset:11680
	s_waitcnt lgkmcnt(1)
	ds_load_u16_d16_hi v90, v235 offset:11888
	s_waitcnt lgkmcnt(1)
	ds_load_u16_d16_hi v145, v235 offset:11920
	ds_load_u16_d16_hi v97, v235 offset:15248
	;; [unrolled: 1-line block ×3, first 2 shown]
	v_add_f32_e32 v24, v172, v24
	v_wmma_f32_16x16x16_f16 v[32:39], v[64:71], v[98:105], v[32:39]
	s_waitcnt lgkmcnt(0)
	s_barrier
	buffer_gl0_inv
	v_add_f32_e32 v24, v174, v24
	s_delay_alu instid0(VALU_DEP_1) | instskip(NEXT) | instid1(VALU_DEP_1)
	v_add_f32_e32 v24, v175, v24
	v_add_f32_e32 v24, v178, v24
	v_wmma_f32_16x16x16_f16 v[16:23], v[90:97], v[98:105], v[16:23]
	v_wmma_f32_16x16x16_f16 v[8:15], v[145:152], v[98:105], v[8:15]
	s_delay_alu instid0(VALU_DEP_3) | instskip(NEXT) | instid1(VALU_DEP_1)
	v_add_f32_e32 v24, v179, v24
	v_add_f32_e32 v24, v180, v24
	s_delay_alu instid0(VALU_DEP_1) | instskip(NEXT) | instid1(VALU_DEP_1)
	v_add_f32_e32 v24, v72, v24
	v_add_f32_e32 v24, v73, v24
	s_delay_alu instid0(VALU_DEP_1) | instskip(NEXT) | instid1(VALU_DEP_1)
	;; [unrolled: 3-line block ×12, first 2 shown]
	v_add_f32_e32 v24, v112, v24
	v_add_f32_e32 v24, v113, v24
	s_delay_alu instid0(VALU_DEP_1)
	v_fmac_f32_e32 v24, v230, v163
	ds_bpermute_b32 v25, v162, v24
	s_waitcnt lgkmcnt(0)
	v_add_f32_e32 v24, v24, v25
	s_cbranch_scc1 .LBB19_399
; %bb.398:                              ;   in Loop: Header=BB19_15 Depth=1
	scratch_load_b32 v25, off, off offset:1184 ; 4-byte Folded Reload
	v_max_f32_e32 v26, v161, v161
	s_waitcnt vmcnt(0)
	v_lshlrev_b32_e32 v25, 2, v25
	global_load_b32 v25, v25, s[72:73]
	s_waitcnt vmcnt(0)
	v_max_f32_e32 v27, v25, v25
	s_delay_alu instid0(VALU_DEP_1) | instskip(NEXT) | instid1(VALU_DEP_1)
	v_max_f32_e32 v26, v26, v27
	v_sub_f32_e32 v27, v161, v26
	v_sub_f32_e32 v25, v25, v26
	s_delay_alu instid0(VALU_DEP_2) | instskip(NEXT) | instid1(VALU_DEP_1)
	v_dual_mov_b32 v161, v26 :: v_dual_mul_f32 v28, 0x3fb8aa3b, v27
	v_fma_f32 v29, 0x3fb8aa3b, v27, -v28
	v_rndne_f32_e32 v30, v28
	s_delay_alu instid0(VALU_DEP_1) | instskip(SKIP_1) | instid1(VALU_DEP_2)
	v_dual_fmac_f32 v29, 0x32a5705f, v27 :: v_dual_sub_f32 v28, v28, v30
	v_cvt_i32_f32_e32 v30, v30
	v_add_f32_e32 v28, v28, v29
	v_cmp_ngt_f32_e32 vcc_lo, 0xc2ce8ed0, v27
	s_delay_alu instid0(VALU_DEP_2) | instskip(SKIP_2) | instid1(VALU_DEP_1)
	v_exp_f32_e32 v28, v28
	s_waitcnt_depctr 0xfff
	v_ldexp_f32 v28, v28, v30
	v_dual_mul_f32 v31, 0x3fb8aa3b, v25 :: v_dual_cndmask_b32 v28, 0, v28
	s_delay_alu instid0(VALU_DEP_1) | instskip(SKIP_2) | instid1(VALU_DEP_2)
	v_fma_f32 v64, 0x3fb8aa3b, v25, -v31
	v_rndne_f32_e32 v65, v31
	v_cmp_nlt_f32_e32 vcc_lo, 0x42b17218, v27
	v_dual_sub_f32 v29, v31, v65 :: v_dual_cndmask_b32 v28, 0x7f800000, v28
	s_delay_alu instid0(VALU_DEP_4) | instskip(SKIP_2) | instid1(VALU_DEP_3)
	v_fmac_f32_e32 v64, 0x32a5705f, v25
	v_cvt_i32_f32_e32 v30, v65
	v_cmp_ngt_f32_e32 vcc_lo, 0xc2ce8ed0, v25
	v_add_f32_e32 v29, v29, v64
	s_delay_alu instid0(VALU_DEP_1) | instskip(SKIP_2) | instid1(VALU_DEP_1)
	v_exp_f32_e32 v29, v29
	s_waitcnt_depctr 0xfff
	v_ldexp_f32 v29, v29, v30
	v_cndmask_b32_e32 v29, 0, v29, vcc_lo
	v_cmp_le_f32_e32 vcc_lo, 0xc1a00000, v27
	v_cndmask_b32_e32 v27, 0, v28, vcc_lo
	v_cmp_nlt_f32_e32 vcc_lo, 0x42b17218, v25
	s_delay_alu instid0(VALU_DEP_2)
	v_dual_mul_f32 v58, v58, v27 :: v_dual_cndmask_b32 v25, 0x7f800000, v29
	v_mul_f32_e32 v60, v60, v27
	v_mul_f32_e32 v56, v56, v27
	;; [unrolled: 1-line block ×4, first 2 shown]
	v_fmac_f32_e32 v25, v24, v27
	v_mul_f32_e32 v59, v59, v27
	v_mul_f32_e32 v62, v62, v27
	;; [unrolled: 1-line block ×50, first 2 shown]
	v_dual_mul_f32 v7, v7, v27 :: v_dual_mov_b32 v24, v25
.LBB19_399:                             ;   in Loop: Header=BB19_15 Depth=1
	s_clause 0x4
	scratch_load_b32 v65, off, off offset:992
	scratch_load_b32 v82, off, off offset:1064
	scratch_load_b64 v[83:84], off, off offset:1080
	scratch_load_b32 v90, off, off offset:736
	scratch_load_b32 v96, off, off offset:740
	v_mov_b32_e32 v230, v243
	s_mov_b32 s1, exec_lo
	s_clause 0x1f
	scratch_load_b32 v168, off, off offset:212
	scratch_load_b32 v169, off, off offset:220
	;; [unrolled: 1-line block ×16, first 2 shown]
	scratch_load_b32 v173, off, off
	scratch_load_b32 v103, off, off offset:732
	scratch_load_b32 v99, off, off offset:8
	;; [unrolled: 1-line block ×5, first 2 shown]
	scratch_load_b64 v[178:179], off, off offset:464
	scratch_load_b64 v[182:183], off, off offset:472
	;; [unrolled: 1-line block ×10, first 2 shown]
	s_clause 0xd
	scratch_load_b64 v[72:73], off, off offset:544
	scratch_load_b64 v[74:75], off, off offset:552
	;; [unrolled: 1-line block ×4, first 2 shown]
	scratch_load_b32 v175, off, off offset:576
	scratch_load_b32 v180, off, off offset:580
	;; [unrolled: 1-line block ×7, first 2 shown]
	scratch_load_b64 v[84:85], off, off offset:1092
	scratch_load_b64 v[25:26], off, off offset:912
	;; [unrolled: 1-line block ×3, first 2 shown]
	v_readlane_b32 s2, v254, 20
	v_dual_mov_b32 v80, 0 :: v_dual_mov_b32 v217, v241
	v_dual_mov_b32 v216, v239 :: v_dual_mov_b32 v239, v226
	v_mov_b32_e32 v218, v244
	v_mov_b32_e32 v238, v240
	v_dual_mov_b32 v240, v242 :: v_dual_mov_b32 v241, v248
	v_dual_mov_b32 v242, v246 :: v_dual_mov_b32 v219, v224
	;; [unrolled: 1-line block ×3, first 2 shown]
	v_mov_b32_e32 v220, v229
	s_and_b32 s2, s1, s2
	s_waitcnt vmcnt(1)
	v_mov_b32_e32 v236, v25
	s_mov_b32 exec_lo, s2
	s_cbranch_execz .LBB19_401
; %bb.400:                              ;   in Loop: Header=BB19_15 Depth=1
	scratch_load_b32 v25, off, off offset:1392 ; 4-byte Folded Reload
	s_waitcnt vmcnt(0)
	ds_store_2addr_b32 v25, v161, v24 offset0:56 offset1:57
.LBB19_401:                             ;   in Loop: Header=BB19_15 Depth=1
	s_or_b32 exec_lo, exec_lo, s1
	v_cvt_f16_f32_e32 v24, v56
	s_waitcnt vmcnt(0) lgkmcnt(0)
	s_barrier
	buffer_gl0_inv
	scratch_load_b32 v56, off, off offset:1040 ; 4-byte Folded Reload
	v_cvt_f16_f32_e32 v25, v57
	v_cvt_f16_f32_e32 v26, v58
	;; [unrolled: 1-line block ×30, first 2 shown]
	s_waitcnt vmcnt(0)
	ds_store_b16 v56, v24
	ds_store_b16 v56, v25 offset:4
	ds_store_b16 v56, v26 offset:8
	ds_store_b16 v56, v27 offset:12
	ds_store_b16 v56, v28 offset:16
	ds_store_b16 v56, v29 offset:20
	ds_store_b16 v56, v30 offset:24
	ds_store_b16 v56, v31 offset:28
	v_cvt_f16_f32_e32 v24, v48
	v_cvt_f16_f32_e32 v25, v49
	v_cvt_f16_f32_e32 v26, v50
	v_cvt_f16_f32_e32 v27, v51
	v_cvt_f16_f32_e32 v28, v52
	v_cvt_f16_f32_e32 v29, v53
	v_cvt_f16_f32_e32 v30, v54
	v_cvt_f16_f32_e32 v31, v55
	ds_store_b16 v56, v24 offset:32
	ds_store_b16 v56, v25 offset:36
	ds_store_b16 v56, v26 offset:40
	ds_store_b16 v56, v27 offset:44
	ds_store_b16 v56, v28 offset:48
	ds_store_b16 v56, v29 offset:52
	ds_store_b16 v56, v30 offset:56
	ds_store_b16 v56, v31 offset:60
	v_cvt_f16_f32_e32 v24, v40
	v_cvt_f16_f32_e32 v25, v41
	v_cvt_f16_f32_e32 v26, v42
	v_cvt_f16_f32_e32 v27, v43
	v_cvt_f16_f32_e32 v28, v44
	v_cvt_f16_f32_e32 v29, v45
	v_cvt_f16_f32_e32 v30, v46
	v_cvt_f16_f32_e32 v31, v47
	ds_store_b16 v56, v24 offset:64
	;; [unrolled: 16-line block ×3, first 2 shown]
	ds_store_b16 v56, v25 offset:100
	ds_store_b16 v56, v26 offset:104
	ds_store_b16 v56, v27 offset:108
	ds_store_b16 v56, v28 offset:112
	ds_store_b16 v56, v29 offset:116
	ds_store_b16 v56, v30 offset:120
	ds_store_b16 v56, v31 offset:124
	ds_store_b16 v56, v16 offset:128
	ds_store_b16 v56, v17 offset:132
	ds_store_b16 v56, v18 offset:136
	ds_store_b16 v56, v19 offset:140
	ds_store_b16 v56, v20 offset:144
	ds_store_b16 v56, v21 offset:148
	ds_store_b16 v56, v22 offset:152
	ds_store_b16 v56, v23 offset:156
	ds_store_b16 v56, v8 offset:160
	ds_store_b16 v56, v9 offset:164
	ds_store_b16 v56, v10 offset:168
	ds_store_b16 v56, v11 offset:172
	ds_store_b16 v56, v12 offset:176
	ds_store_b16 v56, v13 offset:180
	ds_store_b16 v56, v14 offset:184
	ds_store_b16 v56, v15 offset:188
	v_cvt_f16_f32_e32 v8, v0
	v_mov_b32_e32 v0, 50
	ds_store_b16 v56, v8 offset:192
	ds_store_b16 v56, v1 offset:196
	;; [unrolled: 1-line block ×8, first 2 shown]
	s_waitcnt lgkmcnt(0)
	s_barrier
	buffer_gl0_inv
	s_mov_b32 s2, exec_lo
	s_clause 0x3
	scratch_load_b64 v[16:17], off, off offset:1136
	scratch_load_b64 v[17:18], off, off offset:1144
	;; [unrolled: 1-line block ×3, first 2 shown]
	scratch_load_b32 v243, off, off offset:1164
	s_and_b32 s1, s2, s94
	s_delay_alu instid0(SALU_CYCLE_1)
	s_mov_b32 exec_lo, s1
	s_cbranch_execz .LBB19_403
; %bb.402:                              ;   in Loop: Header=BB19_15 Depth=1
	s_clause 0x2
	scratch_load_b32 v0, off, off offset:932
	scratch_load_b32 v2, off, off offset:964
	;; [unrolled: 1-line block ×3, first 2 shown]
	s_waitcnt vmcnt(2)
	ds_load_b32 v0, v0
	s_waitcnt vmcnt(0)
	ds_load_b32 v3, v1 offset:228
	s_waitcnt lgkmcnt(1)
	v_lshrrev_b32_e32 v1, 16, v0
	v_cvt_f32_f16_e32 v0, v0
	s_delay_alu instid0(VALU_DEP_2) | instskip(NEXT) | instid1(VALU_DEP_1)
	v_cvt_f32_f16_e32 v1, v1
	v_dual_add_f32 v4, 0, v0 :: v_dual_add_f32 v5, 0, v1
	s_waitcnt lgkmcnt(0)
	s_delay_alu instid0(VALU_DEP_1) | instskip(SKIP_1) | instid1(VALU_DEP_3)
	v_div_scale_f32 v6, null, v3, v3, v4
	v_div_scale_f32 v10, vcc_lo, v4, v3, v4
	v_div_scale_f32 v7, null, v3, v3, v5
	s_delay_alu instid0(VALU_DEP_3) | instskip(SKIP_1) | instid1(VALU_DEP_2)
	v_rcp_f32_e32 v8, v6
	v_div_scale_f32 v11, s1, v5, v3, v5
	v_rcp_f32_e32 v9, v7
	s_waitcnt_depctr 0xfff
	v_fma_f32 v0, -v6, v8, 1.0
	v_fma_f32 v1, -v7, v9, 1.0
	s_delay_alu instid0(VALU_DEP_1) | instskip(SKIP_1) | instid1(VALU_DEP_2)
	v_dual_fmac_f32 v8, v0, v8 :: v_dual_fmac_f32 v9, v1, v9
	v_mad_u64_u32 v[0:1], null, v2, s9, v[86:87]
	v_dual_mul_f32 v12, v10, v8 :: v_dual_mul_f32 v13, v11, v9
	s_delay_alu instid0(VALU_DEP_1) | instskip(NEXT) | instid1(VALU_DEP_3)
	v_fma_f32 v14, -v6, v12, v10
	v_mad_u64_u32 v[1:2], null, v0, 56, v[236:237]
	s_delay_alu instid0(VALU_DEP_3) | instskip(NEXT) | instid1(VALU_DEP_1)
	v_fma_f32 v15, -v7, v13, v11
	v_dual_fmac_f32 v12, v14, v8 :: v_dual_fmac_f32 v13, v15, v9
	s_delay_alu instid0(VALU_DEP_3) | instskip(NEXT) | instid1(VALU_DEP_2)
	v_ashrrev_i32_e32 v2, 31, v1
	v_fma_f32 v0, -v6, v12, v10
	s_delay_alu instid0(VALU_DEP_3) | instskip(NEXT) | instid1(VALU_DEP_2)
	v_fma_f32 v6, -v7, v13, v11
	v_div_fmas_f32 v7, v0, v8, v12
	s_delay_alu instid0(VALU_DEP_4) | instskip(SKIP_1) | instid1(VALU_DEP_3)
	v_lshlrev_b64 v[0:1], 3, v[1:2]
	s_mov_b32 vcc_lo, s1
	v_div_fmas_f32 v6, v6, v9, v13
	s_delay_alu instid0(VALU_DEP_3) | instskip(NEXT) | instid1(VALU_DEP_3)
	v_div_fixup_f32 v2, v7, v3, v4
	v_add_co_u32 v4, vcc_lo, s35, v0
	s_delay_alu instid0(VALU_DEP_3)
	v_div_fixup_f32 v3, v6, v3, v5
	v_add_co_ci_u32_e32 v5, vcc_lo, s67, v1, vcc_lo
	v_mov_b32_e32 v0, 0
	global_store_b64 v[4:5], v[2:3], off
.LBB19_403:                             ;   in Loop: Header=BB19_15 Depth=1
	s_or_b32 exec_lo, exec_lo, s2
	s_mov_b32 s1, -1
	s_mov_b32 s2, exec_lo
	v_cmpx_gt_i32_e32 50, v0
; %bb.404:                              ;   in Loop: Header=BB19_15 Depth=1
	v_cmp_eq_u32_e32 vcc_lo, 0, v0
	s_or_not1_b32 s1, vcc_lo, exec_lo
; %bb.405:                              ;   in Loop: Header=BB19_15 Depth=1
	s_or_b32 exec_lo, exec_lo, s2
	s_and_saveexec_b32 s2, s1
	s_cbranch_execz .LBB19_478
; %bb.406:                              ;   in Loop: Header=BB19_15 Depth=1
	v_mov_b32_e32 v0, 50
	s_and_saveexec_b32 s3, s6
	s_cbranch_execz .LBB19_408
; %bb.407:                              ;   in Loop: Header=BB19_15 Depth=1
	s_clause 0x2
	scratch_load_b32 v0, off, off offset:948
	scratch_load_b32 v2, off, off offset:1172
	;; [unrolled: 1-line block ×3, first 2 shown]
	s_waitcnt vmcnt(2)
	ds_load_b32 v0, v0
	s_waitcnt vmcnt(0)
	ds_load_b32 v3, v1 offset:1188
	s_waitcnt lgkmcnt(1)
	v_lshrrev_b32_e32 v1, 16, v0
	v_cvt_f32_f16_e32 v0, v0
	s_delay_alu instid0(VALU_DEP_2) | instskip(NEXT) | instid1(VALU_DEP_1)
	v_cvt_f32_f16_e32 v1, v1
	v_dual_add_f32 v4, 0, v0 :: v_dual_add_f32 v5, 0, v1
	s_waitcnt lgkmcnt(0)
	s_delay_alu instid0(VALU_DEP_1) | instskip(SKIP_1) | instid1(VALU_DEP_3)
	v_div_scale_f32 v6, null, v3, v3, v4
	v_div_scale_f32 v10, vcc_lo, v4, v3, v4
	v_div_scale_f32 v7, null, v3, v3, v5
	s_delay_alu instid0(VALU_DEP_3) | instskip(SKIP_1) | instid1(VALU_DEP_2)
	v_rcp_f32_e32 v8, v6
	v_div_scale_f32 v11, s1, v5, v3, v5
	v_rcp_f32_e32 v9, v7
	s_waitcnt_depctr 0xfff
	v_fma_f32 v0, -v6, v8, 1.0
	v_fma_f32 v1, -v7, v9, 1.0
	s_delay_alu instid0(VALU_DEP_1) | instskip(SKIP_1) | instid1(VALU_DEP_2)
	v_dual_fmac_f32 v8, v0, v8 :: v_dual_fmac_f32 v9, v1, v9
	v_mad_u64_u32 v[0:1], null, v2, s9, v[86:87]
	v_dual_mul_f32 v12, v10, v8 :: v_dual_mul_f32 v13, v11, v9
	s_delay_alu instid0(VALU_DEP_1) | instskip(NEXT) | instid1(VALU_DEP_3)
	v_fma_f32 v14, -v6, v12, v10
	v_mad_u64_u32 v[1:2], null, v0, 56, v[236:237]
	s_delay_alu instid0(VALU_DEP_3) | instskip(NEXT) | instid1(VALU_DEP_1)
	v_fma_f32 v15, -v7, v13, v11
	v_dual_fmac_f32 v12, v14, v8 :: v_dual_fmac_f32 v13, v15, v9
	s_delay_alu instid0(VALU_DEP_3) | instskip(NEXT) | instid1(VALU_DEP_2)
	v_ashrrev_i32_e32 v2, 31, v1
	v_fma_f32 v0, -v6, v12, v10
	s_delay_alu instid0(VALU_DEP_3) | instskip(NEXT) | instid1(VALU_DEP_2)
	v_fma_f32 v6, -v7, v13, v11
	v_div_fmas_f32 v7, v0, v8, v12
	s_delay_alu instid0(VALU_DEP_4) | instskip(SKIP_1) | instid1(VALU_DEP_3)
	v_lshlrev_b64 v[0:1], 3, v[1:2]
	s_mov_b32 vcc_lo, s1
	v_div_fmas_f32 v6, v6, v9, v13
	s_delay_alu instid0(VALU_DEP_3) | instskip(NEXT) | instid1(VALU_DEP_3)
	v_div_fixup_f32 v2, v7, v3, v4
	v_add_co_u32 v4, vcc_lo, s35, v0
	s_delay_alu instid0(VALU_DEP_3)
	v_div_fixup_f32 v3, v6, v3, v5
	v_add_co_ci_u32_e32 v5, vcc_lo, s67, v1, vcc_lo
	v_mov_b32_e32 v0, 0
	global_store_b64 v[4:5], v[2:3], off
.LBB19_408:                             ;   in Loop: Header=BB19_15 Depth=1
	s_or_b32 exec_lo, exec_lo, s3
	s_mov_b32 s1, -1
	s_mov_b32 s3, exec_lo
	v_cmpx_gt_i32_e32 50, v0
; %bb.409:                              ;   in Loop: Header=BB19_15 Depth=1
	v_cmp_eq_u32_e32 vcc_lo, 0, v0
	s_or_not1_b32 s1, vcc_lo, exec_lo
; %bb.410:                              ;   in Loop: Header=BB19_15 Depth=1
	s_or_b32 exec_lo, exec_lo, s3
	s_delay_alu instid0(SALU_CYCLE_1)
	s_and_b32 exec_lo, exec_lo, s1
	s_cbranch_execz .LBB19_478
; %bb.411:                              ;   in Loop: Header=BB19_15 Depth=1
	v_mov_b32_e32 v0, 50
	s_and_saveexec_b32 s3, s88
	s_cbranch_execz .LBB19_413
; %bb.412:                              ;   in Loop: Header=BB19_15 Depth=1
	s_clause 0x2
	scratch_load_b32 v0, off, off offset:952
	scratch_load_b32 v2, off, off offset:1188
	;; [unrolled: 1-line block ×3, first 2 shown]
	s_waitcnt vmcnt(2)
	ds_load_b32 v0, v0
	s_waitcnt vmcnt(0)
	ds_load_b32 v3, v1 offset:2148
	s_waitcnt lgkmcnt(1)
	v_lshrrev_b32_e32 v1, 16, v0
	v_cvt_f32_f16_e32 v0, v0
	s_delay_alu instid0(VALU_DEP_2) | instskip(NEXT) | instid1(VALU_DEP_1)
	v_cvt_f32_f16_e32 v1, v1
	v_dual_add_f32 v4, 0, v0 :: v_dual_add_f32 v5, 0, v1
	s_waitcnt lgkmcnt(0)
	s_delay_alu instid0(VALU_DEP_1) | instskip(SKIP_1) | instid1(VALU_DEP_3)
	v_div_scale_f32 v6, null, v3, v3, v4
	v_div_scale_f32 v10, vcc_lo, v4, v3, v4
	v_div_scale_f32 v7, null, v3, v3, v5
	s_delay_alu instid0(VALU_DEP_3) | instskip(SKIP_1) | instid1(VALU_DEP_2)
	v_rcp_f32_e32 v8, v6
	v_div_scale_f32 v11, s1, v5, v3, v5
	v_rcp_f32_e32 v9, v7
	s_waitcnt_depctr 0xfff
	v_fma_f32 v0, -v6, v8, 1.0
	v_fma_f32 v1, -v7, v9, 1.0
	s_delay_alu instid0(VALU_DEP_1) | instskip(SKIP_1) | instid1(VALU_DEP_2)
	v_dual_fmac_f32 v8, v0, v8 :: v_dual_fmac_f32 v9, v1, v9
	v_mad_u64_u32 v[0:1], null, v2, s9, v[86:87]
	v_dual_mul_f32 v12, v10, v8 :: v_dual_mul_f32 v13, v11, v9
	s_delay_alu instid0(VALU_DEP_1) | instskip(NEXT) | instid1(VALU_DEP_3)
	v_fma_f32 v14, -v6, v12, v10
	v_mad_u64_u32 v[1:2], null, v0, 56, v[236:237]
	s_delay_alu instid0(VALU_DEP_3) | instskip(NEXT) | instid1(VALU_DEP_1)
	v_fma_f32 v15, -v7, v13, v11
	v_dual_fmac_f32 v12, v14, v8 :: v_dual_fmac_f32 v13, v15, v9
	s_delay_alu instid0(VALU_DEP_3) | instskip(NEXT) | instid1(VALU_DEP_2)
	v_ashrrev_i32_e32 v2, 31, v1
	v_fma_f32 v0, -v6, v12, v10
	s_delay_alu instid0(VALU_DEP_3) | instskip(NEXT) | instid1(VALU_DEP_2)
	v_fma_f32 v6, -v7, v13, v11
	v_div_fmas_f32 v7, v0, v8, v12
	s_delay_alu instid0(VALU_DEP_4) | instskip(SKIP_1) | instid1(VALU_DEP_3)
	v_lshlrev_b64 v[0:1], 3, v[1:2]
	s_mov_b32 vcc_lo, s1
	v_div_fmas_f32 v6, v6, v9, v13
	s_delay_alu instid0(VALU_DEP_3) | instskip(NEXT) | instid1(VALU_DEP_3)
	v_div_fixup_f32 v2, v7, v3, v4
	v_add_co_u32 v4, vcc_lo, s35, v0
	s_delay_alu instid0(VALU_DEP_3)
	v_div_fixup_f32 v3, v6, v3, v5
	v_add_co_ci_u32_e32 v5, vcc_lo, s67, v1, vcc_lo
	v_mov_b32_e32 v0, 0
	global_store_b64 v[4:5], v[2:3], off
.LBB19_413:                             ;   in Loop: Header=BB19_15 Depth=1
	s_or_b32 exec_lo, exec_lo, s3
	s_mov_b32 s1, -1
	s_mov_b32 s3, exec_lo
	v_cmpx_gt_i32_e32 50, v0
; %bb.414:                              ;   in Loop: Header=BB19_15 Depth=1
	v_cmp_eq_u32_e32 vcc_lo, 0, v0
	s_or_not1_b32 s1, vcc_lo, exec_lo
; %bb.415:                              ;   in Loop: Header=BB19_15 Depth=1
	s_or_b32 exec_lo, exec_lo, s3
	s_delay_alu instid0(SALU_CYCLE_1)
	s_and_b32 exec_lo, exec_lo, s1
	s_cbranch_execz .LBB19_478
; %bb.416:                              ;   in Loop: Header=BB19_15 Depth=1
	v_mov_b32_e32 v0, 50
	s_and_saveexec_b32 s3, s61
	s_cbranch_execz .LBB19_418
; %bb.417:                              ;   in Loop: Header=BB19_15 Depth=1
	s_clause 0x1
	scratch_load_b32 v1, off, off offset:1284
	scratch_load_b32 v2, off, off offset:1196
	ds_load_b32 v0, v82
	s_waitcnt vmcnt(1)
	ds_load_b32 v3, v1 offset:3108
	s_waitcnt lgkmcnt(1)
	v_lshrrev_b32_e32 v1, 16, v0
	v_cvt_f32_f16_e32 v0, v0
	s_delay_alu instid0(VALU_DEP_2) | instskip(NEXT) | instid1(VALU_DEP_1)
	v_cvt_f32_f16_e32 v1, v1
	v_dual_add_f32 v4, 0, v0 :: v_dual_add_f32 v5, 0, v1
	s_waitcnt lgkmcnt(0)
	s_delay_alu instid0(VALU_DEP_1) | instskip(NEXT) | instid1(VALU_DEP_2)
	v_div_scale_f32 v6, null, v3, v3, v4
	v_div_scale_f32 v7, null, v3, v3, v5
	v_div_scale_f32 v10, vcc_lo, v4, v3, v4
	s_delay_alu instid0(VALU_DEP_3) | instskip(NEXT) | instid1(VALU_DEP_2)
	v_rcp_f32_e32 v8, v6
	v_rcp_f32_e32 v9, v7
	v_div_scale_f32 v11, s1, v5, v3, v5
	s_waitcnt_depctr 0xfff
	v_fma_f32 v0, -v6, v8, 1.0
	v_fma_f32 v1, -v7, v9, 1.0
	s_delay_alu instid0(VALU_DEP_1) | instskip(SKIP_2) | instid1(VALU_DEP_2)
	v_dual_fmac_f32 v8, v0, v8 :: v_dual_fmac_f32 v9, v1, v9
	s_waitcnt vmcnt(0)
	v_mad_u64_u32 v[0:1], null, v2, s9, v[86:87]
	v_dual_mul_f32 v12, v10, v8 :: v_dual_mul_f32 v13, v11, v9
	s_delay_alu instid0(VALU_DEP_2) | instskip(NEXT) | instid1(VALU_DEP_2)
	v_mad_u64_u32 v[1:2], null, v0, 56, v[236:237]
	v_fma_f32 v14, -v6, v12, v10
	s_delay_alu instid0(VALU_DEP_3) | instskip(NEXT) | instid1(VALU_DEP_1)
	v_fma_f32 v15, -v7, v13, v11
	v_dual_fmac_f32 v12, v14, v8 :: v_dual_fmac_f32 v13, v15, v9
	s_delay_alu instid0(VALU_DEP_4) | instskip(NEXT) | instid1(VALU_DEP_2)
	v_ashrrev_i32_e32 v2, 31, v1
	v_fma_f32 v0, -v6, v12, v10
	s_delay_alu instid0(VALU_DEP_3) | instskip(NEXT) | instid1(VALU_DEP_2)
	v_fma_f32 v6, -v7, v13, v11
	v_div_fmas_f32 v7, v0, v8, v12
	s_delay_alu instid0(VALU_DEP_4) | instskip(SKIP_1) | instid1(VALU_DEP_3)
	v_lshlrev_b64 v[0:1], 3, v[1:2]
	s_mov_b32 vcc_lo, s1
	v_div_fmas_f32 v6, v6, v9, v13
	s_delay_alu instid0(VALU_DEP_3) | instskip(NEXT) | instid1(VALU_DEP_3)
	v_div_fixup_f32 v2, v7, v3, v4
	v_add_co_u32 v4, vcc_lo, s35, v0
	s_delay_alu instid0(VALU_DEP_3)
	v_div_fixup_f32 v3, v6, v3, v5
	v_add_co_ci_u32_e32 v5, vcc_lo, s67, v1, vcc_lo
	v_mov_b32_e32 v0, 0
	global_store_b64 v[4:5], v[2:3], off
.LBB19_418:                             ;   in Loop: Header=BB19_15 Depth=1
	s_or_b32 exec_lo, exec_lo, s3
	s_mov_b32 s1, -1
	s_mov_b32 s3, exec_lo
	v_cmpx_gt_i32_e32 50, v0
; %bb.419:                              ;   in Loop: Header=BB19_15 Depth=1
	v_cmp_eq_u32_e32 vcc_lo, 0, v0
	s_or_not1_b32 s1, vcc_lo, exec_lo
; %bb.420:                              ;   in Loop: Header=BB19_15 Depth=1
	s_or_b32 exec_lo, exec_lo, s3
	s_delay_alu instid0(SALU_CYCLE_1)
	s_and_b32 exec_lo, exec_lo, s1
	s_cbranch_execz .LBB19_478
; %bb.421:                              ;   in Loop: Header=BB19_15 Depth=1
	v_mov_b32_e32 v0, 50
	s_and_saveexec_b32 s3, s54
	s_cbranch_execz .LBB19_423
; %bb.422:                              ;   in Loop: Header=BB19_15 Depth=1
	s_clause 0x2
	scratch_load_b32 v0, off, off offset:1508
	scratch_load_b32 v1, off, off offset:1516
	scratch_load_b32 v2, off, off offset:1204
	s_waitcnt vmcnt(2)
	ds_load_b32 v0, v0
	s_waitcnt vmcnt(1)
	ds_load_b32 v3, v1 offset:228
	s_waitcnt lgkmcnt(1)
	v_lshrrev_b32_e32 v1, 16, v0
	v_cvt_f32_f16_e32 v0, v0
	s_delay_alu instid0(VALU_DEP_2) | instskip(NEXT) | instid1(VALU_DEP_1)
	v_cvt_f32_f16_e32 v1, v1
	v_dual_add_f32 v4, 0, v0 :: v_dual_add_f32 v5, 0, v1
	s_waitcnt lgkmcnt(0)
	s_delay_alu instid0(VALU_DEP_1) | instskip(SKIP_1) | instid1(VALU_DEP_3)
	v_div_scale_f32 v6, null, v3, v3, v4
	v_div_scale_f32 v10, vcc_lo, v4, v3, v4
	v_div_scale_f32 v7, null, v3, v3, v5
	s_delay_alu instid0(VALU_DEP_3) | instskip(SKIP_1) | instid1(VALU_DEP_2)
	v_rcp_f32_e32 v8, v6
	v_div_scale_f32 v11, s1, v5, v3, v5
	v_rcp_f32_e32 v9, v7
	s_waitcnt_depctr 0xfff
	v_fma_f32 v0, -v6, v8, 1.0
	v_fma_f32 v1, -v7, v9, 1.0
	s_delay_alu instid0(VALU_DEP_1) | instskip(SKIP_2) | instid1(VALU_DEP_2)
	v_dual_fmac_f32 v8, v0, v8 :: v_dual_fmac_f32 v9, v1, v9
	s_waitcnt vmcnt(0)
	v_mad_u64_u32 v[0:1], null, v2, s9, v[86:87]
	v_dual_mul_f32 v12, v10, v8 :: v_dual_mul_f32 v13, v11, v9
	s_delay_alu instid0(VALU_DEP_1) | instskip(NEXT) | instid1(VALU_DEP_3)
	v_fma_f32 v14, -v6, v12, v10
	v_mad_u64_u32 v[1:2], null, v0, 56, v[236:237]
	s_delay_alu instid0(VALU_DEP_3) | instskip(NEXT) | instid1(VALU_DEP_1)
	v_fma_f32 v15, -v7, v13, v11
	v_dual_fmac_f32 v12, v14, v8 :: v_dual_fmac_f32 v13, v15, v9
	s_delay_alu instid0(VALU_DEP_3) | instskip(NEXT) | instid1(VALU_DEP_2)
	v_ashrrev_i32_e32 v2, 31, v1
	v_fma_f32 v0, -v6, v12, v10
	s_delay_alu instid0(VALU_DEP_3) | instskip(NEXT) | instid1(VALU_DEP_2)
	v_fma_f32 v6, -v7, v13, v11
	v_div_fmas_f32 v7, v0, v8, v12
	s_delay_alu instid0(VALU_DEP_4) | instskip(SKIP_1) | instid1(VALU_DEP_3)
	v_lshlrev_b64 v[0:1], 3, v[1:2]
	s_mov_b32 vcc_lo, s1
	v_div_fmas_f32 v6, v6, v9, v13
	s_delay_alu instid0(VALU_DEP_3) | instskip(NEXT) | instid1(VALU_DEP_3)
	v_div_fixup_f32 v2, v7, v3, v4
	v_add_co_u32 v4, vcc_lo, s35, v0
	s_delay_alu instid0(VALU_DEP_3)
	v_div_fixup_f32 v3, v6, v3, v5
	v_add_co_ci_u32_e32 v5, vcc_lo, s67, v1, vcc_lo
	v_mov_b32_e32 v0, 0
	global_store_b64 v[4:5], v[2:3], off
.LBB19_423:                             ;   in Loop: Header=BB19_15 Depth=1
	s_or_b32 exec_lo, exec_lo, s3
	s_mov_b32 s1, -1
	s_mov_b32 s3, exec_lo
	v_cmpx_gt_i32_e32 50, v0
; %bb.424:                              ;   in Loop: Header=BB19_15 Depth=1
	v_cmp_eq_u32_e32 vcc_lo, 0, v0
	s_or_not1_b32 s1, vcc_lo, exec_lo
; %bb.425:                              ;   in Loop: Header=BB19_15 Depth=1
	s_or_b32 exec_lo, exec_lo, s3
	s_delay_alu instid0(SALU_CYCLE_1)
	s_and_b32 exec_lo, exec_lo, s1
	s_cbranch_execz .LBB19_478
; %bb.426:                              ;   in Loop: Header=BB19_15 Depth=1
	v_mov_b32_e32 v0, 50
	s_and_saveexec_b32 s3, s83
	s_cbranch_execz .LBB19_428
; %bb.427:                              ;   in Loop: Header=BB19_15 Depth=1
	s_clause 0x1
	scratch_load_b32 v1, off, off offset:1284
	scratch_load_b32 v2, off, off offset:1228
	ds_load_b32 v0, v82 offset:1920
	s_waitcnt vmcnt(1)
	ds_load_b32 v3, v1 offset:5028
	s_waitcnt lgkmcnt(1)
	v_lshrrev_b32_e32 v1, 16, v0
	v_cvt_f32_f16_e32 v0, v0
	s_delay_alu instid0(VALU_DEP_2) | instskip(NEXT) | instid1(VALU_DEP_1)
	v_cvt_f32_f16_e32 v1, v1
	v_dual_add_f32 v4, 0, v0 :: v_dual_add_f32 v5, 0, v1
	s_waitcnt lgkmcnt(0)
	s_delay_alu instid0(VALU_DEP_1) | instskip(NEXT) | instid1(VALU_DEP_2)
	v_div_scale_f32 v6, null, v3, v3, v4
	v_div_scale_f32 v7, null, v3, v3, v5
	v_div_scale_f32 v10, vcc_lo, v4, v3, v4
	s_delay_alu instid0(VALU_DEP_3) | instskip(NEXT) | instid1(VALU_DEP_2)
	v_rcp_f32_e32 v8, v6
	v_rcp_f32_e32 v9, v7
	v_div_scale_f32 v11, s1, v5, v3, v5
	s_waitcnt_depctr 0xfff
	v_fma_f32 v0, -v6, v8, 1.0
	v_fma_f32 v1, -v7, v9, 1.0
	s_delay_alu instid0(VALU_DEP_1) | instskip(SKIP_2) | instid1(VALU_DEP_2)
	v_dual_fmac_f32 v8, v0, v8 :: v_dual_fmac_f32 v9, v1, v9
	s_waitcnt vmcnt(0)
	v_mad_u64_u32 v[0:1], null, v2, s9, v[86:87]
	v_dual_mul_f32 v12, v10, v8 :: v_dual_mul_f32 v13, v11, v9
	s_delay_alu instid0(VALU_DEP_2) | instskip(NEXT) | instid1(VALU_DEP_2)
	v_mad_u64_u32 v[1:2], null, v0, 56, v[236:237]
	v_fma_f32 v14, -v6, v12, v10
	s_delay_alu instid0(VALU_DEP_3) | instskip(NEXT) | instid1(VALU_DEP_1)
	v_fma_f32 v15, -v7, v13, v11
	v_dual_fmac_f32 v12, v14, v8 :: v_dual_fmac_f32 v13, v15, v9
	s_delay_alu instid0(VALU_DEP_4) | instskip(NEXT) | instid1(VALU_DEP_2)
	v_ashrrev_i32_e32 v2, 31, v1
	v_fma_f32 v0, -v6, v12, v10
	s_delay_alu instid0(VALU_DEP_3) | instskip(NEXT) | instid1(VALU_DEP_2)
	v_fma_f32 v6, -v7, v13, v11
	v_div_fmas_f32 v7, v0, v8, v12
	s_delay_alu instid0(VALU_DEP_4) | instskip(SKIP_1) | instid1(VALU_DEP_3)
	v_lshlrev_b64 v[0:1], 3, v[1:2]
	s_mov_b32 vcc_lo, s1
	v_div_fmas_f32 v6, v6, v9, v13
	s_delay_alu instid0(VALU_DEP_3) | instskip(NEXT) | instid1(VALU_DEP_3)
	v_div_fixup_f32 v2, v7, v3, v4
	v_add_co_u32 v4, vcc_lo, s35, v0
	s_delay_alu instid0(VALU_DEP_3)
	v_div_fixup_f32 v3, v6, v3, v5
	v_add_co_ci_u32_e32 v5, vcc_lo, s67, v1, vcc_lo
	v_mov_b32_e32 v0, 0
	global_store_b64 v[4:5], v[2:3], off
.LBB19_428:                             ;   in Loop: Header=BB19_15 Depth=1
	s_or_b32 exec_lo, exec_lo, s3
	s_mov_b32 s1, -1
	s_mov_b32 s3, exec_lo
	v_cmpx_gt_i32_e32 50, v0
; %bb.429:                              ;   in Loop: Header=BB19_15 Depth=1
	v_cmp_eq_u32_e32 vcc_lo, 0, v0
	s_or_not1_b32 s1, vcc_lo, exec_lo
; %bb.430:                              ;   in Loop: Header=BB19_15 Depth=1
	s_or_b32 exec_lo, exec_lo, s3
	s_delay_alu instid0(SALU_CYCLE_1)
	s_and_b32 exec_lo, exec_lo, s1
	s_cbranch_execz .LBB19_478
; %bb.431:                              ;   in Loop: Header=BB19_15 Depth=1
	v_mov_b32_e32 v0, 50
	s_and_saveexec_b32 s3, s53
	s_cbranch_execz .LBB19_433
; %bb.432:                              ;   in Loop: Header=BB19_15 Depth=1
	s_clause 0x1
	scratch_load_b32 v1, off, off offset:1284
	scratch_load_b32 v2, off, off offset:1236
	ds_load_b32 v0, v82 offset:2880
	s_waitcnt vmcnt(1)
	ds_load_b32 v3, v1 offset:5988
	s_waitcnt lgkmcnt(1)
	v_lshrrev_b32_e32 v1, 16, v0
	v_cvt_f32_f16_e32 v0, v0
	s_delay_alu instid0(VALU_DEP_2) | instskip(NEXT) | instid1(VALU_DEP_1)
	v_cvt_f32_f16_e32 v1, v1
	v_dual_add_f32 v4, 0, v0 :: v_dual_add_f32 v5, 0, v1
	s_waitcnt lgkmcnt(0)
	s_delay_alu instid0(VALU_DEP_1) | instskip(NEXT) | instid1(VALU_DEP_2)
	v_div_scale_f32 v6, null, v3, v3, v4
	v_div_scale_f32 v7, null, v3, v3, v5
	v_div_scale_f32 v10, vcc_lo, v4, v3, v4
	s_delay_alu instid0(VALU_DEP_3) | instskip(NEXT) | instid1(VALU_DEP_2)
	v_rcp_f32_e32 v8, v6
	v_rcp_f32_e32 v9, v7
	v_div_scale_f32 v11, s1, v5, v3, v5
	s_waitcnt_depctr 0xfff
	v_fma_f32 v0, -v6, v8, 1.0
	v_fma_f32 v1, -v7, v9, 1.0
	s_delay_alu instid0(VALU_DEP_1) | instskip(SKIP_2) | instid1(VALU_DEP_2)
	v_dual_fmac_f32 v8, v0, v8 :: v_dual_fmac_f32 v9, v1, v9
	s_waitcnt vmcnt(0)
	v_mad_u64_u32 v[0:1], null, v2, s9, v[86:87]
	v_dual_mul_f32 v12, v10, v8 :: v_dual_mul_f32 v13, v11, v9
	s_delay_alu instid0(VALU_DEP_2) | instskip(NEXT) | instid1(VALU_DEP_2)
	v_mad_u64_u32 v[1:2], null, v0, 56, v[236:237]
	v_fma_f32 v14, -v6, v12, v10
	s_delay_alu instid0(VALU_DEP_3) | instskip(NEXT) | instid1(VALU_DEP_1)
	v_fma_f32 v15, -v7, v13, v11
	v_dual_fmac_f32 v12, v14, v8 :: v_dual_fmac_f32 v13, v15, v9
	s_delay_alu instid0(VALU_DEP_4) | instskip(NEXT) | instid1(VALU_DEP_2)
	v_ashrrev_i32_e32 v2, 31, v1
	v_fma_f32 v0, -v6, v12, v10
	s_delay_alu instid0(VALU_DEP_3) | instskip(NEXT) | instid1(VALU_DEP_2)
	v_fma_f32 v6, -v7, v13, v11
	v_div_fmas_f32 v7, v0, v8, v12
	s_delay_alu instid0(VALU_DEP_4) | instskip(SKIP_1) | instid1(VALU_DEP_3)
	v_lshlrev_b64 v[0:1], 3, v[1:2]
	s_mov_b32 vcc_lo, s1
	v_div_fmas_f32 v6, v6, v9, v13
	s_delay_alu instid0(VALU_DEP_3) | instskip(NEXT) | instid1(VALU_DEP_3)
	v_div_fixup_f32 v2, v7, v3, v4
	v_add_co_u32 v4, vcc_lo, s35, v0
	s_delay_alu instid0(VALU_DEP_3)
	v_div_fixup_f32 v3, v6, v3, v5
	v_add_co_ci_u32_e32 v5, vcc_lo, s67, v1, vcc_lo
	v_mov_b32_e32 v0, 0
	global_store_b64 v[4:5], v[2:3], off
.LBB19_433:                             ;   in Loop: Header=BB19_15 Depth=1
	s_or_b32 exec_lo, exec_lo, s3
	s_mov_b32 s1, -1
	s_mov_b32 s3, exec_lo
	v_cmpx_gt_i32_e32 50, v0
; %bb.434:                              ;   in Loop: Header=BB19_15 Depth=1
	v_cmp_eq_u32_e32 vcc_lo, 0, v0
	s_or_not1_b32 s1, vcc_lo, exec_lo
; %bb.435:                              ;   in Loop: Header=BB19_15 Depth=1
	s_or_b32 exec_lo, exec_lo, s3
	s_delay_alu instid0(SALU_CYCLE_1)
	s_and_b32 exec_lo, exec_lo, s1
	s_cbranch_execz .LBB19_478
; %bb.436:                              ;   in Loop: Header=BB19_15 Depth=1
	v_mov_b32_e32 v0, 50
	s_and_saveexec_b32 s3, s52
	s_cbranch_execz .LBB19_438
; %bb.437:                              ;   in Loop: Header=BB19_15 Depth=1
	s_clause 0x1
	scratch_load_b32 v1, off, off offset:1284
	scratch_load_b32 v2, off, off offset:1244
	ds_load_b32 v0, v82 offset:3840
	s_waitcnt vmcnt(1)
	ds_load_b32 v3, v1 offset:6948
	s_waitcnt lgkmcnt(1)
	v_lshrrev_b32_e32 v1, 16, v0
	v_cvt_f32_f16_e32 v0, v0
	s_delay_alu instid0(VALU_DEP_2) | instskip(NEXT) | instid1(VALU_DEP_1)
	v_cvt_f32_f16_e32 v1, v1
	v_dual_add_f32 v4, 0, v0 :: v_dual_add_f32 v5, 0, v1
	s_waitcnt lgkmcnt(0)
	s_delay_alu instid0(VALU_DEP_1) | instskip(NEXT) | instid1(VALU_DEP_2)
	v_div_scale_f32 v6, null, v3, v3, v4
	v_div_scale_f32 v7, null, v3, v3, v5
	v_div_scale_f32 v10, vcc_lo, v4, v3, v4
	s_delay_alu instid0(VALU_DEP_3) | instskip(NEXT) | instid1(VALU_DEP_2)
	v_rcp_f32_e32 v8, v6
	v_rcp_f32_e32 v9, v7
	v_div_scale_f32 v11, s1, v5, v3, v5
	s_waitcnt_depctr 0xfff
	v_fma_f32 v0, -v6, v8, 1.0
	v_fma_f32 v1, -v7, v9, 1.0
	s_delay_alu instid0(VALU_DEP_1) | instskip(SKIP_2) | instid1(VALU_DEP_2)
	v_dual_fmac_f32 v8, v0, v8 :: v_dual_fmac_f32 v9, v1, v9
	s_waitcnt vmcnt(0)
	v_mad_u64_u32 v[0:1], null, v2, s9, v[86:87]
	v_dual_mul_f32 v12, v10, v8 :: v_dual_mul_f32 v13, v11, v9
	s_delay_alu instid0(VALU_DEP_2) | instskip(NEXT) | instid1(VALU_DEP_2)
	v_mad_u64_u32 v[1:2], null, v0, 56, v[236:237]
	v_fma_f32 v14, -v6, v12, v10
	s_delay_alu instid0(VALU_DEP_3) | instskip(NEXT) | instid1(VALU_DEP_1)
	v_fma_f32 v15, -v7, v13, v11
	v_dual_fmac_f32 v12, v14, v8 :: v_dual_fmac_f32 v13, v15, v9
	s_delay_alu instid0(VALU_DEP_4) | instskip(NEXT) | instid1(VALU_DEP_2)
	v_ashrrev_i32_e32 v2, 31, v1
	v_fma_f32 v0, -v6, v12, v10
	s_delay_alu instid0(VALU_DEP_3) | instskip(NEXT) | instid1(VALU_DEP_2)
	v_fma_f32 v6, -v7, v13, v11
	v_div_fmas_f32 v7, v0, v8, v12
	s_delay_alu instid0(VALU_DEP_4) | instskip(SKIP_1) | instid1(VALU_DEP_3)
	v_lshlrev_b64 v[0:1], 3, v[1:2]
	s_mov_b32 vcc_lo, s1
	v_div_fmas_f32 v6, v6, v9, v13
	s_delay_alu instid0(VALU_DEP_3) | instskip(NEXT) | instid1(VALU_DEP_3)
	v_div_fixup_f32 v2, v7, v3, v4
	v_add_co_u32 v4, vcc_lo, s35, v0
	s_delay_alu instid0(VALU_DEP_3)
	v_div_fixup_f32 v3, v6, v3, v5
	v_add_co_ci_u32_e32 v5, vcc_lo, s67, v1, vcc_lo
	v_mov_b32_e32 v0, 0
	global_store_b64 v[4:5], v[2:3], off
.LBB19_438:                             ;   in Loop: Header=BB19_15 Depth=1
	s_or_b32 exec_lo, exec_lo, s3
	s_mov_b32 s1, -1
	s_mov_b32 s3, exec_lo
	v_cmpx_gt_i32_e32 50, v0
; %bb.439:                              ;   in Loop: Header=BB19_15 Depth=1
	v_cmp_eq_u32_e32 vcc_lo, 0, v0
	s_or_not1_b32 s1, vcc_lo, exec_lo
; %bb.440:                              ;   in Loop: Header=BB19_15 Depth=1
	s_or_b32 exec_lo, exec_lo, s3
	s_delay_alu instid0(SALU_CYCLE_1)
	s_and_b32 exec_lo, exec_lo, s1
	s_cbranch_execz .LBB19_478
; %bb.441:                              ;   in Loop: Header=BB19_15 Depth=1
	v_mov_b32_e32 v0, 50
	s_and_saveexec_b32 s3, s51
	s_cbranch_execz .LBB19_443
; %bb.442:                              ;   in Loop: Header=BB19_15 Depth=1
	s_clause 0x2
	scratch_load_b32 v0, off, off offset:1532
	scratch_load_b32 v1, off, off offset:1536
	;; [unrolled: 1-line block ×3, first 2 shown]
	s_waitcnt vmcnt(2)
	ds_load_b32 v0, v0
	s_waitcnt vmcnt(1)
	ds_load_b32 v3, v1 offset:228
	s_waitcnt lgkmcnt(1)
	v_lshrrev_b32_e32 v1, 16, v0
	v_cvt_f32_f16_e32 v0, v0
	s_delay_alu instid0(VALU_DEP_2) | instskip(NEXT) | instid1(VALU_DEP_1)
	v_cvt_f32_f16_e32 v1, v1
	v_dual_add_f32 v4, 0, v0 :: v_dual_add_f32 v5, 0, v1
	s_waitcnt lgkmcnt(0)
	s_delay_alu instid0(VALU_DEP_1) | instskip(SKIP_1) | instid1(VALU_DEP_3)
	v_div_scale_f32 v6, null, v3, v3, v4
	v_div_scale_f32 v10, vcc_lo, v4, v3, v4
	v_div_scale_f32 v7, null, v3, v3, v5
	s_delay_alu instid0(VALU_DEP_3) | instskip(SKIP_1) | instid1(VALU_DEP_2)
	v_rcp_f32_e32 v8, v6
	v_div_scale_f32 v11, s1, v5, v3, v5
	v_rcp_f32_e32 v9, v7
	s_waitcnt_depctr 0xfff
	v_fma_f32 v0, -v6, v8, 1.0
	v_fma_f32 v1, -v7, v9, 1.0
	s_delay_alu instid0(VALU_DEP_1) | instskip(SKIP_2) | instid1(VALU_DEP_2)
	v_dual_fmac_f32 v8, v0, v8 :: v_dual_fmac_f32 v9, v1, v9
	s_waitcnt vmcnt(0)
	v_mad_u64_u32 v[0:1], null, v2, s9, v[86:87]
	v_dual_mul_f32 v12, v10, v8 :: v_dual_mul_f32 v13, v11, v9
	s_delay_alu instid0(VALU_DEP_1) | instskip(NEXT) | instid1(VALU_DEP_3)
	v_fma_f32 v14, -v6, v12, v10
	v_mad_u64_u32 v[1:2], null, v0, 56, v[236:237]
	s_delay_alu instid0(VALU_DEP_3) | instskip(NEXT) | instid1(VALU_DEP_1)
	v_fma_f32 v15, -v7, v13, v11
	v_dual_fmac_f32 v12, v14, v8 :: v_dual_fmac_f32 v13, v15, v9
	s_delay_alu instid0(VALU_DEP_3) | instskip(NEXT) | instid1(VALU_DEP_2)
	v_ashrrev_i32_e32 v2, 31, v1
	v_fma_f32 v0, -v6, v12, v10
	s_delay_alu instid0(VALU_DEP_3) | instskip(NEXT) | instid1(VALU_DEP_2)
	v_fma_f32 v6, -v7, v13, v11
	v_div_fmas_f32 v7, v0, v8, v12
	s_delay_alu instid0(VALU_DEP_4) | instskip(SKIP_1) | instid1(VALU_DEP_3)
	v_lshlrev_b64 v[0:1], 3, v[1:2]
	s_mov_b32 vcc_lo, s1
	v_div_fmas_f32 v6, v6, v9, v13
	s_delay_alu instid0(VALU_DEP_3) | instskip(NEXT) | instid1(VALU_DEP_3)
	v_div_fixup_f32 v2, v7, v3, v4
	v_add_co_u32 v4, vcc_lo, s35, v0
	s_delay_alu instid0(VALU_DEP_3)
	v_div_fixup_f32 v3, v6, v3, v5
	v_add_co_ci_u32_e32 v5, vcc_lo, s67, v1, vcc_lo
	v_mov_b32_e32 v0, 0
	global_store_b64 v[4:5], v[2:3], off
.LBB19_443:                             ;   in Loop: Header=BB19_15 Depth=1
	s_or_b32 exec_lo, exec_lo, s3
	s_mov_b32 s1, -1
	s_mov_b32 s3, exec_lo
	v_cmpx_gt_i32_e32 50, v0
; %bb.444:                              ;   in Loop: Header=BB19_15 Depth=1
	v_cmp_eq_u32_e32 vcc_lo, 0, v0
	s_or_not1_b32 s1, vcc_lo, exec_lo
; %bb.445:                              ;   in Loop: Header=BB19_15 Depth=1
	s_or_b32 exec_lo, exec_lo, s3
	s_delay_alu instid0(SALU_CYCLE_1)
	s_and_b32 exec_lo, exec_lo, s1
	s_cbranch_execz .LBB19_478
; %bb.446:                              ;   in Loop: Header=BB19_15 Depth=1
	v_mov_b32_e32 v0, 50
	s_and_saveexec_b32 s3, s50
	s_cbranch_execz .LBB19_448
; %bb.447:                              ;   in Loop: Header=BB19_15 Depth=1
	s_clause 0x1
	scratch_load_b32 v1, off, off offset:1284
	scratch_load_b32 v2, off, off offset:1252
	ds_load_b32 v0, v82 offset:5760
	s_waitcnt vmcnt(1)
	ds_load_b32 v3, v1 offset:8868
	s_waitcnt lgkmcnt(1)
	v_lshrrev_b32_e32 v1, 16, v0
	v_cvt_f32_f16_e32 v0, v0
	s_delay_alu instid0(VALU_DEP_2) | instskip(NEXT) | instid1(VALU_DEP_1)
	v_cvt_f32_f16_e32 v1, v1
	v_dual_add_f32 v4, 0, v0 :: v_dual_add_f32 v5, 0, v1
	s_waitcnt lgkmcnt(0)
	s_delay_alu instid0(VALU_DEP_1) | instskip(NEXT) | instid1(VALU_DEP_2)
	v_div_scale_f32 v6, null, v3, v3, v4
	v_div_scale_f32 v7, null, v3, v3, v5
	v_div_scale_f32 v10, vcc_lo, v4, v3, v4
	s_delay_alu instid0(VALU_DEP_3) | instskip(NEXT) | instid1(VALU_DEP_2)
	v_rcp_f32_e32 v8, v6
	v_rcp_f32_e32 v9, v7
	v_div_scale_f32 v11, s1, v5, v3, v5
	s_waitcnt_depctr 0xfff
	v_fma_f32 v0, -v6, v8, 1.0
	v_fma_f32 v1, -v7, v9, 1.0
	s_delay_alu instid0(VALU_DEP_1) | instskip(SKIP_2) | instid1(VALU_DEP_2)
	v_dual_fmac_f32 v8, v0, v8 :: v_dual_fmac_f32 v9, v1, v9
	s_waitcnt vmcnt(0)
	v_mad_u64_u32 v[0:1], null, v2, s9, v[86:87]
	v_dual_mul_f32 v12, v10, v8 :: v_dual_mul_f32 v13, v11, v9
	s_delay_alu instid0(VALU_DEP_2) | instskip(NEXT) | instid1(VALU_DEP_2)
	v_mad_u64_u32 v[1:2], null, v0, 56, v[236:237]
	v_fma_f32 v14, -v6, v12, v10
	s_delay_alu instid0(VALU_DEP_3) | instskip(NEXT) | instid1(VALU_DEP_1)
	v_fma_f32 v15, -v7, v13, v11
	v_dual_fmac_f32 v12, v14, v8 :: v_dual_fmac_f32 v13, v15, v9
	s_delay_alu instid0(VALU_DEP_4) | instskip(NEXT) | instid1(VALU_DEP_2)
	v_ashrrev_i32_e32 v2, 31, v1
	v_fma_f32 v0, -v6, v12, v10
	s_delay_alu instid0(VALU_DEP_3) | instskip(NEXT) | instid1(VALU_DEP_2)
	v_fma_f32 v6, -v7, v13, v11
	v_div_fmas_f32 v7, v0, v8, v12
	s_delay_alu instid0(VALU_DEP_4) | instskip(SKIP_1) | instid1(VALU_DEP_3)
	v_lshlrev_b64 v[0:1], 3, v[1:2]
	s_mov_b32 vcc_lo, s1
	v_div_fmas_f32 v6, v6, v9, v13
	s_delay_alu instid0(VALU_DEP_3) | instskip(NEXT) | instid1(VALU_DEP_3)
	v_div_fixup_f32 v2, v7, v3, v4
	v_add_co_u32 v4, vcc_lo, s35, v0
	s_delay_alu instid0(VALU_DEP_3)
	v_div_fixup_f32 v3, v6, v3, v5
	v_add_co_ci_u32_e32 v5, vcc_lo, s67, v1, vcc_lo
	v_mov_b32_e32 v0, 0
	global_store_b64 v[4:5], v[2:3], off
.LBB19_448:                             ;   in Loop: Header=BB19_15 Depth=1
	s_or_b32 exec_lo, exec_lo, s3
	s_mov_b32 s1, -1
	s_mov_b32 s3, exec_lo
	v_cmpx_gt_i32_e32 50, v0
; %bb.449:                              ;   in Loop: Header=BB19_15 Depth=1
	v_cmp_eq_u32_e32 vcc_lo, 0, v0
	s_or_not1_b32 s1, vcc_lo, exec_lo
; %bb.450:                              ;   in Loop: Header=BB19_15 Depth=1
	s_or_b32 exec_lo, exec_lo, s3
	s_delay_alu instid0(SALU_CYCLE_1)
	s_and_b32 exec_lo, exec_lo, s1
	s_cbranch_execz .LBB19_478
; %bb.451:                              ;   in Loop: Header=BB19_15 Depth=1
	v_mov_b32_e32 v0, 50
	s_and_saveexec_b32 s3, s0
	s_cbranch_execz .LBB19_453
; %bb.452:                              ;   in Loop: Header=BB19_15 Depth=1
	s_clause 0x1
	scratch_load_b32 v1, off, off offset:1284
	scratch_load_b32 v2, off, off offset:1256
	ds_load_b32 v0, v82 offset:6720
	s_waitcnt vmcnt(1)
	ds_load_b32 v3, v1 offset:9828
	s_waitcnt lgkmcnt(1)
	v_lshrrev_b32_e32 v1, 16, v0
	v_cvt_f32_f16_e32 v0, v0
	s_delay_alu instid0(VALU_DEP_2) | instskip(NEXT) | instid1(VALU_DEP_1)
	v_cvt_f32_f16_e32 v1, v1
	v_dual_add_f32 v4, 0, v0 :: v_dual_add_f32 v5, 0, v1
	s_waitcnt lgkmcnt(0)
	s_delay_alu instid0(VALU_DEP_1) | instskip(NEXT) | instid1(VALU_DEP_2)
	v_div_scale_f32 v6, null, v3, v3, v4
	v_div_scale_f32 v7, null, v3, v3, v5
	v_div_scale_f32 v10, vcc_lo, v4, v3, v4
	s_delay_alu instid0(VALU_DEP_3) | instskip(NEXT) | instid1(VALU_DEP_2)
	v_rcp_f32_e32 v8, v6
	v_rcp_f32_e32 v9, v7
	v_div_scale_f32 v11, s1, v5, v3, v5
	s_waitcnt_depctr 0xfff
	v_fma_f32 v0, -v6, v8, 1.0
	v_fma_f32 v1, -v7, v9, 1.0
	s_delay_alu instid0(VALU_DEP_1) | instskip(SKIP_2) | instid1(VALU_DEP_2)
	v_dual_fmac_f32 v8, v0, v8 :: v_dual_fmac_f32 v9, v1, v9
	s_waitcnt vmcnt(0)
	v_mad_u64_u32 v[0:1], null, v2, s9, v[86:87]
	v_dual_mul_f32 v12, v10, v8 :: v_dual_mul_f32 v13, v11, v9
	s_delay_alu instid0(VALU_DEP_2) | instskip(NEXT) | instid1(VALU_DEP_2)
	v_mad_u64_u32 v[1:2], null, v0, 56, v[236:237]
	v_fma_f32 v14, -v6, v12, v10
	s_delay_alu instid0(VALU_DEP_3) | instskip(NEXT) | instid1(VALU_DEP_1)
	v_fma_f32 v15, -v7, v13, v11
	v_dual_fmac_f32 v12, v14, v8 :: v_dual_fmac_f32 v13, v15, v9
	s_delay_alu instid0(VALU_DEP_4) | instskip(NEXT) | instid1(VALU_DEP_2)
	v_ashrrev_i32_e32 v2, 31, v1
	v_fma_f32 v0, -v6, v12, v10
	s_delay_alu instid0(VALU_DEP_3) | instskip(NEXT) | instid1(VALU_DEP_2)
	v_fma_f32 v6, -v7, v13, v11
	v_div_fmas_f32 v7, v0, v8, v12
	s_delay_alu instid0(VALU_DEP_4) | instskip(SKIP_1) | instid1(VALU_DEP_3)
	v_lshlrev_b64 v[0:1], 3, v[1:2]
	s_mov_b32 vcc_lo, s1
	v_div_fmas_f32 v6, v6, v9, v13
	s_delay_alu instid0(VALU_DEP_3) | instskip(NEXT) | instid1(VALU_DEP_3)
	v_div_fixup_f32 v2, v7, v3, v4
	v_add_co_u32 v4, vcc_lo, s35, v0
	s_delay_alu instid0(VALU_DEP_3)
	v_div_fixup_f32 v3, v6, v3, v5
	v_add_co_ci_u32_e32 v5, vcc_lo, s67, v1, vcc_lo
	v_mov_b32_e32 v0, 0
	global_store_b64 v[4:5], v[2:3], off
.LBB19_453:                             ;   in Loop: Header=BB19_15 Depth=1
	s_or_b32 exec_lo, exec_lo, s3
	s_mov_b32 s0, -1
	s_mov_b32 s1, exec_lo
	v_cmpx_gt_i32_e32 50, v0
; %bb.454:                              ;   in Loop: Header=BB19_15 Depth=1
	v_cmp_eq_u32_e32 vcc_lo, 0, v0
	s_or_not1_b32 s0, vcc_lo, exec_lo
; %bb.455:                              ;   in Loop: Header=BB19_15 Depth=1
	s_or_b32 exec_lo, exec_lo, s1
	s_delay_alu instid0(SALU_CYCLE_1)
	s_and_b32 exec_lo, exec_lo, s0
	s_cbranch_execz .LBB19_478
; %bb.456:                              ;   in Loop: Header=BB19_15 Depth=1
	v_mov_b32_e32 v0, 50
	s_and_saveexec_b32 s0, s82
	s_cbranch_execz .LBB19_458
; %bb.457:                              ;   in Loop: Header=BB19_15 Depth=1
	s_clause 0x1
	scratch_load_b32 v1, off, off offset:1284
	scratch_load_b32 v2, off, off offset:1260
	ds_load_b32 v0, v82 offset:7680
	s_waitcnt vmcnt(1)
	ds_load_b32 v3, v1 offset:10788
	s_waitcnt lgkmcnt(1)
	v_lshrrev_b32_e32 v1, 16, v0
	v_cvt_f32_f16_e32 v0, v0
	s_delay_alu instid0(VALU_DEP_2) | instskip(NEXT) | instid1(VALU_DEP_1)
	v_cvt_f32_f16_e32 v1, v1
	v_dual_add_f32 v4, 0, v0 :: v_dual_add_f32 v5, 0, v1
	s_waitcnt lgkmcnt(0)
	s_delay_alu instid0(VALU_DEP_1) | instskip(NEXT) | instid1(VALU_DEP_2)
	v_div_scale_f32 v6, null, v3, v3, v4
	v_div_scale_f32 v7, null, v3, v3, v5
	v_div_scale_f32 v10, vcc_lo, v4, v3, v4
	s_delay_alu instid0(VALU_DEP_3) | instskip(NEXT) | instid1(VALU_DEP_2)
	v_rcp_f32_e32 v8, v6
	v_rcp_f32_e32 v9, v7
	v_div_scale_f32 v11, s1, v5, v3, v5
	s_waitcnt_depctr 0xfff
	v_fma_f32 v0, -v6, v8, 1.0
	v_fma_f32 v1, -v7, v9, 1.0
	s_delay_alu instid0(VALU_DEP_1) | instskip(SKIP_2) | instid1(VALU_DEP_2)
	v_dual_fmac_f32 v8, v0, v8 :: v_dual_fmac_f32 v9, v1, v9
	s_waitcnt vmcnt(0)
	v_mad_u64_u32 v[0:1], null, v2, s9, v[86:87]
	v_dual_mul_f32 v12, v10, v8 :: v_dual_mul_f32 v13, v11, v9
	s_delay_alu instid0(VALU_DEP_2) | instskip(NEXT) | instid1(VALU_DEP_2)
	v_mad_u64_u32 v[1:2], null, v0, 56, v[236:237]
	v_fma_f32 v14, -v6, v12, v10
	s_delay_alu instid0(VALU_DEP_3) | instskip(NEXT) | instid1(VALU_DEP_1)
	v_fma_f32 v15, -v7, v13, v11
	v_dual_fmac_f32 v12, v14, v8 :: v_dual_fmac_f32 v13, v15, v9
	s_delay_alu instid0(VALU_DEP_4) | instskip(NEXT) | instid1(VALU_DEP_2)
	v_ashrrev_i32_e32 v2, 31, v1
	v_fma_f32 v0, -v6, v12, v10
	s_delay_alu instid0(VALU_DEP_3) | instskip(NEXT) | instid1(VALU_DEP_2)
	v_fma_f32 v6, -v7, v13, v11
	v_div_fmas_f32 v7, v0, v8, v12
	s_delay_alu instid0(VALU_DEP_4) | instskip(SKIP_1) | instid1(VALU_DEP_3)
	v_lshlrev_b64 v[0:1], 3, v[1:2]
	s_mov_b32 vcc_lo, s1
	v_div_fmas_f32 v6, v6, v9, v13
	s_delay_alu instid0(VALU_DEP_3) | instskip(NEXT) | instid1(VALU_DEP_3)
	v_div_fixup_f32 v2, v7, v3, v4
	v_add_co_u32 v4, vcc_lo, s35, v0
	s_delay_alu instid0(VALU_DEP_3)
	v_div_fixup_f32 v3, v6, v3, v5
	v_add_co_ci_u32_e32 v5, vcc_lo, s67, v1, vcc_lo
	v_mov_b32_e32 v0, 0
	global_store_b64 v[4:5], v[2:3], off
.LBB19_458:                             ;   in Loop: Header=BB19_15 Depth=1
	s_or_b32 exec_lo, exec_lo, s0
	s_mov_b32 s0, -1
	s_mov_b32 s1, exec_lo
	v_cmpx_gt_i32_e32 50, v0
; %bb.459:                              ;   in Loop: Header=BB19_15 Depth=1
	v_cmp_eq_u32_e32 vcc_lo, 0, v0
	s_or_not1_b32 s0, vcc_lo, exec_lo
; %bb.460:                              ;   in Loop: Header=BB19_15 Depth=1
	s_or_b32 exec_lo, exec_lo, s1
	s_delay_alu instid0(SALU_CYCLE_1)
	s_and_b32 exec_lo, exec_lo, s0
	s_cbranch_execz .LBB19_478
; %bb.461:                              ;   in Loop: Header=BB19_15 Depth=1
	v_mov_b32_e32 v0, 50
	s_and_saveexec_b32 s0, s57
	s_cbranch_execz .LBB19_463
; %bb.462:                              ;   in Loop: Header=BB19_15 Depth=1
	s_clause 0x2
	scratch_load_b32 v0, off, off offset:1540
	scratch_load_b32 v1, off, off offset:1544
	;; [unrolled: 1-line block ×3, first 2 shown]
	s_waitcnt vmcnt(2)
	ds_load_b32 v0, v0
	s_waitcnt vmcnt(1)
	ds_load_b32 v3, v1 offset:228
	s_waitcnt lgkmcnt(1)
	v_lshrrev_b32_e32 v1, 16, v0
	v_cvt_f32_f16_e32 v0, v0
	s_delay_alu instid0(VALU_DEP_2) | instskip(NEXT) | instid1(VALU_DEP_1)
	v_cvt_f32_f16_e32 v1, v1
	v_dual_add_f32 v4, 0, v0 :: v_dual_add_f32 v5, 0, v1
	s_waitcnt lgkmcnt(0)
	s_delay_alu instid0(VALU_DEP_1) | instskip(SKIP_1) | instid1(VALU_DEP_3)
	v_div_scale_f32 v6, null, v3, v3, v4
	v_div_scale_f32 v10, vcc_lo, v4, v3, v4
	v_div_scale_f32 v7, null, v3, v3, v5
	s_delay_alu instid0(VALU_DEP_3) | instskip(SKIP_1) | instid1(VALU_DEP_2)
	v_rcp_f32_e32 v8, v6
	v_div_scale_f32 v11, s1, v5, v3, v5
	v_rcp_f32_e32 v9, v7
	s_waitcnt_depctr 0xfff
	v_fma_f32 v0, -v6, v8, 1.0
	v_fma_f32 v1, -v7, v9, 1.0
	s_delay_alu instid0(VALU_DEP_1) | instskip(SKIP_2) | instid1(VALU_DEP_2)
	v_dual_fmac_f32 v8, v0, v8 :: v_dual_fmac_f32 v9, v1, v9
	s_waitcnt vmcnt(0)
	v_mad_u64_u32 v[0:1], null, v2, s9, v[86:87]
	v_dual_mul_f32 v12, v10, v8 :: v_dual_mul_f32 v13, v11, v9
	s_delay_alu instid0(VALU_DEP_1) | instskip(NEXT) | instid1(VALU_DEP_3)
	v_fma_f32 v14, -v6, v12, v10
	v_mad_u64_u32 v[1:2], null, v0, 56, v[236:237]
	s_delay_alu instid0(VALU_DEP_3) | instskip(NEXT) | instid1(VALU_DEP_1)
	v_fma_f32 v15, -v7, v13, v11
	v_dual_fmac_f32 v12, v14, v8 :: v_dual_fmac_f32 v13, v15, v9
	s_delay_alu instid0(VALU_DEP_3) | instskip(NEXT) | instid1(VALU_DEP_2)
	v_ashrrev_i32_e32 v2, 31, v1
	v_fma_f32 v0, -v6, v12, v10
	s_delay_alu instid0(VALU_DEP_3) | instskip(NEXT) | instid1(VALU_DEP_2)
	v_fma_f32 v6, -v7, v13, v11
	v_div_fmas_f32 v7, v0, v8, v12
	s_delay_alu instid0(VALU_DEP_4) | instskip(SKIP_1) | instid1(VALU_DEP_3)
	v_lshlrev_b64 v[0:1], 3, v[1:2]
	s_mov_b32 vcc_lo, s1
	v_div_fmas_f32 v6, v6, v9, v13
	s_delay_alu instid0(VALU_DEP_3) | instskip(NEXT) | instid1(VALU_DEP_3)
	v_div_fixup_f32 v2, v7, v3, v4
	v_add_co_u32 v4, vcc_lo, s35, v0
	s_delay_alu instid0(VALU_DEP_3)
	v_div_fixup_f32 v3, v6, v3, v5
	v_add_co_ci_u32_e32 v5, vcc_lo, s67, v1, vcc_lo
	v_mov_b32_e32 v0, 0
	global_store_b64 v[4:5], v[2:3], off
.LBB19_463:                             ;   in Loop: Header=BB19_15 Depth=1
	s_or_b32 exec_lo, exec_lo, s0
	s_mov_b32 s0, -1
	s_mov_b32 s1, exec_lo
	v_cmpx_gt_i32_e32 50, v0
; %bb.464:                              ;   in Loop: Header=BB19_15 Depth=1
	v_cmp_eq_u32_e32 vcc_lo, 0, v0
	s_or_not1_b32 s0, vcc_lo, exec_lo
; %bb.465:                              ;   in Loop: Header=BB19_15 Depth=1
	s_or_b32 exec_lo, exec_lo, s1
	s_delay_alu instid0(SALU_CYCLE_1)
	s_and_b32 exec_lo, exec_lo, s0
	s_cbranch_execz .LBB19_478
; %bb.466:                              ;   in Loop: Header=BB19_15 Depth=1
	v_mov_b32_e32 v0, 50
	s_and_saveexec_b32 s0, s56
	s_cbranch_execz .LBB19_468
; %bb.467:                              ;   in Loop: Header=BB19_15 Depth=1
	s_clause 0x1
	scratch_load_b32 v1, off, off offset:1284
	scratch_load_b32 v2, off, off offset:1268
	ds_load_b32 v0, v82 offset:9600
	s_waitcnt vmcnt(1)
	ds_load_b32 v3, v1 offset:12708
	s_waitcnt lgkmcnt(1)
	v_lshrrev_b32_e32 v1, 16, v0
	v_cvt_f32_f16_e32 v0, v0
	s_delay_alu instid0(VALU_DEP_2) | instskip(NEXT) | instid1(VALU_DEP_1)
	v_cvt_f32_f16_e32 v1, v1
	v_dual_add_f32 v4, 0, v0 :: v_dual_add_f32 v5, 0, v1
	s_waitcnt lgkmcnt(0)
	s_delay_alu instid0(VALU_DEP_1) | instskip(NEXT) | instid1(VALU_DEP_2)
	v_div_scale_f32 v6, null, v3, v3, v4
	v_div_scale_f32 v7, null, v3, v3, v5
	v_div_scale_f32 v10, vcc_lo, v4, v3, v4
	s_delay_alu instid0(VALU_DEP_3) | instskip(NEXT) | instid1(VALU_DEP_2)
	v_rcp_f32_e32 v8, v6
	v_rcp_f32_e32 v9, v7
	v_div_scale_f32 v11, s1, v5, v3, v5
	s_waitcnt_depctr 0xfff
	v_fma_f32 v0, -v6, v8, 1.0
	v_fma_f32 v1, -v7, v9, 1.0
	s_delay_alu instid0(VALU_DEP_1) | instskip(SKIP_2) | instid1(VALU_DEP_2)
	v_dual_fmac_f32 v8, v0, v8 :: v_dual_fmac_f32 v9, v1, v9
	s_waitcnt vmcnt(0)
	v_mad_u64_u32 v[0:1], null, v2, s9, v[86:87]
	v_dual_mul_f32 v12, v10, v8 :: v_dual_mul_f32 v13, v11, v9
	s_delay_alu instid0(VALU_DEP_2) | instskip(NEXT) | instid1(VALU_DEP_2)
	v_mad_u64_u32 v[1:2], null, v0, 56, v[236:237]
	v_fma_f32 v14, -v6, v12, v10
	s_delay_alu instid0(VALU_DEP_3) | instskip(NEXT) | instid1(VALU_DEP_1)
	v_fma_f32 v15, -v7, v13, v11
	v_dual_fmac_f32 v12, v14, v8 :: v_dual_fmac_f32 v13, v15, v9
	s_delay_alu instid0(VALU_DEP_4) | instskip(NEXT) | instid1(VALU_DEP_2)
	v_ashrrev_i32_e32 v2, 31, v1
	v_fma_f32 v0, -v6, v12, v10
	s_delay_alu instid0(VALU_DEP_3) | instskip(NEXT) | instid1(VALU_DEP_2)
	v_fma_f32 v6, -v7, v13, v11
	v_div_fmas_f32 v7, v0, v8, v12
	s_delay_alu instid0(VALU_DEP_4) | instskip(SKIP_1) | instid1(VALU_DEP_3)
	v_lshlrev_b64 v[0:1], 3, v[1:2]
	s_mov_b32 vcc_lo, s1
	v_div_fmas_f32 v6, v6, v9, v13
	s_delay_alu instid0(VALU_DEP_3) | instskip(NEXT) | instid1(VALU_DEP_3)
	v_div_fixup_f32 v2, v7, v3, v4
	v_add_co_u32 v4, vcc_lo, s35, v0
	s_delay_alu instid0(VALU_DEP_3)
	v_div_fixup_f32 v3, v6, v3, v5
	v_add_co_ci_u32_e32 v5, vcc_lo, s67, v1, vcc_lo
	v_mov_b32_e32 v0, 0
	global_store_b64 v[4:5], v[2:3], off
.LBB19_468:                             ;   in Loop: Header=BB19_15 Depth=1
	s_or_b32 exec_lo, exec_lo, s0
	s_mov_b32 s0, -1
	s_mov_b32 s1, exec_lo
	v_cmpx_gt_i32_e32 50, v0
; %bb.469:                              ;   in Loop: Header=BB19_15 Depth=1
	v_cmp_eq_u32_e32 vcc_lo, 0, v0
	s_or_not1_b32 s0, vcc_lo, exec_lo
; %bb.470:                              ;   in Loop: Header=BB19_15 Depth=1
	s_or_b32 exec_lo, exec_lo, s1
	s_delay_alu instid0(SALU_CYCLE_1)
	s_and_b32 exec_lo, exec_lo, s0
	s_cbranch_execz .LBB19_478
; %bb.471:                              ;   in Loop: Header=BB19_15 Depth=1
	v_mov_b32_e32 v0, 50
	s_and_saveexec_b32 s0, s66
	s_cbranch_execz .LBB19_473
; %bb.472:                              ;   in Loop: Header=BB19_15 Depth=1
	s_clause 0x1
	scratch_load_b32 v1, off, off offset:1284
	scratch_load_b32 v2, off, off offset:1272
	ds_load_b32 v0, v82 offset:10560
	s_waitcnt vmcnt(1)
	ds_load_b32 v3, v1 offset:13668
	s_waitcnt lgkmcnt(1)
	v_lshrrev_b32_e32 v1, 16, v0
	v_cvt_f32_f16_e32 v0, v0
	s_delay_alu instid0(VALU_DEP_2) | instskip(NEXT) | instid1(VALU_DEP_1)
	v_cvt_f32_f16_e32 v1, v1
	v_dual_add_f32 v4, 0, v0 :: v_dual_add_f32 v5, 0, v1
	s_waitcnt lgkmcnt(0)
	s_delay_alu instid0(VALU_DEP_1) | instskip(NEXT) | instid1(VALU_DEP_2)
	v_div_scale_f32 v6, null, v3, v3, v4
	v_div_scale_f32 v7, null, v3, v3, v5
	v_div_scale_f32 v10, vcc_lo, v4, v3, v4
	s_delay_alu instid0(VALU_DEP_3) | instskip(NEXT) | instid1(VALU_DEP_2)
	v_rcp_f32_e32 v8, v6
	v_rcp_f32_e32 v9, v7
	v_div_scale_f32 v11, s1, v5, v3, v5
	s_waitcnt_depctr 0xfff
	v_fma_f32 v0, -v6, v8, 1.0
	v_fma_f32 v1, -v7, v9, 1.0
	s_delay_alu instid0(VALU_DEP_1) | instskip(SKIP_2) | instid1(VALU_DEP_2)
	v_dual_fmac_f32 v8, v0, v8 :: v_dual_fmac_f32 v9, v1, v9
	s_waitcnt vmcnt(0)
	v_mad_u64_u32 v[0:1], null, v2, s9, v[86:87]
	v_dual_mul_f32 v12, v10, v8 :: v_dual_mul_f32 v13, v11, v9
	s_delay_alu instid0(VALU_DEP_2) | instskip(NEXT) | instid1(VALU_DEP_2)
	v_mad_u64_u32 v[1:2], null, v0, 56, v[236:237]
	v_fma_f32 v14, -v6, v12, v10
	s_delay_alu instid0(VALU_DEP_3) | instskip(NEXT) | instid1(VALU_DEP_1)
	v_fma_f32 v15, -v7, v13, v11
	v_dual_fmac_f32 v12, v14, v8 :: v_dual_fmac_f32 v13, v15, v9
	s_delay_alu instid0(VALU_DEP_4) | instskip(NEXT) | instid1(VALU_DEP_2)
	v_ashrrev_i32_e32 v2, 31, v1
	v_fma_f32 v0, -v6, v12, v10
	s_delay_alu instid0(VALU_DEP_3) | instskip(NEXT) | instid1(VALU_DEP_2)
	v_fma_f32 v6, -v7, v13, v11
	v_div_fmas_f32 v7, v0, v8, v12
	s_delay_alu instid0(VALU_DEP_4) | instskip(SKIP_1) | instid1(VALU_DEP_3)
	v_lshlrev_b64 v[0:1], 3, v[1:2]
	s_mov_b32 vcc_lo, s1
	v_div_fmas_f32 v6, v6, v9, v13
	s_delay_alu instid0(VALU_DEP_3) | instskip(NEXT) | instid1(VALU_DEP_3)
	v_div_fixup_f32 v2, v7, v3, v4
	v_add_co_u32 v4, vcc_lo, s35, v0
	s_delay_alu instid0(VALU_DEP_3)
	v_div_fixup_f32 v3, v6, v3, v5
	v_add_co_ci_u32_e32 v5, vcc_lo, s67, v1, vcc_lo
	v_mov_b32_e32 v0, 0
	global_store_b64 v[4:5], v[2:3], off
.LBB19_473:                             ;   in Loop: Header=BB19_15 Depth=1
	s_or_b32 exec_lo, exec_lo, s0
	s_mov_b32 s0, -1
	s_mov_b32 s1, exec_lo
	v_cmpx_gt_i32_e32 50, v0
; %bb.474:                              ;   in Loop: Header=BB19_15 Depth=1
	v_cmp_eq_u32_e32 vcc_lo, 0, v0
	s_or_not1_b32 s0, vcc_lo, exec_lo
; %bb.475:                              ;   in Loop: Header=BB19_15 Depth=1
	s_or_b32 exec_lo, exec_lo, s1
	s_delay_alu instid0(SALU_CYCLE_1)
	s_and_b32 exec_lo, exec_lo, s0
	s_cbranch_execz .LBB19_478
; %bb.476:                              ;   in Loop: Header=BB19_15 Depth=1
	v_readlane_b32 s0, v255, 1
	s_delay_alu instid0(VALU_DEP_1)
	s_and_b32 exec_lo, exec_lo, s0
	s_cbranch_execz .LBB19_478
; %bb.477:                              ;   in Loop: Header=BB19_15 Depth=1
	s_clause 0x1
	scratch_load_b32 v1, off, off offset:1284
	scratch_load_b32 v2, off, off offset:1276
	ds_load_b32 v0, v82 offset:11520
	s_waitcnt vmcnt(1)
	ds_load_b32 v3, v1 offset:14628
	s_waitcnt lgkmcnt(1)
	v_lshrrev_b32_e32 v1, 16, v0
	v_cvt_f32_f16_e32 v0, v0
	s_delay_alu instid0(VALU_DEP_2) | instskip(NEXT) | instid1(VALU_DEP_1)
	v_cvt_f32_f16_e32 v1, v1
	v_dual_add_f32 v4, 0, v0 :: v_dual_add_f32 v5, 0, v1
	s_waitcnt lgkmcnt(0)
	s_delay_alu instid0(VALU_DEP_1) | instskip(NEXT) | instid1(VALU_DEP_2)
	v_div_scale_f32 v6, null, v3, v3, v4
	v_div_scale_f32 v7, null, v3, v3, v5
	v_div_scale_f32 v10, vcc_lo, v4, v3, v4
	s_delay_alu instid0(VALU_DEP_3) | instskip(NEXT) | instid1(VALU_DEP_2)
	v_rcp_f32_e32 v8, v6
	v_rcp_f32_e32 v9, v7
	v_div_scale_f32 v11, s1, v5, v3, v5
	s_waitcnt_depctr 0xfff
	v_fma_f32 v0, -v6, v8, 1.0
	v_fma_f32 v1, -v7, v9, 1.0
	s_delay_alu instid0(VALU_DEP_1) | instskip(SKIP_2) | instid1(VALU_DEP_2)
	v_dual_fmac_f32 v8, v0, v8 :: v_dual_fmac_f32 v9, v1, v9
	s_waitcnt vmcnt(0)
	v_mad_u64_u32 v[0:1], null, v2, s9, v[86:87]
	v_dual_mul_f32 v12, v10, v8 :: v_dual_mul_f32 v13, v11, v9
	s_delay_alu instid0(VALU_DEP_2) | instskip(NEXT) | instid1(VALU_DEP_2)
	v_mad_u64_u32 v[1:2], null, v0, 56, v[236:237]
	v_fma_f32 v14, -v6, v12, v10
	s_delay_alu instid0(VALU_DEP_3) | instskip(NEXT) | instid1(VALU_DEP_1)
	v_fma_f32 v15, -v7, v13, v11
	v_dual_fmac_f32 v12, v14, v8 :: v_dual_fmac_f32 v13, v15, v9
	s_delay_alu instid0(VALU_DEP_4) | instskip(NEXT) | instid1(VALU_DEP_2)
	v_ashrrev_i32_e32 v2, 31, v1
	v_fma_f32 v0, -v6, v12, v10
	s_delay_alu instid0(VALU_DEP_3) | instskip(NEXT) | instid1(VALU_DEP_2)
	v_fma_f32 v6, -v7, v13, v11
	v_div_fmas_f32 v7, v0, v8, v12
	s_delay_alu instid0(VALU_DEP_4) | instskip(SKIP_1) | instid1(VALU_DEP_3)
	v_lshlrev_b64 v[0:1], 3, v[1:2]
	s_mov_b32 vcc_lo, s1
	v_div_fmas_f32 v6, v6, v9, v13
	s_delay_alu instid0(VALU_DEP_3) | instskip(NEXT) | instid1(VALU_DEP_3)
	v_div_fixup_f32 v2, v7, v3, v4
	v_add_co_u32 v0, vcc_lo, s35, v0
	s_delay_alu instid0(VALU_DEP_3)
	v_div_fixup_f32 v3, v6, v3, v5
	v_add_co_ci_u32_e32 v1, vcc_lo, s67, v1, vcc_lo
	global_store_b64 v[0:1], v[2:3], off
.LBB19_478:                             ;   in Loop: Header=BB19_15 Depth=1
	s_or_b32 exec_lo, exec_lo, s2
	v_mov_b32_e32 v0, 50
	s_and_saveexec_b32 s0, s93
	s_cbranch_execz .LBB19_480
; %bb.479:                              ;   in Loop: Header=BB19_15 Depth=1
	s_clause 0x1
	scratch_load_b32 v1, off, off offset:1324
	scratch_load_b32 v10, off, off offset:960
	ds_load_b32 v0, v65 offset:128
	s_waitcnt vmcnt(1)
	ds_load_b32 v3, v1 offset:228
	s_waitcnt lgkmcnt(1)
	v_cvt_f32_f16_e32 v1, v0
	v_lshrrev_b32_e32 v0, 16, v0
	s_delay_alu instid0(VALU_DEP_1) | instskip(NEXT) | instid1(VALU_DEP_1)
	v_cvt_f32_f16_e32 v0, v0
	v_dual_add_f32 v2, 0, v1 :: v_dual_add_f32 v5, 0, v0
	s_waitcnt vmcnt(0)
	v_mad_u64_u32 v[0:1], null, v10, s9, v[83:84]
	s_waitcnt lgkmcnt(0)
	s_delay_alu instid0(VALU_DEP_2) | instskip(SKIP_2) | instid1(VALU_DEP_3)
	v_div_scale_f32 v4, null, v3, v3, v2
	v_div_scale_f32 v7, null, v3, v3, v5
	v_div_scale_f32 v1, vcc_lo, v2, v3, v2
	v_rcp_f32_e32 v6, v4
	s_delay_alu instid0(VALU_DEP_2)
	v_rcp_f32_e32 v8, v7
	v_div_scale_f32 v10, s1, v5, v3, v5
	v_mul_lo_u32 v0, v0, 56
	s_waitcnt_depctr 0xfff
	v_fma_f32 v9, -v4, v6, 1.0
	v_ashrrev_i32_e32 v13, 31, v0
	s_delay_alu instid0(VALU_DEP_2) | instskip(SKIP_1) | instid1(VALU_DEP_1)
	v_fmac_f32_e32 v6, v9, v6
	v_fma_f32 v9, -v7, v8, 1.0
	v_fmac_f32_e32 v8, v9, v8
	s_delay_alu instid0(VALU_DEP_1) | instskip(NEXT) | instid1(VALU_DEP_1)
	v_dual_mul_f32 v11, v1, v6 :: v_dual_mul_f32 v12, v10, v8
	v_fma_f32 v9, -v4, v11, v1
	s_delay_alu instid0(VALU_DEP_1) | instskip(NEXT) | instid1(VALU_DEP_3)
	v_fmac_f32_e32 v11, v9, v6
	v_fma_f32 v9, -v7, v12, v10
	s_delay_alu instid0(VALU_DEP_2) | instskip(SKIP_4) | instid1(VALU_DEP_2)
	v_fma_f32 v4, -v4, v11, v1
	scratch_load_b32 v1, off, off offset:1160 ; 4-byte Folded Reload
	v_fmac_f32_e32 v12, v9, v8
	v_div_fmas_f32 v4, v4, v6, v11
	s_mov_b32 vcc_lo, s1
	v_fma_f32 v7, -v7, v12, v10
	s_delay_alu instid0(VALU_DEP_2) | instskip(NEXT) | instid1(VALU_DEP_2)
	v_div_fixup_f32 v2, v4, v3, v2
	v_div_fmas_f32 v6, v7, v8, v12
	s_delay_alu instid0(VALU_DEP_1) | instskip(SKIP_2) | instid1(VALU_DEP_1)
	v_div_fixup_f32 v3, v6, v3, v5
	s_waitcnt vmcnt(0)
	v_add_co_u32 v0, s2, v0, v1
	v_add_co_ci_u32_e64 v1, s2, 0, v13, s2
	s_delay_alu instid0(VALU_DEP_1) | instskip(NEXT) | instid1(VALU_DEP_1)
	v_lshlrev_b64 v[0:1], 3, v[0:1]
	v_add_co_u32 v4, vcc_lo, s35, v0
	v_mov_b32_e32 v0, 0
	s_delay_alu instid0(VALU_DEP_3)
	v_add_co_ci_u32_e32 v5, vcc_lo, s67, v1, vcc_lo
	global_store_b64 v[4:5], v[2:3], off offset:256
.LBB19_480:                             ;   in Loop: Header=BB19_15 Depth=1
	s_or_b32 exec_lo, exec_lo, s0
	s_mov_b32 s1, -1
	s_mov_b32 s0, exec_lo
	v_cmpx_gt_i32_e32 50, v0
; %bb.481:                              ;   in Loop: Header=BB19_15 Depth=1
	v_cmp_eq_u32_e32 vcc_lo, 0, v0
	s_or_not1_b32 s1, vcc_lo, exec_lo
; %bb.482:                              ;   in Loop: Header=BB19_15 Depth=1
	s_or_b32 exec_lo, exec_lo, s0
	s_and_saveexec_b32 s0, s1
	s_cbranch_execz .LBB19_515
; %bb.483:                              ;   in Loop: Header=BB19_15 Depth=1
	v_mov_b32_e32 v0, 50
	s_and_saveexec_b32 s3, s92
	s_cbranch_execz .LBB19_485
; %bb.484:                              ;   in Loop: Header=BB19_15 Depth=1
	s_clause 0x1
	scratch_load_b32 v1, off, off offset:1324
	scratch_load_b32 v10, off, off offset:972
	ds_load_b32 v0, v65 offset:2048
	s_waitcnt vmcnt(1)
	ds_load_b32 v3, v1 offset:2148
	s_waitcnt lgkmcnt(1)
	v_cvt_f32_f16_e32 v1, v0
	v_lshrrev_b32_e32 v0, 16, v0
	s_delay_alu instid0(VALU_DEP_1) | instskip(NEXT) | instid1(VALU_DEP_1)
	v_cvt_f32_f16_e32 v0, v0
	v_dual_add_f32 v2, 0, v1 :: v_dual_add_f32 v5, 0, v0
	s_waitcnt vmcnt(0)
	v_mad_u64_u32 v[0:1], null, v10, s9, v[83:84]
	s_waitcnt lgkmcnt(0)
	s_delay_alu instid0(VALU_DEP_2) | instskip(SKIP_2) | instid1(VALU_DEP_3)
	v_div_scale_f32 v4, null, v3, v3, v2
	v_div_scale_f32 v7, null, v3, v3, v5
	v_div_scale_f32 v1, vcc_lo, v2, v3, v2
	v_rcp_f32_e32 v6, v4
	s_delay_alu instid0(VALU_DEP_2)
	v_rcp_f32_e32 v8, v7
	v_div_scale_f32 v10, s1, v5, v3, v5
	v_mul_lo_u32 v0, v0, 56
	s_waitcnt_depctr 0xfff
	v_fma_f32 v9, -v4, v6, 1.0
	v_ashrrev_i32_e32 v13, 31, v0
	s_delay_alu instid0(VALU_DEP_2) | instskip(SKIP_1) | instid1(VALU_DEP_1)
	v_fmac_f32_e32 v6, v9, v6
	v_fma_f32 v9, -v7, v8, 1.0
	v_fmac_f32_e32 v8, v9, v8
	s_delay_alu instid0(VALU_DEP_1) | instskip(NEXT) | instid1(VALU_DEP_1)
	v_dual_mul_f32 v11, v1, v6 :: v_dual_mul_f32 v12, v10, v8
	v_fma_f32 v9, -v4, v11, v1
	s_delay_alu instid0(VALU_DEP_1) | instskip(NEXT) | instid1(VALU_DEP_3)
	v_fmac_f32_e32 v11, v9, v6
	v_fma_f32 v9, -v7, v12, v10
	s_delay_alu instid0(VALU_DEP_2) | instskip(SKIP_4) | instid1(VALU_DEP_2)
	v_fma_f32 v4, -v4, v11, v1
	scratch_load_b32 v1, off, off offset:1160 ; 4-byte Folded Reload
	v_fmac_f32_e32 v12, v9, v8
	v_div_fmas_f32 v4, v4, v6, v11
	s_mov_b32 vcc_lo, s1
	v_fma_f32 v7, -v7, v12, v10
	s_delay_alu instid0(VALU_DEP_2) | instskip(NEXT) | instid1(VALU_DEP_2)
	v_div_fixup_f32 v2, v4, v3, v2
	v_div_fmas_f32 v6, v7, v8, v12
	s_delay_alu instid0(VALU_DEP_1) | instskip(SKIP_2) | instid1(VALU_DEP_1)
	v_div_fixup_f32 v3, v6, v3, v5
	s_waitcnt vmcnt(0)
	v_add_co_u32 v0, s2, v0, v1
	v_add_co_ci_u32_e64 v1, s2, 0, v13, s2
	s_delay_alu instid0(VALU_DEP_1) | instskip(NEXT) | instid1(VALU_DEP_1)
	v_lshlrev_b64 v[0:1], 3, v[0:1]
	v_add_co_u32 v4, vcc_lo, s35, v0
	v_mov_b32_e32 v0, 0
	s_delay_alu instid0(VALU_DEP_3)
	v_add_co_ci_u32_e32 v5, vcc_lo, s67, v1, vcc_lo
	global_store_b64 v[4:5], v[2:3], off offset:256
.LBB19_485:                             ;   in Loop: Header=BB19_15 Depth=1
	s_or_b32 exec_lo, exec_lo, s3
	s_mov_b32 s1, -1
	s_mov_b32 s2, exec_lo
	v_cmpx_gt_i32_e32 50, v0
; %bb.486:                              ;   in Loop: Header=BB19_15 Depth=1
	v_cmp_eq_u32_e32 vcc_lo, 0, v0
	s_or_not1_b32 s1, vcc_lo, exec_lo
; %bb.487:                              ;   in Loop: Header=BB19_15 Depth=1
	s_or_b32 exec_lo, exec_lo, s2
	s_delay_alu instid0(SALU_CYCLE_1)
	s_and_b32 exec_lo, exec_lo, s1
	s_cbranch_execz .LBB19_515
; %bb.488:                              ;   in Loop: Header=BB19_15 Depth=1
	v_mov_b32_e32 v0, 50
	s_and_saveexec_b32 s3, s91
	s_cbranch_execz .LBB19_490
; %bb.489:                              ;   in Loop: Header=BB19_15 Depth=1
	s_clause 0x2
	scratch_load_b32 v0, off, off offset:1460
	scratch_load_b32 v1, off, off offset:1492
	;; [unrolled: 1-line block ×3, first 2 shown]
	s_waitcnt vmcnt(2)
	ds_load_b32 v0, v0 offset:128
	s_waitcnt vmcnt(1)
	ds_load_b32 v3, v1 offset:228
	s_waitcnt lgkmcnt(1)
	v_cvt_f32_f16_e32 v1, v0
	v_lshrrev_b32_e32 v0, 16, v0
	s_delay_alu instid0(VALU_DEP_1) | instskip(NEXT) | instid1(VALU_DEP_1)
	v_cvt_f32_f16_e32 v0, v0
	v_dual_add_f32 v2, 0, v1 :: v_dual_add_f32 v5, 0, v0
	s_waitcnt lgkmcnt(0)
	s_delay_alu instid0(VALU_DEP_1) | instskip(SKIP_3) | instid1(VALU_DEP_3)
	v_div_scale_f32 v4, null, v3, v3, v2
	s_waitcnt vmcnt(0)
	v_mad_u64_u32 v[0:1], null, v10, s9, v[83:84]
	v_div_scale_f32 v7, null, v3, v3, v5
	v_rcp_f32_e32 v6, v4
	v_div_scale_f32 v1, vcc_lo, v2, v3, v2
	s_delay_alu instid0(VALU_DEP_2) | instskip(SKIP_1) | instid1(VALU_DEP_4)
	v_rcp_f32_e32 v8, v7
	v_div_scale_f32 v10, s1, v5, v3, v5
	v_mul_lo_u32 v0, v0, 56
	s_waitcnt_depctr 0xfff
	v_fma_f32 v9, -v4, v6, 1.0
	v_ashrrev_i32_e32 v13, 31, v0
	s_delay_alu instid0(VALU_DEP_2) | instskip(SKIP_1) | instid1(VALU_DEP_1)
	v_fmac_f32_e32 v6, v9, v6
	v_fma_f32 v9, -v7, v8, 1.0
	v_fmac_f32_e32 v8, v9, v8
	s_delay_alu instid0(VALU_DEP_1) | instskip(NEXT) | instid1(VALU_DEP_1)
	v_dual_mul_f32 v11, v1, v6 :: v_dual_mul_f32 v12, v10, v8
	v_fma_f32 v9, -v4, v11, v1
	s_delay_alu instid0(VALU_DEP_1) | instskip(NEXT) | instid1(VALU_DEP_3)
	v_fmac_f32_e32 v11, v9, v6
	v_fma_f32 v9, -v7, v12, v10
	s_delay_alu instid0(VALU_DEP_2) | instskip(SKIP_4) | instid1(VALU_DEP_2)
	v_fma_f32 v4, -v4, v11, v1
	scratch_load_b32 v1, off, off offset:1160 ; 4-byte Folded Reload
	v_fmac_f32_e32 v12, v9, v8
	v_div_fmas_f32 v4, v4, v6, v11
	s_mov_b32 vcc_lo, s1
	v_fma_f32 v7, -v7, v12, v10
	s_delay_alu instid0(VALU_DEP_2) | instskip(NEXT) | instid1(VALU_DEP_2)
	v_div_fixup_f32 v2, v4, v3, v2
	v_div_fmas_f32 v6, v7, v8, v12
	s_delay_alu instid0(VALU_DEP_1) | instskip(SKIP_2) | instid1(VALU_DEP_1)
	v_div_fixup_f32 v3, v6, v3, v5
	s_waitcnt vmcnt(0)
	v_add_co_u32 v0, s2, v0, v1
	v_add_co_ci_u32_e64 v1, s2, 0, v13, s2
	s_delay_alu instid0(VALU_DEP_1) | instskip(NEXT) | instid1(VALU_DEP_1)
	v_lshlrev_b64 v[0:1], 3, v[0:1]
	v_add_co_u32 v4, vcc_lo, s35, v0
	v_mov_b32_e32 v0, 0
	s_delay_alu instid0(VALU_DEP_3)
	v_add_co_ci_u32_e32 v5, vcc_lo, s67, v1, vcc_lo
	global_store_b64 v[4:5], v[2:3], off offset:256
.LBB19_490:                             ;   in Loop: Header=BB19_15 Depth=1
	s_or_b32 exec_lo, exec_lo, s3
	s_mov_b32 s1, -1
	s_mov_b32 s2, exec_lo
	v_cmpx_gt_i32_e32 50, v0
; %bb.491:                              ;   in Loop: Header=BB19_15 Depth=1
	v_cmp_eq_u32_e32 vcc_lo, 0, v0
	s_or_not1_b32 s1, vcc_lo, exec_lo
; %bb.492:                              ;   in Loop: Header=BB19_15 Depth=1
	s_or_b32 exec_lo, exec_lo, s2
	s_delay_alu instid0(SALU_CYCLE_1)
	s_and_b32 exec_lo, exec_lo, s1
	s_cbranch_execz .LBB19_515
; %bb.493:                              ;   in Loop: Header=BB19_15 Depth=1
	v_mov_b32_e32 v0, 50
	s_and_saveexec_b32 s3, s90
	s_cbranch_execz .LBB19_495
; %bb.494:                              ;   in Loop: Header=BB19_15 Depth=1
	s_clause 0x1
	scratch_load_b32 v1, off, off offset:1324
	scratch_load_b32 v10, off, off offset:1192
	ds_load_b32 v0, v65 offset:5888
	s_waitcnt vmcnt(1)
	ds_load_b32 v3, v1 offset:5988
	s_waitcnt lgkmcnt(1)
	v_cvt_f32_f16_e32 v1, v0
	v_lshrrev_b32_e32 v0, 16, v0
	s_delay_alu instid0(VALU_DEP_1) | instskip(NEXT) | instid1(VALU_DEP_1)
	v_cvt_f32_f16_e32 v0, v0
	v_dual_add_f32 v2, 0, v1 :: v_dual_add_f32 v5, 0, v0
	s_waitcnt vmcnt(0)
	v_mad_u64_u32 v[0:1], null, v10, s9, v[83:84]
	s_waitcnt lgkmcnt(0)
	s_delay_alu instid0(VALU_DEP_2) | instskip(SKIP_2) | instid1(VALU_DEP_3)
	v_div_scale_f32 v4, null, v3, v3, v2
	v_div_scale_f32 v7, null, v3, v3, v5
	v_div_scale_f32 v1, vcc_lo, v2, v3, v2
	v_rcp_f32_e32 v6, v4
	s_delay_alu instid0(VALU_DEP_2)
	v_rcp_f32_e32 v8, v7
	v_div_scale_f32 v10, s1, v5, v3, v5
	v_mul_lo_u32 v0, v0, 56
	s_waitcnt_depctr 0xfff
	v_fma_f32 v9, -v4, v6, 1.0
	v_ashrrev_i32_e32 v13, 31, v0
	s_delay_alu instid0(VALU_DEP_2) | instskip(SKIP_1) | instid1(VALU_DEP_1)
	v_fmac_f32_e32 v6, v9, v6
	v_fma_f32 v9, -v7, v8, 1.0
	v_fmac_f32_e32 v8, v9, v8
	s_delay_alu instid0(VALU_DEP_1) | instskip(NEXT) | instid1(VALU_DEP_1)
	v_dual_mul_f32 v11, v1, v6 :: v_dual_mul_f32 v12, v10, v8
	v_fma_f32 v9, -v4, v11, v1
	s_delay_alu instid0(VALU_DEP_1) | instskip(NEXT) | instid1(VALU_DEP_3)
	v_fmac_f32_e32 v11, v9, v6
	v_fma_f32 v9, -v7, v12, v10
	s_delay_alu instid0(VALU_DEP_2) | instskip(SKIP_4) | instid1(VALU_DEP_2)
	v_fma_f32 v4, -v4, v11, v1
	scratch_load_b32 v1, off, off offset:1160 ; 4-byte Folded Reload
	v_fmac_f32_e32 v12, v9, v8
	v_div_fmas_f32 v4, v4, v6, v11
	s_mov_b32 vcc_lo, s1
	v_fma_f32 v7, -v7, v12, v10
	s_delay_alu instid0(VALU_DEP_2) | instskip(NEXT) | instid1(VALU_DEP_2)
	v_div_fixup_f32 v2, v4, v3, v2
	v_div_fmas_f32 v6, v7, v8, v12
	s_delay_alu instid0(VALU_DEP_1) | instskip(SKIP_2) | instid1(VALU_DEP_1)
	v_div_fixup_f32 v3, v6, v3, v5
	s_waitcnt vmcnt(0)
	v_add_co_u32 v0, s2, v0, v1
	v_add_co_ci_u32_e64 v1, s2, 0, v13, s2
	s_delay_alu instid0(VALU_DEP_1) | instskip(NEXT) | instid1(VALU_DEP_1)
	v_lshlrev_b64 v[0:1], 3, v[0:1]
	v_add_co_u32 v4, vcc_lo, s35, v0
	v_mov_b32_e32 v0, 0
	s_delay_alu instid0(VALU_DEP_3)
	v_add_co_ci_u32_e32 v5, vcc_lo, s67, v1, vcc_lo
	global_store_b64 v[4:5], v[2:3], off offset:256
.LBB19_495:                             ;   in Loop: Header=BB19_15 Depth=1
	s_or_b32 exec_lo, exec_lo, s3
	s_mov_b32 s1, -1
	s_mov_b32 s2, exec_lo
	v_cmpx_gt_i32_e32 50, v0
; %bb.496:                              ;   in Loop: Header=BB19_15 Depth=1
	v_cmp_eq_u32_e32 vcc_lo, 0, v0
	s_or_not1_b32 s1, vcc_lo, exec_lo
; %bb.497:                              ;   in Loop: Header=BB19_15 Depth=1
	s_or_b32 exec_lo, exec_lo, s2
	s_delay_alu instid0(SALU_CYCLE_1)
	s_and_b32 exec_lo, exec_lo, s1
	s_cbranch_execz .LBB19_515
; %bb.498:                              ;   in Loop: Header=BB19_15 Depth=1
	v_mov_b32_e32 v0, 50
	s_and_saveexec_b32 s3, s89
	s_cbranch_execz .LBB19_500
; %bb.499:                              ;   in Loop: Header=BB19_15 Depth=1
	s_clause 0x2
	scratch_load_b32 v0, off, off offset:1504
	scratch_load_b32 v1, off, off offset:1520
	;; [unrolled: 1-line block ×3, first 2 shown]
	s_waitcnt vmcnt(2)
	ds_load_b32 v0, v0 offset:128
	s_waitcnt vmcnt(1)
	ds_load_b32 v3, v1 offset:228
	s_waitcnt lgkmcnt(1)
	v_cvt_f32_f16_e32 v1, v0
	v_lshrrev_b32_e32 v0, 16, v0
	s_delay_alu instid0(VALU_DEP_1) | instskip(NEXT) | instid1(VALU_DEP_1)
	v_cvt_f32_f16_e32 v0, v0
	v_dual_add_f32 v2, 0, v1 :: v_dual_add_f32 v5, 0, v0
	s_waitcnt lgkmcnt(0)
	s_delay_alu instid0(VALU_DEP_1) | instskip(SKIP_3) | instid1(VALU_DEP_3)
	v_div_scale_f32 v4, null, v3, v3, v2
	s_waitcnt vmcnt(0)
	v_mad_u64_u32 v[0:1], null, v10, s9, v[83:84]
	v_div_scale_f32 v7, null, v3, v3, v5
	v_rcp_f32_e32 v6, v4
	v_div_scale_f32 v1, vcc_lo, v2, v3, v2
	s_delay_alu instid0(VALU_DEP_2) | instskip(SKIP_1) | instid1(VALU_DEP_4)
	v_rcp_f32_e32 v8, v7
	v_div_scale_f32 v10, s1, v5, v3, v5
	v_mul_lo_u32 v0, v0, 56
	s_waitcnt_depctr 0xfff
	v_fma_f32 v9, -v4, v6, 1.0
	v_ashrrev_i32_e32 v13, 31, v0
	s_delay_alu instid0(VALU_DEP_2) | instskip(SKIP_1) | instid1(VALU_DEP_1)
	v_fmac_f32_e32 v6, v9, v6
	v_fma_f32 v9, -v7, v8, 1.0
	v_fmac_f32_e32 v8, v9, v8
	s_delay_alu instid0(VALU_DEP_1) | instskip(NEXT) | instid1(VALU_DEP_1)
	v_dual_mul_f32 v11, v1, v6 :: v_dual_mul_f32 v12, v10, v8
	v_fma_f32 v9, -v4, v11, v1
	s_delay_alu instid0(VALU_DEP_1) | instskip(NEXT) | instid1(VALU_DEP_3)
	v_fmac_f32_e32 v11, v9, v6
	v_fma_f32 v9, -v7, v12, v10
	s_delay_alu instid0(VALU_DEP_2) | instskip(SKIP_4) | instid1(VALU_DEP_2)
	v_fma_f32 v4, -v4, v11, v1
	scratch_load_b32 v1, off, off offset:1160 ; 4-byte Folded Reload
	v_fmac_f32_e32 v12, v9, v8
	v_div_fmas_f32 v4, v4, v6, v11
	s_mov_b32 vcc_lo, s1
	v_fma_f32 v7, -v7, v12, v10
	s_delay_alu instid0(VALU_DEP_2) | instskip(NEXT) | instid1(VALU_DEP_2)
	v_div_fixup_f32 v2, v4, v3, v2
	v_div_fmas_f32 v6, v7, v8, v12
	s_delay_alu instid0(VALU_DEP_1) | instskip(SKIP_2) | instid1(VALU_DEP_1)
	v_div_fixup_f32 v3, v6, v3, v5
	s_waitcnt vmcnt(0)
	v_add_co_u32 v0, s2, v0, v1
	v_add_co_ci_u32_e64 v1, s2, 0, v13, s2
	s_delay_alu instid0(VALU_DEP_1) | instskip(NEXT) | instid1(VALU_DEP_1)
	v_lshlrev_b64 v[0:1], 3, v[0:1]
	v_add_co_u32 v4, vcc_lo, s35, v0
	v_mov_b32_e32 v0, 0
	s_delay_alu instid0(VALU_DEP_3)
	v_add_co_ci_u32_e32 v5, vcc_lo, s67, v1, vcc_lo
	global_store_b64 v[4:5], v[2:3], off offset:256
.LBB19_500:                             ;   in Loop: Header=BB19_15 Depth=1
	s_or_b32 exec_lo, exec_lo, s3
	s_mov_b32 s1, -1
	s_mov_b32 s2, exec_lo
	v_cmpx_gt_i32_e32 50, v0
; %bb.501:                              ;   in Loop: Header=BB19_15 Depth=1
	v_cmp_eq_u32_e32 vcc_lo, 0, v0
	s_or_not1_b32 s1, vcc_lo, exec_lo
; %bb.502:                              ;   in Loop: Header=BB19_15 Depth=1
	s_or_b32 exec_lo, exec_lo, s2
	s_delay_alu instid0(SALU_CYCLE_1)
	s_and_b32 exec_lo, exec_lo, s1
	s_cbranch_execz .LBB19_515
; %bb.503:                              ;   in Loop: Header=BB19_15 Depth=1
	v_mov_b32_e32 v0, 50
	s_mov_b32 s3, exec_lo
	v_readlane_b32 s1, v255, 2
	s_delay_alu instid0(VALU_DEP_1) | instskip(NEXT) | instid1(SALU_CYCLE_1)
	s_and_b32 s1, s3, s1
	s_mov_b32 exec_lo, s1
	s_cbranch_execz .LBB19_505
; %bb.504:                              ;   in Loop: Header=BB19_15 Depth=1
	s_clause 0x1
	scratch_load_b32 v1, off, off offset:1324
	scratch_load_b32 v10, off, off offset:1208
	ds_load_b32 v0, v65 offset:9728
	s_waitcnt vmcnt(1)
	ds_load_b32 v3, v1 offset:9828
	s_waitcnt lgkmcnt(1)
	v_cvt_f32_f16_e32 v1, v0
	v_lshrrev_b32_e32 v0, 16, v0
	s_delay_alu instid0(VALU_DEP_1) | instskip(NEXT) | instid1(VALU_DEP_1)
	v_cvt_f32_f16_e32 v0, v0
	v_dual_add_f32 v2, 0, v1 :: v_dual_add_f32 v5, 0, v0
	s_waitcnt vmcnt(0)
	v_mad_u64_u32 v[0:1], null, v10, s9, v[83:84]
	s_waitcnt lgkmcnt(0)
	s_delay_alu instid0(VALU_DEP_2) | instskip(SKIP_2) | instid1(VALU_DEP_3)
	v_div_scale_f32 v4, null, v3, v3, v2
	v_div_scale_f32 v7, null, v3, v3, v5
	v_div_scale_f32 v1, vcc_lo, v2, v3, v2
	v_rcp_f32_e32 v6, v4
	s_delay_alu instid0(VALU_DEP_2)
	v_rcp_f32_e32 v8, v7
	v_div_scale_f32 v10, s1, v5, v3, v5
	v_mul_lo_u32 v0, v0, 56
	s_waitcnt_depctr 0xfff
	v_fma_f32 v9, -v4, v6, 1.0
	v_ashrrev_i32_e32 v13, 31, v0
	s_delay_alu instid0(VALU_DEP_2) | instskip(SKIP_1) | instid1(VALU_DEP_1)
	v_fmac_f32_e32 v6, v9, v6
	v_fma_f32 v9, -v7, v8, 1.0
	v_fmac_f32_e32 v8, v9, v8
	s_delay_alu instid0(VALU_DEP_1) | instskip(NEXT) | instid1(VALU_DEP_1)
	v_dual_mul_f32 v11, v1, v6 :: v_dual_mul_f32 v12, v10, v8
	v_fma_f32 v9, -v4, v11, v1
	s_delay_alu instid0(VALU_DEP_1) | instskip(NEXT) | instid1(VALU_DEP_3)
	v_fmac_f32_e32 v11, v9, v6
	v_fma_f32 v9, -v7, v12, v10
	s_delay_alu instid0(VALU_DEP_2) | instskip(SKIP_4) | instid1(VALU_DEP_2)
	v_fma_f32 v4, -v4, v11, v1
	scratch_load_b32 v1, off, off offset:1160 ; 4-byte Folded Reload
	v_fmac_f32_e32 v12, v9, v8
	v_div_fmas_f32 v4, v4, v6, v11
	s_mov_b32 vcc_lo, s1
	v_fma_f32 v7, -v7, v12, v10
	s_delay_alu instid0(VALU_DEP_2) | instskip(NEXT) | instid1(VALU_DEP_2)
	v_div_fixup_f32 v2, v4, v3, v2
	v_div_fmas_f32 v6, v7, v8, v12
	s_delay_alu instid0(VALU_DEP_1) | instskip(SKIP_2) | instid1(VALU_DEP_1)
	v_div_fixup_f32 v3, v6, v3, v5
	s_waitcnt vmcnt(0)
	v_add_co_u32 v0, s2, v0, v1
	v_add_co_ci_u32_e64 v1, s2, 0, v13, s2
	s_delay_alu instid0(VALU_DEP_1) | instskip(NEXT) | instid1(VALU_DEP_1)
	v_lshlrev_b64 v[0:1], 3, v[0:1]
	v_add_co_u32 v4, vcc_lo, s35, v0
	v_mov_b32_e32 v0, 0
	s_delay_alu instid0(VALU_DEP_3)
	v_add_co_ci_u32_e32 v5, vcc_lo, s67, v1, vcc_lo
	global_store_b64 v[4:5], v[2:3], off offset:256
.LBB19_505:                             ;   in Loop: Header=BB19_15 Depth=1
	s_or_b32 exec_lo, exec_lo, s3
	s_mov_b32 s1, -1
	s_mov_b32 s2, exec_lo
	v_cmpx_gt_i32_e32 50, v0
; %bb.506:                              ;   in Loop: Header=BB19_15 Depth=1
	v_cmp_eq_u32_e32 vcc_lo, 0, v0
	s_or_not1_b32 s1, vcc_lo, exec_lo
; %bb.507:                              ;   in Loop: Header=BB19_15 Depth=1
	s_or_b32 exec_lo, exec_lo, s2
	s_delay_alu instid0(SALU_CYCLE_1)
	s_and_b32 exec_lo, exec_lo, s1
	s_cbranch_execz .LBB19_515
; %bb.508:                              ;   in Loop: Header=BB19_15 Depth=1
	v_mov_b32_e32 v0, 50
	s_mov_b32 s3, exec_lo
	v_readlane_b32 s1, v255, 3
	s_delay_alu instid0(VALU_DEP_1) | instskip(NEXT) | instid1(SALU_CYCLE_1)
	s_and_b32 s1, s3, s1
	s_mov_b32 exec_lo, s1
	s_cbranch_execz .LBB19_510
; %bb.509:                              ;   in Loop: Header=BB19_15 Depth=1
	s_clause 0x2
	scratch_load_b32 v0, off, off offset:1524
	scratch_load_b32 v1, off, off offset:1528
	scratch_load_b32 v10, off, off offset:1232
	s_waitcnt vmcnt(2)
	ds_load_b32 v0, v0 offset:128
	s_waitcnt vmcnt(1)
	ds_load_b32 v3, v1 offset:228
	s_waitcnt lgkmcnt(1)
	v_cvt_f32_f16_e32 v1, v0
	v_lshrrev_b32_e32 v0, 16, v0
	s_delay_alu instid0(VALU_DEP_1) | instskip(NEXT) | instid1(VALU_DEP_1)
	v_cvt_f32_f16_e32 v0, v0
	v_dual_add_f32 v2, 0, v1 :: v_dual_add_f32 v5, 0, v0
	s_waitcnt lgkmcnt(0)
	s_delay_alu instid0(VALU_DEP_1) | instskip(SKIP_3) | instid1(VALU_DEP_3)
	v_div_scale_f32 v4, null, v3, v3, v2
	s_waitcnt vmcnt(0)
	v_mad_u64_u32 v[0:1], null, v10, s9, v[83:84]
	v_div_scale_f32 v7, null, v3, v3, v5
	v_rcp_f32_e32 v6, v4
	v_div_scale_f32 v1, vcc_lo, v2, v3, v2
	s_delay_alu instid0(VALU_DEP_2) | instskip(SKIP_1) | instid1(VALU_DEP_4)
	v_rcp_f32_e32 v8, v7
	v_div_scale_f32 v10, s1, v5, v3, v5
	v_mul_lo_u32 v0, v0, 56
	s_waitcnt_depctr 0xfff
	v_fma_f32 v9, -v4, v6, 1.0
	v_ashrrev_i32_e32 v13, 31, v0
	s_delay_alu instid0(VALU_DEP_2) | instskip(SKIP_1) | instid1(VALU_DEP_1)
	v_fmac_f32_e32 v6, v9, v6
	v_fma_f32 v9, -v7, v8, 1.0
	v_fmac_f32_e32 v8, v9, v8
	s_delay_alu instid0(VALU_DEP_1) | instskip(NEXT) | instid1(VALU_DEP_1)
	v_dual_mul_f32 v11, v1, v6 :: v_dual_mul_f32 v12, v10, v8
	v_fma_f32 v9, -v4, v11, v1
	s_delay_alu instid0(VALU_DEP_1) | instskip(NEXT) | instid1(VALU_DEP_3)
	v_fmac_f32_e32 v11, v9, v6
	v_fma_f32 v9, -v7, v12, v10
	s_delay_alu instid0(VALU_DEP_2) | instskip(SKIP_4) | instid1(VALU_DEP_2)
	v_fma_f32 v4, -v4, v11, v1
	scratch_load_b32 v1, off, off offset:1160 ; 4-byte Folded Reload
	v_fmac_f32_e32 v12, v9, v8
	v_div_fmas_f32 v4, v4, v6, v11
	s_mov_b32 vcc_lo, s1
	v_fma_f32 v7, -v7, v12, v10
	s_delay_alu instid0(VALU_DEP_2) | instskip(NEXT) | instid1(VALU_DEP_2)
	v_div_fixup_f32 v2, v4, v3, v2
	v_div_fmas_f32 v6, v7, v8, v12
	s_delay_alu instid0(VALU_DEP_1) | instskip(SKIP_2) | instid1(VALU_DEP_1)
	v_div_fixup_f32 v3, v6, v3, v5
	s_waitcnt vmcnt(0)
	v_add_co_u32 v0, s2, v0, v1
	v_add_co_ci_u32_e64 v1, s2, 0, v13, s2
	s_delay_alu instid0(VALU_DEP_1) | instskip(NEXT) | instid1(VALU_DEP_1)
	v_lshlrev_b64 v[0:1], 3, v[0:1]
	v_add_co_u32 v4, vcc_lo, s35, v0
	v_mov_b32_e32 v0, 0
	s_delay_alu instid0(VALU_DEP_3)
	v_add_co_ci_u32_e32 v5, vcc_lo, s67, v1, vcc_lo
	global_store_b64 v[4:5], v[2:3], off offset:256
.LBB19_510:                             ;   in Loop: Header=BB19_15 Depth=1
	s_or_b32 exec_lo, exec_lo, s3
	s_mov_b32 s1, -1
	s_mov_b32 s2, exec_lo
	v_cmpx_gt_i32_e32 50, v0
; %bb.511:                              ;   in Loop: Header=BB19_15 Depth=1
	v_cmp_eq_u32_e32 vcc_lo, 0, v0
	s_or_not1_b32 s1, vcc_lo, exec_lo
; %bb.512:                              ;   in Loop: Header=BB19_15 Depth=1
	s_or_b32 exec_lo, exec_lo, s2
	s_delay_alu instid0(SALU_CYCLE_1)
	s_and_b32 exec_lo, exec_lo, s1
	s_cbranch_execz .LBB19_515
; %bb.513:                              ;   in Loop: Header=BB19_15 Depth=1
	v_readlane_b32 s1, v255, 4
	s_delay_alu instid0(VALU_DEP_1)
	s_and_b32 exec_lo, exec_lo, s1
	s_cbranch_execz .LBB19_515
; %bb.514:                              ;   in Loop: Header=BB19_15 Depth=1
	s_clause 0x1
	scratch_load_b32 v1, off, off offset:1324
	scratch_load_b32 v10, off, off offset:1240
	ds_load_b32 v0, v65 offset:13568
	s_waitcnt vmcnt(1)
	ds_load_b32 v3, v1 offset:13668
	s_waitcnt lgkmcnt(1)
	v_cvt_f32_f16_e32 v1, v0
	v_lshrrev_b32_e32 v0, 16, v0
	s_delay_alu instid0(VALU_DEP_1) | instskip(NEXT) | instid1(VALU_DEP_1)
	v_cvt_f32_f16_e32 v0, v0
	v_dual_add_f32 v2, 0, v1 :: v_dual_add_f32 v5, 0, v0
	s_waitcnt vmcnt(0)
	v_mad_u64_u32 v[0:1], null, v10, s9, v[83:84]
	s_waitcnt lgkmcnt(0)
	s_delay_alu instid0(VALU_DEP_2) | instskip(SKIP_2) | instid1(VALU_DEP_3)
	v_div_scale_f32 v4, null, v3, v3, v2
	v_div_scale_f32 v7, null, v3, v3, v5
	v_div_scale_f32 v1, vcc_lo, v2, v3, v2
	v_rcp_f32_e32 v6, v4
	s_delay_alu instid0(VALU_DEP_2)
	v_rcp_f32_e32 v8, v7
	v_div_scale_f32 v10, s1, v5, v3, v5
	v_mul_lo_u32 v0, v0, 56
	s_waitcnt_depctr 0xfff
	v_fma_f32 v9, -v4, v6, 1.0
	v_ashrrev_i32_e32 v13, 31, v0
	s_delay_alu instid0(VALU_DEP_2) | instskip(SKIP_1) | instid1(VALU_DEP_1)
	v_fmac_f32_e32 v6, v9, v6
	v_fma_f32 v9, -v7, v8, 1.0
	v_fmac_f32_e32 v8, v9, v8
	s_delay_alu instid0(VALU_DEP_1) | instskip(NEXT) | instid1(VALU_DEP_1)
	v_dual_mul_f32 v11, v1, v6 :: v_dual_mul_f32 v12, v10, v8
	v_fma_f32 v9, -v4, v11, v1
	s_delay_alu instid0(VALU_DEP_1) | instskip(NEXT) | instid1(VALU_DEP_3)
	v_fmac_f32_e32 v11, v9, v6
	v_fma_f32 v9, -v7, v12, v10
	s_delay_alu instid0(VALU_DEP_2) | instskip(SKIP_4) | instid1(VALU_DEP_2)
	v_fma_f32 v4, -v4, v11, v1
	scratch_load_b32 v1, off, off offset:1160 ; 4-byte Folded Reload
	v_fmac_f32_e32 v12, v9, v8
	v_div_fmas_f32 v4, v4, v6, v11
	s_mov_b32 vcc_lo, s1
	v_fma_f32 v7, -v7, v12, v10
	s_delay_alu instid0(VALU_DEP_2) | instskip(NEXT) | instid1(VALU_DEP_2)
	v_div_fixup_f32 v2, v4, v3, v2
	v_div_fmas_f32 v6, v7, v8, v12
	s_delay_alu instid0(VALU_DEP_1) | instskip(SKIP_2) | instid1(VALU_DEP_1)
	v_div_fixup_f32 v3, v6, v3, v5
	s_waitcnt vmcnt(0)
	v_add_co_u32 v0, s2, v0, v1
	v_add_co_ci_u32_e64 v1, s2, 0, v13, s2
	s_delay_alu instid0(VALU_DEP_1) | instskip(NEXT) | instid1(VALU_DEP_1)
	v_lshlrev_b64 v[0:1], 3, v[0:1]
	v_add_co_u32 v0, vcc_lo, s35, v0
	s_delay_alu instid0(VALU_DEP_2)
	v_add_co_ci_u32_e32 v1, vcc_lo, s67, v1, vcc_lo
	global_store_b64 v[0:1], v[2:3], off offset:256
.LBB19_515:                             ;   in Loop: Header=BB19_15 Depth=1
	s_or_b32 exec_lo, exec_lo, s0
	v_mov_b32_e32 v0, 50
	s_and_saveexec_b32 s0, s79
	s_cbranch_execz .LBB19_517
; %bb.516:                              ;   in Loop: Header=BB19_15 Depth=1
	s_clause 0x2
	scratch_load_b32 v0, off, off offset:928
	scratch_load_b32 v10, off, off offset:956
	;; [unrolled: 1-line block ×3, first 2 shown]
	s_waitcnt vmcnt(2)
	ds_load_b32 v0, v0 offset:192
	s_waitcnt vmcnt(0)
	ds_load_b32 v3, v1 offset:228
	s_waitcnt lgkmcnt(1)
	v_lshrrev_b32_e32 v1, 16, v0
	v_cvt_f32_f16_e32 v0, v0
	s_delay_alu instid0(VALU_DEP_2) | instskip(NEXT) | instid1(VALU_DEP_2)
	v_cvt_f32_f16_e32 v1, v1
	v_add_f32_e32 v2, 0, v0
	s_waitcnt lgkmcnt(0)
	s_delay_alu instid0(VALU_DEP_1) | instskip(NEXT) | instid1(VALU_DEP_1)
	v_div_scale_f32 v5, null, v3, v3, v2
	v_rcp_f32_e32 v7, v5
	s_waitcnt_depctr 0xfff
	v_fma_f32 v9, -v5, v7, 1.0
	s_delay_alu instid0(VALU_DEP_1) | instskip(SKIP_2) | instid1(VALU_DEP_1)
	v_dual_fmac_f32 v7, v9, v7 :: v_dual_add_f32 v4, 0, v1
	v_mad_u64_u32 v[0:1], null, v10, s9, v[84:85]
	v_div_scale_f32 v10, vcc_lo, v2, v3, v2
	v_mul_f32_e32 v11, v10, v7
	s_delay_alu instid0(VALU_DEP_4) | instskip(SKIP_2) | instid1(VALU_DEP_3)
	v_div_scale_f32 v6, null, v3, v3, v4
	v_div_scale_f32 v9, s1, v4, v3, v4
	v_mul_lo_u32 v0, v0, 56
	v_rcp_f32_e32 v8, v6
	s_waitcnt_depctr 0xfff
	v_fma_f32 v1, -v6, v8, 1.0
	s_delay_alu instid0(VALU_DEP_1) | instskip(SKIP_1) | instid1(VALU_DEP_2)
	v_fmac_f32_e32 v8, v1, v8
	v_fma_f32 v1, -v5, v11, v10
	v_mul_f32_e32 v12, v9, v8
	s_delay_alu instid0(VALU_DEP_2) | instskip(SKIP_1) | instid1(VALU_DEP_3)
	v_fmac_f32_e32 v11, v1, v7
	v_ashrrev_i32_e32 v1, 31, v0
	v_fma_f32 v13, -v6, v12, v9
	s_delay_alu instid0(VALU_DEP_3) | instskip(NEXT) | instid1(VALU_DEP_3)
	v_fma_f32 v5, -v5, v11, v10
	v_or_b32_e32 v1, 0, v1
	s_delay_alu instid0(VALU_DEP_3) | instskip(SKIP_4) | instid1(VALU_DEP_2)
	v_fmac_f32_e32 v12, v13, v8
	scratch_load_b32 v13, off, off offset:940 ; 4-byte Folded Reload
	v_div_fmas_f32 v5, v5, v7, v11
	s_mov_b32 vcc_lo, s1
	v_fma_f32 v6, -v6, v12, v9
	v_div_fixup_f32 v2, v5, v3, v2
	s_delay_alu instid0(VALU_DEP_2) | instskip(NEXT) | instid1(VALU_DEP_1)
	v_div_fmas_f32 v6, v6, v8, v12
	v_div_fixup_f32 v3, v6, v3, v4
	s_waitcnt vmcnt(0)
	v_or_b32_e32 v0, v0, v13
	s_delay_alu instid0(VALU_DEP_1) | instskip(NEXT) | instid1(VALU_DEP_1)
	v_lshlrev_b64 v[0:1], 3, v[0:1]
	v_add_co_u32 v4, vcc_lo, s35, v0
	v_mov_b32_e32 v0, 0
	s_delay_alu instid0(VALU_DEP_3)
	v_add_co_ci_u32_e32 v5, vcc_lo, s67, v1, vcc_lo
	global_store_b64 v[4:5], v[2:3], off offset:384
.LBB19_517:                             ;   in Loop: Header=BB19_15 Depth=1
	s_or_b32 exec_lo, exec_lo, s0
	s_mov_b32 s1, -1
	s_mov_b32 s0, exec_lo
	v_cmpx_gt_i32_e32 50, v0
; %bb.518:                              ;   in Loop: Header=BB19_15 Depth=1
	v_cmp_eq_u32_e32 vcc_lo, 0, v0
	s_or_not1_b32 s1, vcc_lo, exec_lo
; %bb.519:                              ;   in Loop: Header=BB19_15 Depth=1
	s_or_b32 exec_lo, exec_lo, s0
                                        ; implicit-def: $vgpr1
	s_and_saveexec_b32 s0, s1
	s_cbranch_execz .LBB19_535
; %bb.520:                              ;   in Loop: Header=BB19_15 Depth=1
	v_mov_b32_e32 v0, 50
	s_and_saveexec_b32 s2, s76
	s_cbranch_execz .LBB19_522
; %bb.521:                              ;   in Loop: Header=BB19_15 Depth=1
	s_clause 0x2
	scratch_load_b32 v0, off, off offset:1336
	scratch_load_b32 v1, off, off offset:1468
	scratch_load_b32 v10, off, off offset:968
	s_waitcnt vmcnt(2)
	ds_load_b32 v0, v0 offset:192
	s_waitcnt vmcnt(1)
	ds_load_b32 v3, v1 offset:228
	s_waitcnt lgkmcnt(1)
	v_lshrrev_b32_e32 v1, 16, v0
	v_cvt_f32_f16_e32 v0, v0
	s_delay_alu instid0(VALU_DEP_2) | instskip(NEXT) | instid1(VALU_DEP_2)
	v_cvt_f32_f16_e32 v1, v1
	v_add_f32_e32 v2, 0, v0
	s_waitcnt lgkmcnt(0)
	s_delay_alu instid0(VALU_DEP_1) | instskip(NEXT) | instid1(VALU_DEP_1)
	v_div_scale_f32 v5, null, v3, v3, v2
	v_rcp_f32_e32 v7, v5
	s_waitcnt_depctr 0xfff
	v_fma_f32 v9, -v5, v7, 1.0
	s_delay_alu instid0(VALU_DEP_1) | instskip(SKIP_3) | instid1(VALU_DEP_1)
	v_dual_fmac_f32 v7, v9, v7 :: v_dual_add_f32 v4, 0, v1
	s_waitcnt vmcnt(0)
	v_mad_u64_u32 v[0:1], null, v10, s9, v[84:85]
	v_div_scale_f32 v10, vcc_lo, v2, v3, v2
	v_mul_f32_e32 v11, v10, v7
	v_div_scale_f32 v6, null, v3, v3, v4
	v_div_scale_f32 v9, s1, v4, v3, v4
	v_mul_lo_u32 v0, v0, 56
	s_delay_alu instid0(VALU_DEP_3) | instskip(SKIP_2) | instid1(VALU_DEP_1)
	v_rcp_f32_e32 v8, v6
	s_waitcnt_depctr 0xfff
	v_fma_f32 v1, -v6, v8, 1.0
	v_fmac_f32_e32 v8, v1, v8
	v_fma_f32 v1, -v5, v11, v10
	s_delay_alu instid0(VALU_DEP_2) | instskip(NEXT) | instid1(VALU_DEP_2)
	v_mul_f32_e32 v12, v9, v8
	v_fmac_f32_e32 v11, v1, v7
	v_ashrrev_i32_e32 v1, 31, v0
	s_delay_alu instid0(VALU_DEP_3) | instskip(NEXT) | instid1(VALU_DEP_3)
	v_fma_f32 v13, -v6, v12, v9
	v_fma_f32 v5, -v5, v11, v10
	s_delay_alu instid0(VALU_DEP_3) | instskip(NEXT) | instid1(VALU_DEP_3)
	v_or_b32_e32 v1, 0, v1
	v_fmac_f32_e32 v12, v13, v8
	scratch_load_b32 v13, off, off offset:940 ; 4-byte Folded Reload
	v_div_fmas_f32 v5, v5, v7, v11
	s_mov_b32 vcc_lo, s1
	v_fma_f32 v6, -v6, v12, v9
	s_delay_alu instid0(VALU_DEP_2) | instskip(NEXT) | instid1(VALU_DEP_2)
	v_div_fixup_f32 v2, v5, v3, v2
	v_div_fmas_f32 v6, v6, v8, v12
	s_delay_alu instid0(VALU_DEP_1) | instskip(SKIP_2) | instid1(VALU_DEP_1)
	v_div_fixup_f32 v3, v6, v3, v4
	s_waitcnt vmcnt(0)
	v_or_b32_e32 v0, v0, v13
	v_lshlrev_b64 v[0:1], 3, v[0:1]
	s_delay_alu instid0(VALU_DEP_1) | instskip(SKIP_1) | instid1(VALU_DEP_3)
	v_add_co_u32 v4, vcc_lo, s35, v0
	v_mov_b32_e32 v0, 0
	v_add_co_ci_u32_e32 v5, vcc_lo, s67, v1, vcc_lo
	global_store_b64 v[4:5], v[2:3], off offset:384
.LBB19_522:                             ;   in Loop: Header=BB19_15 Depth=1
	s_or_b32 exec_lo, exec_lo, s2
	s_mov_b32 s3, -1
	s_mov_b32 s1, exec_lo
	v_cmpx_gt_i32_e32 50, v0
; %bb.523:                              ;   in Loop: Header=BB19_15 Depth=1
	v_cmp_eq_u32_e32 vcc_lo, 0, v0
	s_or_not1_b32 s3, vcc_lo, exec_lo
; %bb.524:                              ;   in Loop: Header=BB19_15 Depth=1
	s_or_b32 exec_lo, exec_lo, s1
	s_mov_b32 s1, s75
                                        ; implicit-def: $vgpr1
	s_and_saveexec_b32 s2, s3
	s_cbranch_execz .LBB19_534
; %bb.525:                              ;   in Loop: Header=BB19_15 Depth=1
	v_mov_b32_e32 v0, 50
	s_and_saveexec_b32 s3, s74
	s_cbranch_execz .LBB19_527
; %bb.526:                              ;   in Loop: Header=BB19_15 Depth=1
	s_clause 0x2
	scratch_load_b32 v0, off, off offset:1464
	scratch_load_b32 v1, off, off offset:1496
	;; [unrolled: 1-line block ×3, first 2 shown]
	s_waitcnt vmcnt(2)
	ds_load_b32 v0, v0 offset:192
	s_waitcnt vmcnt(1)
	ds_load_b32 v3, v1 offset:228
	s_waitcnt lgkmcnt(1)
	v_lshrrev_b32_e32 v1, 16, v0
	v_cvt_f32_f16_e32 v0, v0
	s_delay_alu instid0(VALU_DEP_2) | instskip(NEXT) | instid1(VALU_DEP_2)
	v_cvt_f32_f16_e32 v1, v1
	v_add_f32_e32 v2, 0, v0
	s_waitcnt lgkmcnt(0)
	s_delay_alu instid0(VALU_DEP_1) | instskip(NEXT) | instid1(VALU_DEP_1)
	v_div_scale_f32 v5, null, v3, v3, v2
	v_rcp_f32_e32 v7, v5
	s_waitcnt_depctr 0xfff
	v_fma_f32 v9, -v5, v7, 1.0
	s_delay_alu instid0(VALU_DEP_1) | instskip(SKIP_3) | instid1(VALU_DEP_1)
	v_dual_fmac_f32 v7, v9, v7 :: v_dual_add_f32 v4, 0, v1
	s_waitcnt vmcnt(0)
	v_mad_u64_u32 v[0:1], null, v10, s9, v[84:85]
	v_div_scale_f32 v10, vcc_lo, v2, v3, v2
	v_mul_f32_e32 v11, v10, v7
	v_div_scale_f32 v6, null, v3, v3, v4
	v_div_scale_f32 v9, s1, v4, v3, v4
	v_mul_lo_u32 v0, v0, 56
	s_delay_alu instid0(VALU_DEP_3) | instskip(SKIP_2) | instid1(VALU_DEP_1)
	v_rcp_f32_e32 v8, v6
	s_waitcnt_depctr 0xfff
	v_fma_f32 v1, -v6, v8, 1.0
	v_fmac_f32_e32 v8, v1, v8
	v_fma_f32 v1, -v5, v11, v10
	s_delay_alu instid0(VALU_DEP_2) | instskip(NEXT) | instid1(VALU_DEP_2)
	v_mul_f32_e32 v12, v9, v8
	v_fmac_f32_e32 v11, v1, v7
	v_ashrrev_i32_e32 v1, 31, v0
	s_delay_alu instid0(VALU_DEP_3) | instskip(NEXT) | instid1(VALU_DEP_3)
	v_fma_f32 v13, -v6, v12, v9
	v_fma_f32 v5, -v5, v11, v10
	s_delay_alu instid0(VALU_DEP_3) | instskip(NEXT) | instid1(VALU_DEP_3)
	v_or_b32_e32 v1, 0, v1
	v_fmac_f32_e32 v12, v13, v8
	scratch_load_b32 v13, off, off offset:940 ; 4-byte Folded Reload
	v_div_fmas_f32 v5, v5, v7, v11
	s_mov_b32 vcc_lo, s1
	v_fma_f32 v6, -v6, v12, v9
	s_delay_alu instid0(VALU_DEP_2) | instskip(NEXT) | instid1(VALU_DEP_2)
	v_div_fixup_f32 v2, v5, v3, v2
	v_div_fmas_f32 v6, v6, v8, v12
	s_delay_alu instid0(VALU_DEP_1) | instskip(SKIP_2) | instid1(VALU_DEP_1)
	v_div_fixup_f32 v3, v6, v3, v4
	s_waitcnt vmcnt(0)
	v_or_b32_e32 v0, v0, v13
	v_lshlrev_b64 v[0:1], 3, v[0:1]
	s_delay_alu instid0(VALU_DEP_1) | instskip(SKIP_1) | instid1(VALU_DEP_3)
	v_add_co_u32 v4, vcc_lo, s35, v0
	v_mov_b32_e32 v0, 0
	v_add_co_ci_u32_e32 v5, vcc_lo, s67, v1, vcc_lo
	global_store_b64 v[4:5], v[2:3], off offset:384
.LBB19_527:                             ;   in Loop: Header=BB19_15 Depth=1
	s_or_b32 exec_lo, exec_lo, s3
	s_mov_b32 s4, -1
	s_mov_b32 s1, exec_lo
	v_cmpx_gt_i32_e32 50, v0
; %bb.528:                              ;   in Loop: Header=BB19_15 Depth=1
	v_cmp_eq_u32_e32 vcc_lo, 0, v0
	s_or_not1_b32 s4, vcc_lo, exec_lo
; %bb.529:                              ;   in Loop: Header=BB19_15 Depth=1
	s_or_b32 exec_lo, exec_lo, s1
	s_mov_b32 s1, s75
                                        ; implicit-def: $vgpr1
	s_and_saveexec_b32 s3, s4
	s_cbranch_execz .LBB19_533
; %bb.530:                              ;   in Loop: Header=BB19_15 Depth=1
	s_mov_b32 s1, s75
                                        ; implicit-def: $vgpr1
	s_and_saveexec_b32 s4, s63
	s_cbranch_execz .LBB19_532
; %bb.531:                              ;   in Loop: Header=BB19_15 Depth=1
	s_clause 0x1
	scratch_load_b32 v0, off, off offset:1484
	scratch_load_b32 v1, off, off offset:1512
	s_waitcnt vmcnt(1)
	ds_load_b32 v0, v0 offset:192
	s_waitcnt vmcnt(0)
	ds_load_b32 v1, v1 offset:228
	s_waitcnt lgkmcnt(1)
	v_lshrrev_b32_e32 v2, 16, v0
	v_cvt_f32_f16_e32 v0, v0
	s_delay_alu instid0(VALU_DEP_2) | instskip(NEXT) | instid1(VALU_DEP_2)
	v_cvt_f32_f16_e32 v2, v2
	v_add_f32_e32 v0, 0, v0
	s_delay_alu instid0(VALU_DEP_2) | instskip(SKIP_1) | instid1(VALU_DEP_2)
	v_add_f32_e32 v2, 0, v2
	s_waitcnt lgkmcnt(0)
	v_div_scale_f32 v3, null, v1, v1, v0
	s_delay_alu instid0(VALU_DEP_2) | instskip(NEXT) | instid1(VALU_DEP_2)
	v_div_scale_f32 v4, null, v1, v1, v2
	v_rcp_f32_e32 v5, v3
	s_delay_alu instid0(VALU_DEP_1) | instskip(SKIP_3) | instid1(VALU_DEP_2)
	v_rcp_f32_e32 v6, v4
	s_waitcnt_depctr 0xfff
	v_fma_f32 v7, -v3, v5, 1.0
	v_fma_f32 v8, -v4, v6, 1.0
	v_fmac_f32_e32 v5, v7, v5
	v_div_scale_f32 v9, vcc_lo, v0, v1, v0
	v_div_scale_f32 v7, s1, v2, v1, v2
	s_delay_alu instid0(VALU_DEP_4) | instskip(NEXT) | instid1(VALU_DEP_3)
	v_fmac_f32_e32 v6, v8, v6
	v_mul_f32_e32 v8, v9, v5
	s_delay_alu instid0(VALU_DEP_2) | instskip(NEXT) | instid1(VALU_DEP_2)
	v_mul_f32_e32 v10, v7, v6
	v_fma_f32 v11, -v3, v8, v9
	s_delay_alu instid0(VALU_DEP_2) | instskip(NEXT) | instid1(VALU_DEP_2)
	v_fma_f32 v12, -v4, v10, v7
	v_fmac_f32_e32 v8, v11, v5
	s_delay_alu instid0(VALU_DEP_2) | instskip(NEXT) | instid1(VALU_DEP_2)
	v_fmac_f32_e32 v10, v12, v6
	v_fma_f32 v3, -v3, v8, v9
	s_delay_alu instid0(VALU_DEP_2) | instskip(NEXT) | instid1(VALU_DEP_2)
	v_fma_f32 v4, -v4, v10, v7
	v_div_fmas_f32 v3, v3, v5, v8
	s_mov_b32 vcc_lo, s1
	s_or_b32 s1, s75, exec_lo
	s_delay_alu instid0(VALU_DEP_2) | instskip(NEXT) | instid1(VALU_DEP_2)
	v_div_fmas_f32 v4, v4, v6, v10
	v_div_fixup_f32 v0, v3, v1, v0
	s_delay_alu instid0(VALU_DEP_2)
	v_div_fixup_f32 v1, v4, v1, v2
.LBB19_532:                             ;   in Loop: Header=BB19_15 Depth=1
	s_or_b32 exec_lo, exec_lo, s4
	s_delay_alu instid0(SALU_CYCLE_1) | instskip(SKIP_1) | instid1(SALU_CYCLE_1)
	s_and_not1_b32 s4, s75, exec_lo
	s_and_b32 s1, s1, exec_lo
	s_or_b32 s1, s4, s1
.LBB19_533:                             ;   in Loop: Header=BB19_15 Depth=1
	s_or_b32 exec_lo, exec_lo, s3
	s_delay_alu instid0(SALU_CYCLE_1) | instskip(SKIP_1) | instid1(SALU_CYCLE_1)
	s_and_not1_b32 s3, s75, exec_lo
	s_and_b32 s1, s1, exec_lo
	s_or_b32 s1, s3, s1
.LBB19_534:                             ;   in Loop: Header=BB19_15 Depth=1
	s_or_b32 exec_lo, exec_lo, s2
	s_delay_alu instid0(SALU_CYCLE_1) | instskip(SKIP_1) | instid1(SALU_CYCLE_1)
	s_and_not1_b32 s2, s75, exec_lo
	s_and_b32 s1, s1, exec_lo
	s_or_b32 s75, s2, s1
.LBB19_535:                             ;   in Loop: Header=BB19_15 Depth=1
	s_or_b32 exec_lo, exec_lo, s0
	s_and_saveexec_b32 s0, s75
	s_cbranch_execz .LBB19_14
.LBB19_536:                             ;   in Loop: Header=BB19_15 Depth=1
	scratch_load_b32 v4, off, off offset:936 ; 4-byte Folded Reload
	s_waitcnt vmcnt(0)
	v_mad_u64_u32 v[2:3], null, v4, s9, v[84:85]
	scratch_load_b32 v4, off, off offset:940 ; 4-byte Folded Reload
	v_mul_lo_u32 v2, v2, 56
	s_delay_alu instid0(VALU_DEP_1) | instskip(NEXT) | instid1(VALU_DEP_1)
	v_ashrrev_i32_e32 v3, 31, v2
	v_or_b32_e32 v3, 0, v3
	s_waitcnt vmcnt(0)
	v_or_b32_e32 v2, v2, v4
	s_delay_alu instid0(VALU_DEP_1) | instskip(NEXT) | instid1(VALU_DEP_1)
	v_lshlrev_b64 v[2:3], 3, v[2:3]
	v_add_co_u32 v2, vcc_lo, s35, v2
	s_delay_alu instid0(VALU_DEP_2)
	v_add_co_ci_u32_e32 v3, vcc_lo, s67, v3, vcc_lo
	global_store_b64 v[2:3], v[0:1], off offset:384
	s_branch .LBB19_14
.LBB19_537:
	v_readlane_b32 s50, v254, 30
	v_readlane_b32 s51, v254, 31
	s_and_not1_b32 vcc_lo, exec_lo, s0
	s_cbranch_vccnz .LBB19_12
.LBB19_538:
	v_readlane_b32 s6, v254, 3
	s_abs_i32 s3, s58
	v_readlane_b32 s9, v254, 2
	v_readlane_b32 s11, v254, 1
	s_delay_alu instid0(VALU_DEP_3) | instskip(NEXT) | instid1(SALU_CYCLE_1)
	s_abs_i32 s0, s6
	v_cvt_f32_u32_e32 v0, s0
	s_sub_i32 s2, 0, s0
	s_delay_alu instid0(VALU_DEP_1) | instskip(SKIP_2) | instid1(VALU_DEP_1)
	v_rcp_iflag_f32_e32 v0, v0
	s_waitcnt_depctr 0xfff
	v_mul_f32_e32 v0, 0x4f7ffffe, v0
	v_cvt_u32_f32_e32 v0, v0
	s_delay_alu instid0(VALU_DEP_1) | instskip(NEXT) | instid1(VALU_DEP_1)
	v_readfirstlane_b32 s1, v0
	s_mul_i32 s2, s2, s1
	s_delay_alu instid0(SALU_CYCLE_1) | instskip(NEXT) | instid1(SALU_CYCLE_1)
	s_mul_hi_u32 s2, s1, s2
	s_add_i32 s1, s1, s2
	s_xor_b32 s2, s58, s6
	s_mul_hi_u32 s1, s3, s1
	s_ashr_i32 s2, s2, 31
	s_mul_i32 s4, s1, s0
	s_delay_alu instid0(SALU_CYCLE_1)
	s_sub_i32 s3, s3, s4
	s_add_i32 s4, s1, 1
	s_sub_i32 s5, s3, s0
	s_cmp_ge_u32 s3, s0
	s_cselect_b32 s1, s4, s1
	s_cselect_b32 s3, s5, s3
	s_add_i32 s4, s1, 1
	s_cmp_ge_u32 s3, s0
	s_cselect_b32 s0, s4, s1
	s_abs_i32 s1, s9
	s_xor_b32 s0, s0, s2
	v_cvt_f32_u32_e32 v0, s1
	s_sub_i32 s2, s0, s2
	s_sub_i32 s0, 0, s1
	s_mul_i32 s4, s2, s6
	s_delay_alu instid0(VALU_DEP_1) | instskip(SKIP_1) | instid1(SALU_CYCLE_1)
	v_rcp_iflag_f32_e32 v0, v0
	s_sub_i32 s4, s58, s4
	s_abs_i32 s5, s4
	s_waitcnt_depctr 0xfff
	v_mul_f32_e32 v0, 0x4f7ffffe, v0
	s_delay_alu instid0(VALU_DEP_1) | instskip(NEXT) | instid1(VALU_DEP_1)
	v_cvt_u32_f32_e32 v0, v0
	v_readfirstlane_b32 s3, v0
	s_delay_alu instid0(VALU_DEP_1) | instskip(NEXT) | instid1(SALU_CYCLE_1)
	s_mul_i32 s0, s0, s3
	s_mul_hi_u32 s0, s3, s0
	s_delay_alu instid0(SALU_CYCLE_1) | instskip(NEXT) | instid1(SALU_CYCLE_1)
	s_add_i32 s3, s3, s0
	s_mul_hi_u32 s0, s5, s3
	s_xor_b32 s3, s4, s9
	s_mul_i32 s6, s0, s1
	s_ashr_i32 s3, s3, 31
	s_sub_i32 s5, s5, s6
	s_add_i32 s6, s0, 1
	s_sub_i32 s7, s5, s1
	s_cmp_ge_u32 s5, s1
	s_cselect_b32 s0, s6, s0
	s_cselect_b32 s5, s7, s5
	s_add_i32 s6, s0, 1
	s_cmp_ge_u32 s5, s1
	s_cselect_b32 s0, s6, s0
	s_abs_i32 s1, s11
	s_xor_b32 s0, s0, s3
	v_cvt_f32_u32_e32 v0, s1
	s_sub_i32 s3, s0, s3
	s_sub_i32 s0, 0, s1
	s_mul_i32 s6, s3, s9
	s_delay_alu instid0(VALU_DEP_1) | instskip(SKIP_1) | instid1(SALU_CYCLE_1)
	v_rcp_iflag_f32_e32 v0, v0
	s_sub_i32 s4, s4, s6
	s_abs_i32 s6, s4
	s_waitcnt_depctr 0xfff
	v_mul_f32_e32 v0, 0x4f7ffffe, v0
	s_delay_alu instid0(VALU_DEP_1) | instskip(NEXT) | instid1(VALU_DEP_1)
	v_cvt_u32_f32_e32 v0, v0
	v_readfirstlane_b32 s5, v0
	s_delay_alu instid0(VALU_DEP_1) | instskip(NEXT) | instid1(SALU_CYCLE_1)
	s_mul_i32 s0, s0, s5
	s_mul_hi_u32 s0, s5, s0
	s_delay_alu instid0(SALU_CYCLE_1) | instskip(NEXT) | instid1(SALU_CYCLE_1)
	s_add_i32 s5, s5, s0
	s_mul_hi_u32 s0, s6, s5
	s_xor_b32 s5, s4, s11
	s_mul_i32 s7, s0, s1
	s_ashr_i32 s5, s5, 31
	s_sub_i32 s6, s6, s7
	s_add_i32 s7, s0, 1
	s_sub_i32 s9, s6, s1
	s_cmp_ge_u32 s6, s1
	s_cselect_b32 s0, s7, s0
	s_cselect_b32 s6, s9, s6
	s_add_i32 s7, s0, 1
	s_cmp_ge_u32 s6, s1
	s_cselect_b32 s0, s7, s0
	v_readlane_b32 s7, v254, 14
	s_xor_b32 s0, s0, s5
	s_delay_alu instid0(SALU_CYCLE_1) | instskip(NEXT) | instid1(SALU_CYCLE_1)
	s_sub_i32 s0, s0, s5
	s_mul_i32 s1, s0, s11
	s_delay_alu instid0(SALU_CYCLE_1) | instskip(NEXT) | instid1(SALU_CYCLE_1)
	s_sub_i32 s1, s4, s1
	s_abs_i32 s4, s1
	s_ashr_i32 s1, s1, 31
	s_mul_hi_u32 s5, s4, s55
	s_xor_b32 s1, s1, s7
	s_mul_i32 s6, s5, s81
	s_delay_alu instid0(SALU_CYCLE_1)
	s_sub_i32 s4, s4, s6
	s_add_i32 s6, s5, 1
	s_sub_i32 s7, s4, s81
	s_cmp_ge_u32 s4, s81
	s_cselect_b32 s5, s6, s5
	s_cselect_b32 s4, s7, s4
	s_add_i32 s6, s5, 1
	s_cmp_ge_u32 s4, s81
	s_cselect_b32 s5, s6, s5
	s_abs_i32 s4, s50
	s_xor_b32 s5, s5, s1
	v_cvt_f32_u32_e32 v0, s4
	s_sub_i32 s1, s5, s1
	s_cmp_eq_u64 s[26:27], 0
	s_delay_alu instid0(VALU_DEP_1) | instskip(SKIP_2) | instid1(VALU_DEP_1)
	v_rcp_iflag_f32_e32 v0, v0
	s_waitcnt_depctr 0xfff
	v_mul_f32_e32 v0, 0x4f7ffffe, v0
	v_cvt_u32_f32_e32 v0, v0
	s_delay_alu instid0(VALU_DEP_1)
	v_readfirstlane_b32 s7, v0
	v_mov_b32_e32 v0, s101
	s_cbranch_scc1 .LBB19_540
; %bb.539:
	v_readlane_b32 s5, v254, 0
	v_mov_b32_e32 v0, 0
	s_delay_alu instid0(VALU_DEP_2) | instskip(NEXT) | instid1(SALU_CYCLE_1)
	s_mul_i32 s5, s2, s5
	s_add_i32 s14, s1, s5
	s_delay_alu instid0(SALU_CYCLE_1) | instskip(NEXT) | instid1(SALU_CYCLE_1)
	s_ashr_i32 s15, s14, 31
	s_lshl_b64 s[14:15], s[14:15], 2
	s_delay_alu instid0(SALU_CYCLE_1) | instskip(SKIP_4) | instid1(VALU_DEP_1)
	s_add_u32 s14, s26, s14
	s_addc_u32 s15, s27, s15
	global_load_b32 v0, v0, s[14:15]
	s_waitcnt vmcnt(0)
	v_ashrrev_i32_e32 v1, 31, v0
	v_lshrrev_b32_e32 v1, 26, v1
	s_delay_alu instid0(VALU_DEP_1) | instskip(NEXT) | instid1(VALU_DEP_1)
	v_add_nc_u32_e32 v0, v0, v1
	v_ashrrev_i32_e32 v0, 6, v0
	s_delay_alu instid0(VALU_DEP_1)
	v_min_i32_e32 v0, s101, v0
.LBB19_540:
	v_readlane_b32 s14, v254, 6
	v_readlane_b32 s15, v254, 7
	s_mul_i32 s5, s3, s33
	s_lshl_b32 s9, s0, 2
	v_mad_u32_u24 v222, v245, 60, v236
	s_add_i32 s5, s9, s5
	s_mul_i32 s0, s2, s15
	s_mul_i32 s5, s5, s14
	s_ashr_i32 s6, s0, 31
	s_add_u32 s0, s16, s0
	s_addc_u32 s6, s17, s6
	s_ashr_i32 s11, s5, 31
	s_add_u32 s5, s0, s5
	s_addc_u32 s6, s6, s11
	s_lshl_b32 s1, s1, 4
	v_or_b32_e32 v2, s9, v86
	s_waitcnt vmcnt(0)
	v_add_nc_u32_e32 v1, s1, v243
	s_delay_alu instid0(VALU_DEP_2) | instskip(NEXT) | instid1(VALU_DEP_2)
	v_cmp_gt_i32_e32 vcc_lo, s33, v2
	v_cmp_le_i32_e64 s0, s8, v1
	s_xor_b32 s11, vcc_lo, -1
	s_delay_alu instid0(VALU_DEP_1) | instid1(SALU_CYCLE_1)
	s_or_b32 s0, s0, s11
	s_delay_alu instid0(SALU_CYCLE_1) | instskip(NEXT) | instid1(SALU_CYCLE_1)
	s_and_saveexec_b32 s13, s0
	s_xor_b32 s0, exec_lo, s13
	s_cbranch_execz .LBB19_542
; %bb.541:
	v_lshl_add_u32 v1, v222, 2, 0
	v_mov_b32_e32 v2, 0
	ds_store_b32 v1, v2
                                        ; implicit-def: $vgpr1
.LBB19_542:
	s_or_saveexec_b32 s0, s0
	s_clause 0x1
	scratch_load_b32 v234, off, off offset:1488
	scratch_load_b32 v224, off, off offset:1500
	v_readlane_b32 s15, v254, 17
	s_xor_b32 exec_lo, exec_lo, s0
	s_cbranch_execz .LBB19_544
; %bb.543:
	v_mul_lo_u32 v1, v1, s59
	s_delay_alu instid0(VALU_DEP_2) | instskip(NEXT) | instid1(VALU_DEP_1)
	v_mul_lo_u32 v2, v86, s15
	v_add3_u32 v1, v2, v236, v1
	s_delay_alu instid0(VALU_DEP_1) | instskip(NEXT) | instid1(VALU_DEP_1)
	v_ashrrev_i32_e32 v2, 31, v1
	v_lshlrev_b64 v[1:2], 3, v[1:2]
	s_delay_alu instid0(VALU_DEP_1) | instskip(NEXT) | instid1(VALU_DEP_2)
	v_add_co_u32 v1, vcc_lo, s5, v1
	v_add_co_ci_u32_e32 v2, vcc_lo, s6, v2, vcc_lo
	global_load_b64 v[1:2], v[1:2], off
	s_waitcnt vmcnt(0)
	v_cvt_f16_f32_e32 v1, v1
	v_cvt_f16_f32_e32 v2, v2
	s_delay_alu instid0(VALU_DEP_1) | instskip(SKIP_1) | instid1(VALU_DEP_2)
	v_pack_b32_f16 v1, v1, v2
	v_lshl_add_u32 v2, v222, 2, 0
	v_pk_mul_f16 v1, v228, v1
	ds_store_b32 v2, v1
.LBB19_544:
	s_or_b32 exec_lo, exec_lo, s0
	v_lshrrev_b32_e32 v1, 2, v220
	s_delay_alu instid0(VALU_DEP_1) | instskip(NEXT) | instid1(VALU_DEP_1)
	v_add_nc_u32_e32 v1, s1, v1
	v_cmp_le_i32_e32 vcc_lo, s8, v1
	s_or_b32 s0, vcc_lo, s11
	s_delay_alu instid0(SALU_CYCLE_1) | instskip(NEXT) | instid1(SALU_CYCLE_1)
	s_and_saveexec_b32 s13, s0
	s_xor_b32 s0, exec_lo, s13
	s_cbranch_execz .LBB19_546
; %bb.545:
	v_mad_u32_u24 v1, v220, 60, v236
	v_mov_b32_e32 v2, 0
	s_delay_alu instid0(VALU_DEP_2)
	v_lshl_add_u32 v1, v1, 2, 0
	ds_store_b32 v1, v2
                                        ; implicit-def: $vgpr1
.LBB19_546:
	s_and_not1_saveexec_b32 s0, s0
	s_cbranch_execz .LBB19_548
; %bb.547:
	v_mul_lo_u32 v1, v1, s59
	v_mul_lo_u32 v2, v86, s15
	s_delay_alu instid0(VALU_DEP_1) | instskip(NEXT) | instid1(VALU_DEP_1)
	v_add3_u32 v1, v2, v236, v1
	v_ashrrev_i32_e32 v2, 31, v1
	s_delay_alu instid0(VALU_DEP_1) | instskip(NEXT) | instid1(VALU_DEP_1)
	v_lshlrev_b64 v[1:2], 3, v[1:2]
	v_add_co_u32 v1, vcc_lo, s5, v1
	s_delay_alu instid0(VALU_DEP_2) | instskip(SKIP_4) | instid1(VALU_DEP_1)
	v_add_co_ci_u32_e32 v2, vcc_lo, s6, v2, vcc_lo
	global_load_b64 v[1:2], v[1:2], off
	s_waitcnt vmcnt(0)
	v_cvt_f16_f32_e32 v1, v1
	v_cvt_f16_f32_e32 v2, v2
	v_pack_b32_f16 v1, v1, v2
	v_mad_u32_u24 v2, v220, 60, v236
	s_delay_alu instid0(VALU_DEP_2) | instskip(NEXT) | instid1(VALU_DEP_2)
	v_pk_mul_f16 v1, v228, v1
	v_lshl_add_u32 v2, v2, 2, 0
	ds_store_b32 v2, v1
.LBB19_548:
	s_or_b32 exec_lo, exec_lo, s0
	v_lshrrev_b32_e32 v1, 2, v219
	s_delay_alu instid0(VALU_DEP_1) | instskip(NEXT) | instid1(VALU_DEP_1)
	v_add_nc_u32_e32 v1, s1, v1
	v_cmp_le_i32_e32 vcc_lo, s8, v1
	s_or_b32 s0, vcc_lo, s11
	s_delay_alu instid0(SALU_CYCLE_1) | instskip(NEXT) | instid1(SALU_CYCLE_1)
	s_and_saveexec_b32 s13, s0
	s_xor_b32 s0, exec_lo, s13
	s_cbranch_execz .LBB19_550
; %bb.549:
	v_mad_u32_u24 v1, v219, 60, v236
	v_mov_b32_e32 v2, 0
	s_delay_alu instid0(VALU_DEP_2)
	v_lshl_add_u32 v1, v1, 2, 0
	ds_store_b32 v1, v2
                                        ; implicit-def: $vgpr1
.LBB19_550:
	s_and_not1_saveexec_b32 s0, s0
	s_cbranch_execz .LBB19_552
; %bb.551:
	v_mul_lo_u32 v1, v1, s59
	v_mul_lo_u32 v2, v86, s15
	s_delay_alu instid0(VALU_DEP_1) | instskip(NEXT) | instid1(VALU_DEP_1)
	v_add3_u32 v1, v2, v236, v1
	v_ashrrev_i32_e32 v2, 31, v1
	s_delay_alu instid0(VALU_DEP_1) | instskip(NEXT) | instid1(VALU_DEP_1)
	v_lshlrev_b64 v[1:2], 3, v[1:2]
	v_add_co_u32 v1, vcc_lo, s5, v1
	s_delay_alu instid0(VALU_DEP_2) | instskip(SKIP_4) | instid1(VALU_DEP_1)
	v_add_co_ci_u32_e32 v2, vcc_lo, s6, v2, vcc_lo
	global_load_b64 v[1:2], v[1:2], off
	s_waitcnt vmcnt(0)
	v_cvt_f16_f32_e32 v1, v1
	v_cvt_f16_f32_e32 v2, v2
	v_pack_b32_f16 v1, v1, v2
	v_mad_u32_u24 v2, v219, 60, v236
	s_delay_alu instid0(VALU_DEP_2) | instskip(NEXT) | instid1(VALU_DEP_2)
	v_pk_mul_f16 v1, v228, v1
	v_lshl_add_u32 v2, v2, 2, 0
	ds_store_b32 v2, v1
.LBB19_552:
	;; [unrolled: 42-line block ×9, first 2 shown]
	s_or_b32 exec_lo, exec_lo, s0
	scratch_load_b32 v1, off, off offset:1480 ; 4-byte Folded Reload
	s_waitcnt vmcnt(0)
	v_lshrrev_b32_e32 v1, 2, v1
	s_delay_alu instid0(VALU_DEP_1) | instskip(NEXT) | instid1(VALU_DEP_1)
	v_add_nc_u32_e32 v1, s1, v1
	v_cmp_le_i32_e32 vcc_lo, s8, v1
	s_or_b32 s0, vcc_lo, s11
	s_delay_alu instid0(SALU_CYCLE_1) | instskip(NEXT) | instid1(SALU_CYCLE_1)
	s_and_saveexec_b32 s13, s0
	s_xor_b32 s0, exec_lo, s13
	s_cbranch_execz .LBB19_582
; %bb.581:
	scratch_load_b32 v1, off, off offset:1480 ; 4-byte Folded Reload
	v_mov_b32_e32 v2, 0
	s_waitcnt vmcnt(0)
	v_mad_u32_u24 v1, v1, 60, v236
	s_delay_alu instid0(VALU_DEP_1)
	v_lshl_add_u32 v1, v1, 2, 0
	ds_store_b32 v1, v2
                                        ; implicit-def: $vgpr1
.LBB19_582:
	s_and_not1_saveexec_b32 s0, s0
	s_cbranch_execz .LBB19_584
; %bb.583:
	v_mul_lo_u32 v1, v1, s59
	v_mul_lo_u32 v2, v86, s15
	s_delay_alu instid0(VALU_DEP_1) | instskip(NEXT) | instid1(VALU_DEP_1)
	v_add3_u32 v1, v2, v236, v1
	v_ashrrev_i32_e32 v2, 31, v1
	s_delay_alu instid0(VALU_DEP_1) | instskip(NEXT) | instid1(VALU_DEP_1)
	v_lshlrev_b64 v[1:2], 3, v[1:2]
	v_add_co_u32 v1, vcc_lo, s5, v1
	s_delay_alu instid0(VALU_DEP_2) | instskip(SKIP_4) | instid1(VALU_DEP_1)
	v_add_co_ci_u32_e32 v2, vcc_lo, s6, v2, vcc_lo
	global_load_b64 v[1:2], v[1:2], off
	s_waitcnt vmcnt(0)
	v_cvt_f16_f32_e32 v1, v1
	v_cvt_f16_f32_e32 v2, v2
	v_pack_b32_f16 v1, v1, v2
	scratch_load_b32 v2, off, off offset:1480 ; 4-byte Folded Reload
	v_pk_mul_f16 v1, v228, v1
	s_waitcnt vmcnt(0)
	v_mad_u32_u24 v2, v2, 60, v236
	s_delay_alu instid0(VALU_DEP_1)
	v_lshl_add_u32 v2, v2, 2, 0
	ds_store_b32 v2, v1
.LBB19_584:
	s_or_b32 exec_lo, exec_lo, s0
	scratch_load_b32 v1, off, off offset:1476 ; 4-byte Folded Reload
	s_waitcnt vmcnt(0)
	v_lshrrev_b32_e32 v1, 2, v1
	s_delay_alu instid0(VALU_DEP_1) | instskip(NEXT) | instid1(VALU_DEP_1)
	v_add_nc_u32_e32 v1, s1, v1
	v_cmp_le_i32_e32 vcc_lo, s8, v1
	s_or_b32 s0, vcc_lo, s11
	s_delay_alu instid0(SALU_CYCLE_1) | instskip(NEXT) | instid1(SALU_CYCLE_1)
	s_and_saveexec_b32 s13, s0
	s_xor_b32 s0, exec_lo, s13
	s_cbranch_execz .LBB19_586
; %bb.585:
	scratch_load_b32 v1, off, off offset:1476 ; 4-byte Folded Reload
	v_mov_b32_e32 v2, 0
	s_waitcnt vmcnt(0)
	v_mad_u32_u24 v1, v1, 60, v236
	s_delay_alu instid0(VALU_DEP_1)
	v_lshl_add_u32 v1, v1, 2, 0
	ds_store_b32 v1, v2
                                        ; implicit-def: $vgpr1
.LBB19_586:
	s_and_not1_saveexec_b32 s0, s0
	s_cbranch_execz .LBB19_588
; %bb.587:
	v_mul_lo_u32 v1, v1, s59
	v_mul_lo_u32 v2, v86, s15
	s_delay_alu instid0(VALU_DEP_1) | instskip(NEXT) | instid1(VALU_DEP_1)
	v_add3_u32 v1, v2, v236, v1
	v_ashrrev_i32_e32 v2, 31, v1
	s_delay_alu instid0(VALU_DEP_1) | instskip(NEXT) | instid1(VALU_DEP_1)
	v_lshlrev_b64 v[1:2], 3, v[1:2]
	v_add_co_u32 v1, vcc_lo, s5, v1
	s_delay_alu instid0(VALU_DEP_2) | instskip(SKIP_4) | instid1(VALU_DEP_1)
	v_add_co_ci_u32_e32 v2, vcc_lo, s6, v2, vcc_lo
	global_load_b64 v[1:2], v[1:2], off
	s_waitcnt vmcnt(0)
	v_cvt_f16_f32_e32 v1, v1
	v_cvt_f16_f32_e32 v2, v2
	v_pack_b32_f16 v1, v1, v2
	scratch_load_b32 v2, off, off offset:1476 ; 4-byte Folded Reload
	v_pk_mul_f16 v1, v228, v1
	s_waitcnt vmcnt(0)
	v_mad_u32_u24 v2, v2, 60, v236
	s_delay_alu instid0(VALU_DEP_1)
	v_lshl_add_u32 v2, v2, 2, 0
	ds_store_b32 v2, v1
.LBB19_588:
	s_or_b32 exec_lo, exec_lo, s0
	v_lshrrev_b32_e32 v1, 2, v239
	s_delay_alu instid0(VALU_DEP_1) | instskip(NEXT) | instid1(VALU_DEP_1)
	v_add_nc_u32_e32 v1, s1, v1
	v_cmp_le_i32_e32 vcc_lo, s8, v1
	s_or_b32 s0, vcc_lo, s11
	s_delay_alu instid0(SALU_CYCLE_1) | instskip(NEXT) | instid1(SALU_CYCLE_1)
	s_and_saveexec_b32 s13, s0
	s_xor_b32 s0, exec_lo, s13
	s_cbranch_execz .LBB19_590
; %bb.589:
	v_mad_u32_u24 v1, v239, 60, v236
	v_mov_b32_e32 v2, 0
	s_delay_alu instid0(VALU_DEP_2)
	v_lshl_add_u32 v1, v1, 2, 0
	ds_store_b32 v1, v2
                                        ; implicit-def: $vgpr1
.LBB19_590:
	s_and_not1_saveexec_b32 s0, s0
	s_cbranch_execz .LBB19_592
; %bb.591:
	v_mul_lo_u32 v1, v1, s59
	v_mul_lo_u32 v2, v86, s15
	s_delay_alu instid0(VALU_DEP_1) | instskip(NEXT) | instid1(VALU_DEP_1)
	v_add3_u32 v1, v2, v236, v1
	v_ashrrev_i32_e32 v2, 31, v1
	s_delay_alu instid0(VALU_DEP_1) | instskip(NEXT) | instid1(VALU_DEP_1)
	v_lshlrev_b64 v[1:2], 3, v[1:2]
	v_add_co_u32 v1, vcc_lo, s5, v1
	s_delay_alu instid0(VALU_DEP_2) | instskip(SKIP_4) | instid1(VALU_DEP_1)
	v_add_co_ci_u32_e32 v2, vcc_lo, s6, v2, vcc_lo
	global_load_b64 v[1:2], v[1:2], off
	s_waitcnt vmcnt(0)
	v_cvt_f16_f32_e32 v1, v1
	v_cvt_f16_f32_e32 v2, v2
	v_pack_b32_f16 v1, v1, v2
	v_mad_u32_u24 v2, v239, 60, v236
	s_delay_alu instid0(VALU_DEP_2) | instskip(NEXT) | instid1(VALU_DEP_2)
	v_pk_mul_f16 v1, v228, v1
	v_lshl_add_u32 v2, v2, 2, 0
	ds_store_b32 v2, v1
.LBB19_592:
	s_or_b32 exec_lo, exec_lo, s0
	scratch_load_b32 v1, off, off offset:1472 ; 4-byte Folded Reload
	s_waitcnt vmcnt(0)
	v_lshrrev_b32_e32 v1, 2, v1
	s_delay_alu instid0(VALU_DEP_1) | instskip(NEXT) | instid1(VALU_DEP_1)
	v_add_nc_u32_e32 v1, s1, v1
	v_cmp_le_i32_e32 vcc_lo, s8, v1
	s_or_b32 s0, vcc_lo, s11
	s_delay_alu instid0(SALU_CYCLE_1) | instskip(NEXT) | instid1(SALU_CYCLE_1)
	s_and_saveexec_b32 s13, s0
	s_xor_b32 s0, exec_lo, s13
	s_cbranch_execz .LBB19_594
; %bb.593:
	scratch_load_b32 v1, off, off offset:1472 ; 4-byte Folded Reload
	v_mov_b32_e32 v2, 0
	s_waitcnt vmcnt(0)
	v_mad_u32_u24 v1, v1, 60, v236
	s_delay_alu instid0(VALU_DEP_1)
	v_lshl_add_u32 v1, v1, 2, 0
	ds_store_b32 v1, v2
                                        ; implicit-def: $vgpr1
.LBB19_594:
	s_and_not1_saveexec_b32 s0, s0
	s_cbranch_execz .LBB19_596
; %bb.595:
	v_mul_lo_u32 v1, v1, s59
	v_mul_lo_u32 v2, v86, s15
	s_delay_alu instid0(VALU_DEP_1) | instskip(NEXT) | instid1(VALU_DEP_1)
	v_add3_u32 v1, v2, v236, v1
	v_ashrrev_i32_e32 v2, 31, v1
	s_delay_alu instid0(VALU_DEP_1) | instskip(NEXT) | instid1(VALU_DEP_1)
	v_lshlrev_b64 v[1:2], 3, v[1:2]
	v_add_co_u32 v1, vcc_lo, s5, v1
	s_delay_alu instid0(VALU_DEP_2) | instskip(SKIP_4) | instid1(VALU_DEP_1)
	v_add_co_ci_u32_e32 v2, vcc_lo, s6, v2, vcc_lo
	global_load_b64 v[1:2], v[1:2], off
	s_waitcnt vmcnt(0)
	v_cvt_f16_f32_e32 v1, v1
	v_cvt_f16_f32_e32 v2, v2
	v_pack_b32_f16 v1, v1, v2
	scratch_load_b32 v2, off, off offset:1472 ; 4-byte Folded Reload
	v_pk_mul_f16 v1, v228, v1
	s_waitcnt vmcnt(0)
	v_mad_u32_u24 v2, v2, 60, v236
	s_delay_alu instid0(VALU_DEP_1)
	v_lshl_add_u32 v2, v2, 2, 0
	ds_store_b32 v2, v1
.LBB19_596:
	s_or_b32 exec_lo, exec_lo, s0
	v_lshrrev_b32_e32 v1, 2, v224
	s_delay_alu instid0(VALU_DEP_1) | instskip(NEXT) | instid1(VALU_DEP_1)
	v_add_nc_u32_e32 v1, s1, v1
	v_cmp_le_i32_e32 vcc_lo, s8, v1
	s_or_b32 s0, vcc_lo, s11
	s_delay_alu instid0(SALU_CYCLE_1) | instskip(NEXT) | instid1(SALU_CYCLE_1)
	s_and_saveexec_b32 s13, s0
	s_xor_b32 s0, exec_lo, s13
	s_cbranch_execz .LBB19_598
; %bb.597:
	v_mad_u32_u24 v1, v224, 60, v236
	v_mov_b32_e32 v2, 0
	s_delay_alu instid0(VALU_DEP_2)
	v_lshl_add_u32 v1, v1, 2, 0
	ds_store_b32 v1, v2
                                        ; implicit-def: $vgpr1
.LBB19_598:
	s_and_not1_saveexec_b32 s0, s0
	s_cbranch_execz .LBB19_600
; %bb.599:
	v_mul_lo_u32 v1, v1, s59
	v_mul_lo_u32 v2, v86, s15
	s_delay_alu instid0(VALU_DEP_1) | instskip(NEXT) | instid1(VALU_DEP_1)
	v_add3_u32 v1, v2, v236, v1
	v_ashrrev_i32_e32 v2, 31, v1
	s_delay_alu instid0(VALU_DEP_1) | instskip(NEXT) | instid1(VALU_DEP_1)
	v_lshlrev_b64 v[1:2], 3, v[1:2]
	v_add_co_u32 v1, vcc_lo, s5, v1
	s_delay_alu instid0(VALU_DEP_2) | instskip(SKIP_4) | instid1(VALU_DEP_1)
	v_add_co_ci_u32_e32 v2, vcc_lo, s6, v2, vcc_lo
	global_load_b64 v[1:2], v[1:2], off
	s_waitcnt vmcnt(0)
	v_cvt_f16_f32_e32 v1, v1
	v_cvt_f16_f32_e32 v2, v2
	v_pack_b32_f16 v1, v1, v2
	v_mad_u32_u24 v2, v224, 60, v236
	s_delay_alu instid0(VALU_DEP_2) | instskip(NEXT) | instid1(VALU_DEP_2)
	v_pk_mul_f16 v1, v228, v1
	v_lshl_add_u32 v2, v2, 2, 0
	ds_store_b32 v2, v1
.LBB19_600:
	s_or_b32 exec_lo, exec_lo, s0
	v_lshrrev_b32_e32 v1, 2, v234
	s_delay_alu instid0(VALU_DEP_1) | instskip(NEXT) | instid1(VALU_DEP_1)
	v_add_nc_u32_e32 v1, s1, v1
	v_cmp_le_i32_e32 vcc_lo, s8, v1
	s_or_b32 s0, vcc_lo, s11
	s_delay_alu instid0(SALU_CYCLE_1) | instskip(NEXT) | instid1(SALU_CYCLE_1)
	s_and_saveexec_b32 s11, s0
	s_xor_b32 s0, exec_lo, s11
	s_cbranch_execz .LBB19_602
; %bb.601:
	v_mad_u32_u24 v1, v234, 60, v236
	v_mov_b32_e32 v2, 0
                                        ; implicit-def: $vgpr86
	s_delay_alu instid0(VALU_DEP_2)
	v_lshl_add_u32 v1, v1, 2, 0
	ds_store_b32 v1, v2
                                        ; implicit-def: $vgpr1
.LBB19_602:
	s_and_not1_saveexec_b32 s0, s0
	s_cbranch_execz .LBB19_604
; %bb.603:
	v_mul_lo_u32 v1, v1, s59
	v_mul_lo_u32 v2, v86, s15
	s_delay_alu instid0(VALU_DEP_1) | instskip(NEXT) | instid1(VALU_DEP_1)
	v_add3_u32 v1, v2, v236, v1
	v_ashrrev_i32_e32 v2, 31, v1
	s_delay_alu instid0(VALU_DEP_1) | instskip(NEXT) | instid1(VALU_DEP_1)
	v_lshlrev_b64 v[1:2], 3, v[1:2]
	v_add_co_u32 v1, vcc_lo, s5, v1
	s_delay_alu instid0(VALU_DEP_2) | instskip(SKIP_4) | instid1(VALU_DEP_1)
	v_add_co_ci_u32_e32 v2, vcc_lo, s6, v2, vcc_lo
	global_load_b64 v[1:2], v[1:2], off
	s_waitcnt vmcnt(0)
	v_cvt_f16_f32_e32 v1, v1
	v_cvt_f16_f32_e32 v2, v2
	v_pack_b32_f16 v1, v1, v2
	v_mad_u32_u24 v2, v234, 60, v236
	s_delay_alu instid0(VALU_DEP_2) | instskip(NEXT) | instid1(VALU_DEP_2)
	v_pk_mul_f16 v1, v228, v1
	v_lshl_add_u32 v2, v2, 2, 0
	ds_store_b32 v2, v1
.LBB19_604:
	s_or_b32 exec_lo, exec_lo, s0
	v_lshrrev_b32_e32 v161, 4, v236
	v_and_b32_e32 v225, 15, v236
	s_delay_alu instid0(VALU_DEP_2) | instskip(NEXT) | instid1(VALU_DEP_1)
	v_lshl_add_u32 v223, v245, 1, v161
	v_and_b32_e32 v1, 3, v223
	v_lshrrev_b32_e32 v2, 2, v223
	s_delay_alu instid0(VALU_DEP_4) | instskip(NEXT) | instid1(VALU_DEP_3)
	v_mad_u32_u24 v226, v223, 60, v225
	v_or_b32_e32 v4, s9, v1
	s_delay_alu instid0(VALU_DEP_3) | instskip(NEXT) | instid1(VALU_DEP_2)
	v_add_nc_u32_e32 v3, s1, v2
	v_cmp_gt_i32_e32 vcc_lo, s33, v4
	s_delay_alu instid0(VALU_DEP_2)
	v_cmp_le_i32_e64 s0, s8, v3
	s_xor_b32 s11, vcc_lo, -1
	s_delay_alu instid0(VALU_DEP_1) | instid1(SALU_CYCLE_1)
	s_or_b32 s0, s0, s11
	s_delay_alu instid0(SALU_CYCLE_1) | instskip(NEXT) | instid1(SALU_CYCLE_1)
	s_and_saveexec_b32 s13, s0
	s_xor_b32 s0, exec_lo, s13
	s_cbranch_execz .LBB19_606
; %bb.605:
	v_lshl_add_u32 v2, v226, 2, 0
	v_mov_b32_e32 v3, 0
	ds_store_b32 v2, v3 offset:128
                                        ; implicit-def: $vgpr3
.LBB19_606:
	s_or_saveexec_b32 s0, s0
	v_or_b32_e32 v2, 32, v225
	s_xor_b32 exec_lo, exec_lo, s0
	s_cbranch_execz .LBB19_608
; %bb.607:
	v_mul_lo_u32 v3, v3, s59
	v_mul_lo_u32 v4, v1, s15
	s_delay_alu instid0(VALU_DEP_1) | instskip(NEXT) | instid1(VALU_DEP_1)
	v_add3_u32 v3, v4, v2, v3
	v_ashrrev_i32_e32 v4, 31, v3
	s_delay_alu instid0(VALU_DEP_1) | instskip(NEXT) | instid1(VALU_DEP_1)
	v_lshlrev_b64 v[3:4], 3, v[3:4]
	v_add_co_u32 v3, vcc_lo, s5, v3
	s_delay_alu instid0(VALU_DEP_2) | instskip(SKIP_4) | instid1(VALU_DEP_1)
	v_add_co_ci_u32_e32 v4, vcc_lo, s6, v4, vcc_lo
	global_load_b64 v[3:4], v[3:4], off
	s_waitcnt vmcnt(0)
	v_cvt_f16_f32_e32 v3, v3
	v_cvt_f16_f32_e32 v4, v4
	v_pack_b32_f16 v3, v3, v4
	v_lshl_add_u32 v4, v226, 2, 0
	s_delay_alu instid0(VALU_DEP_2)
	v_pk_mul_f16 v3, v228, v3
	ds_store_b32 v4, v3 offset:128
.LBB19_608:
	s_or_b32 exec_lo, exec_lo, s0
	v_add_nc_u32_e32 v3, 8, v223
	s_delay_alu instid0(VALU_DEP_1) | instskip(NEXT) | instid1(VALU_DEP_1)
	v_lshrrev_b32_e32 v4, 2, v3
	v_add_nc_u32_e32 v4, s1, v4
	s_delay_alu instid0(VALU_DEP_1) | instskip(SKIP_1) | instid1(SALU_CYCLE_1)
	v_cmp_le_i32_e32 vcc_lo, s8, v4
	s_or_b32 s0, vcc_lo, s11
	s_and_saveexec_b32 s13, s0
	s_delay_alu instid0(SALU_CYCLE_1)
	s_xor_b32 s0, exec_lo, s13
	s_cbranch_execz .LBB19_610
; %bb.609:
	v_mad_u32_u24 v3, v3, 60, v225
	v_mov_b32_e32 v4, 0
	s_delay_alu instid0(VALU_DEP_2)
	v_lshl_add_u32 v3, v3, 2, 0
	ds_store_b32 v3, v4 offset:128
                                        ; implicit-def: $vgpr4
                                        ; implicit-def: $vgpr3
.LBB19_610:
	s_and_not1_saveexec_b32 s0, s0
	s_cbranch_execz .LBB19_612
; %bb.611:
	v_mul_lo_u32 v4, v4, s59
	v_mul_lo_u32 v5, v1, s15
	v_mad_u32_u24 v3, v3, 60, v225
	s_delay_alu instid0(VALU_DEP_1) | instskip(NEXT) | instid1(VALU_DEP_3)
	v_lshl_add_u32 v3, v3, 2, 0
	v_add3_u32 v4, v5, v2, v4
	s_delay_alu instid0(VALU_DEP_1) | instskip(NEXT) | instid1(VALU_DEP_1)
	v_ashrrev_i32_e32 v5, 31, v4
	v_lshlrev_b64 v[4:5], 3, v[4:5]
	s_delay_alu instid0(VALU_DEP_1) | instskip(NEXT) | instid1(VALU_DEP_2)
	v_add_co_u32 v4, vcc_lo, s5, v4
	v_add_co_ci_u32_e32 v5, vcc_lo, s6, v5, vcc_lo
	global_load_b64 v[4:5], v[4:5], off
	s_waitcnt vmcnt(0)
	v_cvt_f16_f32_e32 v4, v4
	v_cvt_f16_f32_e32 v5, v5
	s_delay_alu instid0(VALU_DEP_1) | instskip(NEXT) | instid1(VALU_DEP_1)
	v_pack_b32_f16 v4, v4, v5
	v_pk_mul_f16 v4, v228, v4
	ds_store_b32 v3, v4 offset:128
.LBB19_612:
	s_or_b32 exec_lo, exec_lo, s0
	v_add_nc_u32_e32 v230, 16, v223
	s_delay_alu instid0(VALU_DEP_1) | instskip(NEXT) | instid1(VALU_DEP_1)
	v_lshrrev_b32_e32 v3, 2, v230
	v_add_nc_u32_e32 v3, s1, v3
	s_delay_alu instid0(VALU_DEP_1) | instskip(SKIP_1) | instid1(SALU_CYCLE_1)
	v_cmp_le_i32_e32 vcc_lo, s8, v3
	s_or_b32 s0, vcc_lo, s11
	s_and_saveexec_b32 s13, s0
	s_delay_alu instid0(SALU_CYCLE_1)
	s_xor_b32 s0, exec_lo, s13
	s_cbranch_execz .LBB19_614
; %bb.613:
	v_mad_u32_u24 v3, v230, 60, v225
	v_mov_b32_e32 v4, 0
	s_delay_alu instid0(VALU_DEP_2)
	v_lshl_add_u32 v3, v3, 2, 0
	ds_store_b32 v3, v4 offset:128
                                        ; implicit-def: $vgpr3
.LBB19_614:
	s_and_not1_saveexec_b32 s0, s0
	s_cbranch_execz .LBB19_616
; %bb.615:
	v_mul_lo_u32 v3, v3, s59
	v_mul_lo_u32 v4, v1, s15
	s_delay_alu instid0(VALU_DEP_1) | instskip(NEXT) | instid1(VALU_DEP_1)
	v_add3_u32 v3, v4, v2, v3
	v_ashrrev_i32_e32 v4, 31, v3
	s_delay_alu instid0(VALU_DEP_1) | instskip(NEXT) | instid1(VALU_DEP_1)
	v_lshlrev_b64 v[3:4], 3, v[3:4]
	v_add_co_u32 v3, vcc_lo, s5, v3
	s_delay_alu instid0(VALU_DEP_2) | instskip(SKIP_4) | instid1(VALU_DEP_1)
	v_add_co_ci_u32_e32 v4, vcc_lo, s6, v4, vcc_lo
	global_load_b64 v[3:4], v[3:4], off
	s_waitcnt vmcnt(0)
	v_cvt_f16_f32_e32 v3, v3
	v_cvt_f16_f32_e32 v4, v4
	v_pack_b32_f16 v3, v3, v4
	v_mad_u32_u24 v4, v230, 60, v225
	s_delay_alu instid0(VALU_DEP_2) | instskip(NEXT) | instid1(VALU_DEP_2)
	v_pk_mul_f16 v3, v228, v3
	v_lshl_add_u32 v4, v4, 2, 0
	ds_store_b32 v4, v3 offset:128
.LBB19_616:
	s_or_b32 exec_lo, exec_lo, s0
	v_add_nc_u32_e32 v3, 24, v223
	s_delay_alu instid0(VALU_DEP_1) | instskip(NEXT) | instid1(VALU_DEP_1)
	v_lshrrev_b32_e32 v4, 2, v3
	v_add_nc_u32_e32 v4, s1, v4
	s_delay_alu instid0(VALU_DEP_1) | instskip(SKIP_1) | instid1(SALU_CYCLE_1)
	v_cmp_le_i32_e32 vcc_lo, s8, v4
	s_or_b32 s0, vcc_lo, s11
	s_and_saveexec_b32 s13, s0
	s_delay_alu instid0(SALU_CYCLE_1)
	s_xor_b32 s0, exec_lo, s13
	s_cbranch_execz .LBB19_618
; %bb.617:
	v_mad_u32_u24 v3, v3, 60, v225
	v_mov_b32_e32 v4, 0
	s_delay_alu instid0(VALU_DEP_2)
	v_lshl_add_u32 v3, v3, 2, 0
	ds_store_b32 v3, v4 offset:128
                                        ; implicit-def: $vgpr4
                                        ; implicit-def: $vgpr3
.LBB19_618:
	s_and_not1_saveexec_b32 s0, s0
	s_cbranch_execz .LBB19_620
; %bb.619:
	v_mul_lo_u32 v4, v4, s59
	v_mul_lo_u32 v5, v1, s15
	v_mad_u32_u24 v3, v3, 60, v225
	s_delay_alu instid0(VALU_DEP_1) | instskip(NEXT) | instid1(VALU_DEP_3)
	v_lshl_add_u32 v3, v3, 2, 0
	v_add3_u32 v4, v5, v2, v4
	s_delay_alu instid0(VALU_DEP_1) | instskip(NEXT) | instid1(VALU_DEP_1)
	v_ashrrev_i32_e32 v5, 31, v4
	v_lshlrev_b64 v[4:5], 3, v[4:5]
	s_delay_alu instid0(VALU_DEP_1) | instskip(NEXT) | instid1(VALU_DEP_2)
	v_add_co_u32 v4, vcc_lo, s5, v4
	v_add_co_ci_u32_e32 v5, vcc_lo, s6, v5, vcc_lo
	global_load_b64 v[4:5], v[4:5], off
	s_waitcnt vmcnt(0)
	v_cvt_f16_f32_e32 v4, v4
	v_cvt_f16_f32_e32 v5, v5
	s_delay_alu instid0(VALU_DEP_1) | instskip(NEXT) | instid1(VALU_DEP_1)
	v_pack_b32_f16 v4, v4, v5
	v_pk_mul_f16 v4, v228, v4
	ds_store_b32 v3, v4 offset:128
.LBB19_620:
	s_or_b32 exec_lo, exec_lo, s0
	v_add_nc_u32_e32 v231, 32, v223
	s_delay_alu instid0(VALU_DEP_1) | instskip(NEXT) | instid1(VALU_DEP_1)
	v_lshrrev_b32_e32 v3, 2, v231
	v_add_nc_u32_e32 v3, s1, v3
	s_delay_alu instid0(VALU_DEP_1) | instskip(SKIP_1) | instid1(SALU_CYCLE_1)
	v_cmp_le_i32_e32 vcc_lo, s8, v3
	s_or_b32 s0, vcc_lo, s11
	s_and_saveexec_b32 s13, s0
	s_delay_alu instid0(SALU_CYCLE_1)
	s_xor_b32 s0, exec_lo, s13
	s_cbranch_execz .LBB19_622
; %bb.621:
	v_mad_u32_u24 v3, v231, 60, v225
	v_mov_b32_e32 v4, 0
	s_delay_alu instid0(VALU_DEP_2)
	v_lshl_add_u32 v3, v3, 2, 0
	ds_store_b32 v3, v4 offset:128
                                        ; implicit-def: $vgpr3
.LBB19_622:
	s_and_not1_saveexec_b32 s0, s0
	s_cbranch_execz .LBB19_624
; %bb.623:
	v_mul_lo_u32 v3, v3, s59
	v_mul_lo_u32 v4, v1, s15
	s_delay_alu instid0(VALU_DEP_1) | instskip(NEXT) | instid1(VALU_DEP_1)
	v_add3_u32 v3, v4, v2, v3
	v_ashrrev_i32_e32 v4, 31, v3
	s_delay_alu instid0(VALU_DEP_1) | instskip(NEXT) | instid1(VALU_DEP_1)
	v_lshlrev_b64 v[3:4], 3, v[3:4]
	v_add_co_u32 v3, vcc_lo, s5, v3
	s_delay_alu instid0(VALU_DEP_2) | instskip(SKIP_4) | instid1(VALU_DEP_1)
	v_add_co_ci_u32_e32 v4, vcc_lo, s6, v4, vcc_lo
	global_load_b64 v[3:4], v[3:4], off
	s_waitcnt vmcnt(0)
	v_cvt_f16_f32_e32 v3, v3
	v_cvt_f16_f32_e32 v4, v4
	v_pack_b32_f16 v3, v3, v4
	v_mad_u32_u24 v4, v231, 60, v225
	s_delay_alu instid0(VALU_DEP_2) | instskip(NEXT) | instid1(VALU_DEP_2)
	v_pk_mul_f16 v3, v228, v3
	v_lshl_add_u32 v4, v4, 2, 0
	ds_store_b32 v4, v3 offset:128
.LBB19_624:
	s_or_b32 exec_lo, exec_lo, s0
	v_add_nc_u32_e32 v3, 40, v223
	s_delay_alu instid0(VALU_DEP_1) | instskip(NEXT) | instid1(VALU_DEP_1)
	v_lshrrev_b32_e32 v4, 2, v3
	v_add_nc_u32_e32 v4, s1, v4
	s_delay_alu instid0(VALU_DEP_1) | instskip(SKIP_1) | instid1(SALU_CYCLE_1)
	v_cmp_le_i32_e32 vcc_lo, s8, v4
	s_or_b32 s0, vcc_lo, s11
	s_and_saveexec_b32 s13, s0
	s_delay_alu instid0(SALU_CYCLE_1)
	s_xor_b32 s0, exec_lo, s13
	s_cbranch_execz .LBB19_626
; %bb.625:
	v_mad_u32_u24 v3, v3, 60, v225
	v_mov_b32_e32 v4, 0
	s_delay_alu instid0(VALU_DEP_2)
	v_lshl_add_u32 v3, v3, 2, 0
	ds_store_b32 v3, v4 offset:128
                                        ; implicit-def: $vgpr4
                                        ; implicit-def: $vgpr3
.LBB19_626:
	s_and_not1_saveexec_b32 s0, s0
	s_cbranch_execz .LBB19_628
; %bb.627:
	v_mul_lo_u32 v4, v4, s59
	v_mul_lo_u32 v5, v1, s15
	v_mad_u32_u24 v3, v3, 60, v225
	s_delay_alu instid0(VALU_DEP_1) | instskip(NEXT) | instid1(VALU_DEP_3)
	v_lshl_add_u32 v3, v3, 2, 0
	v_add3_u32 v4, v5, v2, v4
	s_delay_alu instid0(VALU_DEP_1) | instskip(NEXT) | instid1(VALU_DEP_1)
	v_ashrrev_i32_e32 v5, 31, v4
	v_lshlrev_b64 v[4:5], 3, v[4:5]
	s_delay_alu instid0(VALU_DEP_1) | instskip(NEXT) | instid1(VALU_DEP_2)
	v_add_co_u32 v4, vcc_lo, s5, v4
	v_add_co_ci_u32_e32 v5, vcc_lo, s6, v5, vcc_lo
	global_load_b64 v[4:5], v[4:5], off
	s_waitcnt vmcnt(0)
	v_cvt_f16_f32_e32 v4, v4
	v_cvt_f16_f32_e32 v5, v5
	s_delay_alu instid0(VALU_DEP_1) | instskip(NEXT) | instid1(VALU_DEP_1)
	v_pack_b32_f16 v4, v4, v5
	v_pk_mul_f16 v4, v228, v4
	ds_store_b32 v3, v4 offset:128
.LBB19_628:
	s_or_b32 exec_lo, exec_lo, s0
	v_add_nc_u32_e32 v237, 48, v223
	s_delay_alu instid0(VALU_DEP_1) | instskip(NEXT) | instid1(VALU_DEP_1)
	v_lshrrev_b32_e32 v3, 2, v237
	v_add_nc_u32_e32 v3, s1, v3
	s_delay_alu instid0(VALU_DEP_1) | instskip(SKIP_1) | instid1(SALU_CYCLE_1)
	v_cmp_le_i32_e32 vcc_lo, s8, v3
	s_or_b32 s0, vcc_lo, s11
	s_and_saveexec_b32 s13, s0
	s_delay_alu instid0(SALU_CYCLE_1)
	s_xor_b32 s0, exec_lo, s13
	s_cbranch_execz .LBB19_630
; %bb.629:
	v_mad_u32_u24 v3, v237, 60, v225
	v_mov_b32_e32 v4, 0
	s_delay_alu instid0(VALU_DEP_2)
	v_lshl_add_u32 v3, v3, 2, 0
	ds_store_b32 v3, v4 offset:128
                                        ; implicit-def: $vgpr3
.LBB19_630:
	s_and_not1_saveexec_b32 s0, s0
	s_cbranch_execz .LBB19_632
; %bb.631:
	v_mul_lo_u32 v3, v3, s59
	v_mul_lo_u32 v4, v1, s15
	s_delay_alu instid0(VALU_DEP_1) | instskip(NEXT) | instid1(VALU_DEP_1)
	v_add3_u32 v3, v4, v2, v3
	v_ashrrev_i32_e32 v4, 31, v3
	s_delay_alu instid0(VALU_DEP_1) | instskip(NEXT) | instid1(VALU_DEP_1)
	v_lshlrev_b64 v[3:4], 3, v[3:4]
	v_add_co_u32 v3, vcc_lo, s5, v3
	s_delay_alu instid0(VALU_DEP_2) | instskip(SKIP_4) | instid1(VALU_DEP_1)
	v_add_co_ci_u32_e32 v4, vcc_lo, s6, v4, vcc_lo
	global_load_b64 v[3:4], v[3:4], off
	s_waitcnt vmcnt(0)
	v_cvt_f16_f32_e32 v3, v3
	v_cvt_f16_f32_e32 v4, v4
	v_pack_b32_f16 v3, v3, v4
	v_mad_u32_u24 v4, v237, 60, v225
	s_delay_alu instid0(VALU_DEP_2) | instskip(NEXT) | instid1(VALU_DEP_2)
	v_pk_mul_f16 v3, v228, v3
	v_lshl_add_u32 v4, v4, 2, 0
	ds_store_b32 v4, v3 offset:128
.LBB19_632:
	s_or_b32 exec_lo, exec_lo, s0
	v_add_nc_u32_e32 v3, 56, v223
	s_delay_alu instid0(VALU_DEP_1) | instskip(NEXT) | instid1(VALU_DEP_1)
	v_lshrrev_b32_e32 v4, 2, v3
	v_add_nc_u32_e32 v4, s1, v4
	s_delay_alu instid0(VALU_DEP_1) | instskip(SKIP_1) | instid1(SALU_CYCLE_1)
	v_cmp_le_i32_e32 vcc_lo, s8, v4
	s_or_b32 s0, vcc_lo, s11
	s_and_saveexec_b32 s11, s0
	s_delay_alu instid0(SALU_CYCLE_1)
	s_xor_b32 s0, exec_lo, s11
	s_cbranch_execz .LBB19_634
; %bb.633:
	v_mad_u32_u24 v1, v3, 60, v225
	v_mov_b32_e32 v2, 0
                                        ; implicit-def: $vgpr4
                                        ; implicit-def: $vgpr3
	s_delay_alu instid0(VALU_DEP_2)
	v_lshl_add_u32 v1, v1, 2, 0
	ds_store_b32 v1, v2 offset:128
                                        ; implicit-def: $vgpr1
                                        ; implicit-def: $vgpr2
.LBB19_634:
	s_and_not1_saveexec_b32 s0, s0
	s_cbranch_execz .LBB19_636
; %bb.635:
	v_mul_lo_u32 v4, v4, s59
	v_mul_lo_u32 v1, v1, s15
	s_delay_alu instid0(VALU_DEP_1) | instskip(NEXT) | instid1(VALU_DEP_1)
	v_add3_u32 v1, v1, v2, v4
	v_ashrrev_i32_e32 v2, 31, v1
	s_delay_alu instid0(VALU_DEP_1) | instskip(NEXT) | instid1(VALU_DEP_1)
	v_lshlrev_b64 v[1:2], 3, v[1:2]
	v_add_co_u32 v1, vcc_lo, s5, v1
	s_delay_alu instid0(VALU_DEP_2) | instskip(SKIP_4) | instid1(VALU_DEP_1)
	v_add_co_ci_u32_e32 v2, vcc_lo, s6, v2, vcc_lo
	global_load_b64 v[1:2], v[1:2], off
	s_waitcnt vmcnt(0)
	v_cvt_f16_f32_e32 v1, v1
	v_cvt_f16_f32_e32 v2, v2
	v_pack_b32_f16 v1, v1, v2
	v_mad_u32_u24 v2, v3, 60, v225
	s_delay_alu instid0(VALU_DEP_2) | instskip(NEXT) | instid1(VALU_DEP_2)
	v_pk_mul_f16 v1, v228, v1
	v_lshl_add_u32 v2, v2, 2, 0
	ds_store_b32 v2, v1 offset:128
.LBB19_636:
	s_or_b32 exec_lo, exec_lo, s0
	v_lshlrev_b32_e32 v248, 2, v245
	v_lshrrev_b32_e32 v1, 3, v236
	v_and_b32_e32 v229, 7, v236
	s_delay_alu instid0(VALU_DEP_2) | instskip(SKIP_1) | instid1(VALU_DEP_2)
	v_add_nc_u32_e32 v227, v1, v248
	v_bfe_u32 v1, v236, 3, 2
	v_lshrrev_b32_e32 v2, 2, v227
	s_delay_alu instid0(VALU_DEP_2) | instskip(SKIP_1) | instid1(VALU_DEP_3)
	v_or_b32_e32 v4, s9, v1
	v_mad_u32_u24 v247, v227, 60, v229
	v_add_nc_u32_e32 v3, s1, v2
	s_delay_alu instid0(VALU_DEP_3) | instskip(NEXT) | instid1(VALU_DEP_2)
	v_cmp_gt_i32_e32 vcc_lo, s33, v4
	v_cmp_le_i32_e64 s0, s8, v3
	s_xor_b32 s9, vcc_lo, -1
	s_delay_alu instid0(VALU_DEP_1) | instid1(SALU_CYCLE_1)
	s_or_b32 s0, s0, s9
	s_delay_alu instid0(SALU_CYCLE_1) | instskip(NEXT) | instid1(SALU_CYCLE_1)
	s_and_saveexec_b32 s11, s0
	s_xor_b32 s0, exec_lo, s11
	s_cbranch_execz .LBB19_638
; %bb.637:
	v_lshl_add_u32 v2, v247, 2, 0
	v_mov_b32_e32 v3, 0
	ds_store_b32 v2, v3 offset:192
                                        ; implicit-def: $vgpr3
.LBB19_638:
	s_or_saveexec_b32 s0, s0
	v_or_b32_e32 v2, 48, v229
	s_xor_b32 exec_lo, exec_lo, s0
	s_cbranch_execz .LBB19_640
; %bb.639:
	v_mul_lo_u32 v3, v3, s59
	v_mul_lo_u32 v4, v1, s15
	s_delay_alu instid0(VALU_DEP_1) | instskip(NEXT) | instid1(VALU_DEP_1)
	v_add3_u32 v3, v4, v2, v3
	v_ashrrev_i32_e32 v4, 31, v3
	s_delay_alu instid0(VALU_DEP_1) | instskip(NEXT) | instid1(VALU_DEP_1)
	v_lshlrev_b64 v[3:4], 3, v[3:4]
	v_add_co_u32 v3, vcc_lo, s5, v3
	s_delay_alu instid0(VALU_DEP_2) | instskip(SKIP_4) | instid1(VALU_DEP_1)
	v_add_co_ci_u32_e32 v4, vcc_lo, s6, v4, vcc_lo
	global_load_b64 v[3:4], v[3:4], off
	s_waitcnt vmcnt(0)
	v_cvt_f16_f32_e32 v3, v3
	v_cvt_f16_f32_e32 v4, v4
	v_pack_b32_f16 v3, v3, v4
	v_lshl_add_u32 v4, v247, 2, 0
	s_delay_alu instid0(VALU_DEP_2)
	v_pk_mul_f16 v3, v228, v3
	ds_store_b32 v4, v3 offset:192
.LBB19_640:
	s_or_b32 exec_lo, exec_lo, s0
	v_add_nc_u32_e32 v233, 16, v227
	s_sub_i32 s0, 0, s4
	s_delay_alu instid0(VALU_DEP_1) | instskip(NEXT) | instid1(VALU_DEP_1)
	v_lshrrev_b32_e32 v3, 2, v233
	v_add_nc_u32_e32 v3, s1, v3
	s_delay_alu instid0(VALU_DEP_1) | instskip(SKIP_1) | instid1(SALU_CYCLE_1)
	v_cmp_le_i32_e32 vcc_lo, s8, v3
	s_or_b32 s11, vcc_lo, s9
	s_and_saveexec_b32 s13, s11
	s_delay_alu instid0(SALU_CYCLE_1)
	s_xor_b32 s11, exec_lo, s13
	s_cbranch_execz .LBB19_642
; %bb.641:
	v_mad_u32_u24 v3, v233, 60, v229
	v_mov_b32_e32 v4, 0
	s_delay_alu instid0(VALU_DEP_2)
	v_lshl_add_u32 v3, v3, 2, 0
	ds_store_b32 v3, v4 offset:192
                                        ; implicit-def: $vgpr3
.LBB19_642:
	s_or_saveexec_b32 s11, s11
	s_mul_i32 s0, s0, s7
	s_xor_b32 exec_lo, exec_lo, s11
	s_cbranch_execz .LBB19_644
; %bb.643:
	v_mul_lo_u32 v3, v3, s59
	v_mul_lo_u32 v4, v1, s15
	s_delay_alu instid0(VALU_DEP_1) | instskip(NEXT) | instid1(VALU_DEP_1)
	v_add3_u32 v3, v4, v2, v3
	v_ashrrev_i32_e32 v4, 31, v3
	s_delay_alu instid0(VALU_DEP_1) | instskip(NEXT) | instid1(VALU_DEP_1)
	v_lshlrev_b64 v[3:4], 3, v[3:4]
	v_add_co_u32 v3, vcc_lo, s5, v3
	s_delay_alu instid0(VALU_DEP_2) | instskip(SKIP_4) | instid1(VALU_DEP_1)
	v_add_co_ci_u32_e32 v4, vcc_lo, s6, v4, vcc_lo
	global_load_b64 v[3:4], v[3:4], off
	s_waitcnt vmcnt(0)
	v_cvt_f16_f32_e32 v3, v3
	v_cvt_f16_f32_e32 v4, v4
	v_pack_b32_f16 v3, v3, v4
	v_mad_u32_u24 v4, v233, 60, v229
	s_delay_alu instid0(VALU_DEP_2) | instskip(NEXT) | instid1(VALU_DEP_2)
	v_pk_mul_f16 v3, v228, v3
	v_lshl_add_u32 v4, v4, 2, 0
	ds_store_b32 v4, v3 offset:192
.LBB19_644:
	s_or_b32 exec_lo, exec_lo, s11
	v_add_nc_u32_e32 v235, 32, v227
	s_mul_hi_u32 s11, s7, s0
	s_delay_alu instid0(VALU_DEP_1) | instskip(NEXT) | instid1(VALU_DEP_1)
	v_lshrrev_b32_e32 v3, 2, v235
	v_add_nc_u32_e32 v3, s1, v3
	s_delay_alu instid0(VALU_DEP_1) | instskip(SKIP_1) | instid1(SALU_CYCLE_1)
	v_cmp_le_i32_e32 vcc_lo, s8, v3
	s_or_b32 s0, vcc_lo, s9
	s_and_saveexec_b32 s13, s0
	s_delay_alu instid0(SALU_CYCLE_1)
	s_xor_b32 s0, exec_lo, s13
	s_cbranch_execz .LBB19_646
; %bb.645:
	v_mad_u32_u24 v3, v235, 60, v229
	v_mov_b32_e32 v4, 0
	s_delay_alu instid0(VALU_DEP_2)
	v_lshl_add_u32 v3, v3, 2, 0
	ds_store_b32 v3, v4 offset:192
                                        ; implicit-def: $vgpr3
.LBB19_646:
	s_or_saveexec_b32 s0, s0
	s_abs_i32 s14, s2
	s_add_i32 s7, s7, s11
	s_xor_b32 exec_lo, exec_lo, s0
	s_cbranch_execz .LBB19_648
; %bb.647:
	v_mul_lo_u32 v3, v3, s59
	v_mul_lo_u32 v4, v1, s15
	s_delay_alu instid0(VALU_DEP_1) | instskip(NEXT) | instid1(VALU_DEP_1)
	v_add3_u32 v3, v4, v2, v3
	v_ashrrev_i32_e32 v4, 31, v3
	s_delay_alu instid0(VALU_DEP_1) | instskip(NEXT) | instid1(VALU_DEP_1)
	v_lshlrev_b64 v[3:4], 3, v[3:4]
	v_add_co_u32 v3, vcc_lo, s5, v3
	s_delay_alu instid0(VALU_DEP_2) | instskip(SKIP_4) | instid1(VALU_DEP_1)
	v_add_co_ci_u32_e32 v4, vcc_lo, s6, v4, vcc_lo
	global_load_b64 v[3:4], v[3:4], off
	s_waitcnt vmcnt(0)
	v_cvt_f16_f32_e32 v3, v3
	v_cvt_f16_f32_e32 v4, v4
	v_pack_b32_f16 v3, v3, v4
	v_mad_u32_u24 v4, v235, 60, v229
	s_delay_alu instid0(VALU_DEP_2) | instskip(NEXT) | instid1(VALU_DEP_2)
	v_pk_mul_f16 v3, v228, v3
	v_lshl_add_u32 v4, v4, 2, 0
	ds_store_b32 v4, v3 offset:192
.LBB19_648:
	s_or_b32 exec_lo, exec_lo, s0
	v_add_nc_u32_e32 v246, 48, v227
	s_mul_hi_u32 s7, s14, s7
	s_delay_alu instid0(VALU_DEP_1) | instskip(NEXT) | instid1(VALU_DEP_1)
	v_lshrrev_b32_e32 v3, 2, v246
	v_add_nc_u32_e32 v3, s1, v3
	s_delay_alu instid0(VALU_DEP_1) | instskip(SKIP_1) | instid1(SALU_CYCLE_1)
	v_cmp_le_i32_e32 vcc_lo, s8, v3
	s_or_b32 s0, vcc_lo, s9
	s_and_saveexec_b32 s9, s0
	s_delay_alu instid0(SALU_CYCLE_1)
	s_xor_b32 s0, exec_lo, s9
	s_cbranch_execz .LBB19_650
; %bb.649:
	v_mad_u32_u24 v1, v246, 60, v229
	v_mov_b32_e32 v2, 0
                                        ; implicit-def: $vgpr3
                                        ; implicit-def: $vgpr228
	s_delay_alu instid0(VALU_DEP_2)
	v_lshl_add_u32 v1, v1, 2, 0
	ds_store_b32 v1, v2 offset:192
                                        ; implicit-def: $vgpr1
                                        ; implicit-def: $vgpr2
.LBB19_650:
	s_or_saveexec_b32 s9, s0
	s_ashr_i32 s0, s2, 31
	s_xor_b32 exec_lo, exec_lo, s9
	s_cbranch_execz .LBB19_652
; %bb.651:
	v_mul_lo_u32 v3, v3, s59
	v_mul_lo_u32 v1, v1, s15
	s_delay_alu instid0(VALU_DEP_1) | instskip(NEXT) | instid1(VALU_DEP_1)
	v_add3_u32 v1, v1, v2, v3
	v_ashrrev_i32_e32 v2, 31, v1
	s_delay_alu instid0(VALU_DEP_1) | instskip(NEXT) | instid1(VALU_DEP_1)
	v_lshlrev_b64 v[1:2], 3, v[1:2]
	v_add_co_u32 v1, vcc_lo, s5, v1
	s_delay_alu instid0(VALU_DEP_2) | instskip(SKIP_4) | instid1(VALU_DEP_1)
	v_add_co_ci_u32_e32 v2, vcc_lo, s6, v2, vcc_lo
	global_load_b64 v[1:2], v[1:2], off
	s_waitcnt vmcnt(0)
	v_cvt_f16_f32_e32 v1, v1
	v_cvt_f16_f32_e32 v2, v2
	v_pack_b32_f16 v1, v1, v2
	v_mad_u32_u24 v2, v246, 60, v229
	s_delay_alu instid0(VALU_DEP_2) | instskip(NEXT) | instid1(VALU_DEP_2)
	v_pk_mul_f16 v1, v228, v1
	v_lshl_add_u32 v2, v2, 2, 0
	ds_store_b32 v2, v1 offset:192
.LBB19_652:
	s_or_b32 exec_lo, exec_lo, s9
	v_readlane_b32 s16, v254, 15
	s_mul_i32 s5, s2, s45
	s_mul_hi_u32 s6, s2, s44
	v_readlane_b32 s17, v254, 16
	s_add_i32 s5, s6, s5
	s_mul_i32 s6, s0, s44
	s_mul_i32 s9, s2, s44
	v_mul_u32_u24_e32 v2, 0xf00, v245
	v_mul_u32_u24_e32 v1, 0xf0, v225
	s_add_i32 s5, s5, s6
	s_add_u32 s6, s18, s9
	s_mul_i32 s9, s3, s17
	s_addc_u32 s5, s19, s5
	s_ashr_i32 s13, s9, 31
	s_mul_i32 s7, s7, s4
	s_add_u32 s11, s6, s9
	v_add3_u32 v2, 0, v2, v1
	s_addc_u32 s13, s5, s13
	s_sub_i32 s5, s14, s7
	s_waitcnt lgkmcnt(0)
	s_waitcnt_vscnt null, 0x0
	s_sub_i32 s6, s5, s4
	s_cmp_ge_u32 s5, s4
	s_barrier
	buffer_gl0_inv
	ds_load_b128 v[136:139], v2
	ds_load_b128 v[140:143], v2 offset:16
	ds_load_b128 v[201:204], v2 offset:32
	;; [unrolled: 1-line block ×13, first 2 shown]
	s_cselect_b32 s5, s6, s5
	v_readlane_b32 s14, v254, 12
	s_sub_i32 s6, s5, s4
	s_cmp_ge_u32 s5, s4
	v_readlane_b32 s15, v254, 13
	s_cselect_b32 s4, s6, s5
	v_add_nc_u32_e32 v38, -1, v0
	s_xor_b32 s4, s4, s0
	s_mul_i32 s3, s3, s47
	s_sub_i32 s4, s4, s0
	v_lshlrev_b32_e32 v0, 1, v236
	s_mul_i32 s5, s4, s15
	s_mul_hi_u32 s6, s4, s14
	s_ashr_i32 s7, s4, 31
	s_add_i32 s5, s6, s5
	s_mul_i32 s7, s7, s14
	s_mul_i32 s4, s4, s14
	s_add_i32 s5, s5, s7
	v_readlane_b32 s6, v254, 10
	v_readlane_b32 s7, v254, 11
	s_add_u32 s14, s22, s4
	s_addc_u32 s15, s23, s5
	v_cmp_lt_i32_e32 vcc_lo, s63, v38
	s_mul_hi_u32 s5, s2, s6
	s_mul_i32 s4, s2, s7
	s_mul_i32 s0, s0, s6
	s_add_i32 s4, s5, s4
	s_mul_i32 s2, s2, s6
	s_add_i32 s4, s4, s0
	s_add_u32 s0, s20, s2
	s_addc_u32 s2, s21, s4
	s_ashr_i32 s4, s3, 31
	s_add_u32 s6, s0, s3
	s_addc_u32 s7, s2, s4
	s_mov_b32 s0, 0
	s_movk_i32 s3, 0xf0
	s_and_b32 vcc_lo, exec_lo, vcc_lo
	s_mov_b32 s2, -1
	s_waitcnt lgkmcnt(0)
	s_barrier
	buffer_gl0_inv
	s_cbranch_vccnz .LBB19_654
; %bb.653:
	v_dual_mov_b32 v211, 32 :: v_dual_add_nc_u32 v4, s1, v219
	v_add_nc_u32_e32 v2, s1, v245
	v_add_nc_u32_e32 v8, s1, v242
	v_lshrrev_b32_e32 v11, 2, v236
	s_delay_alu instid0(VALU_DEP_4)
	v_mul_hi_u32 v7, s48, v4
	v_mul_lo_u32 v26, s12, v227
	v_mul_lo_u32 v169, s10, v227
	v_mul_hi_u32 v9, s48, v8
	s_movk_i32 s4, 0x480
	v_lshlrev_b32_e32 v228, 4, v245
	v_lshrrev_b32_e32 v10, 1, v236
	v_mad_u32_u24 v34, 0x90, v245, s4
	v_add_nc_u32_e32 v7, v4, v7
	s_lshl_b32 s4, s12, 4
	v_mad_u32_u24 v35, v227, s3, 0xf00
	v_add_nc_u32_e32 v9, v8, v9
	s_lshl_b32 s3, s10, 4
	v_lshrrev_b32_e32 v7, s49, v7
	v_add_nc_u32_e32 v28, s4, v26
	v_add_nc_u32_e32 v171, s3, v169
	v_lshrrev_b32_e32 v9, s49, v9
	v_add_nc_u32_e32 v10, v228, v10
	v_mul_lo_u32 v7, v7, s8
	v_add_nc_u32_e32 v30, s4, v28
	v_add_nc_u32_e32 v175, s3, v171
	s_movk_i32 s2, 0x240
	v_mul_lo_u32 v20, s12, v10
	v_mul_lo_u32 v251, s10, v10
	v_mad_u32_u24 v18, 0x90, v245, s2
	s_movk_i32 s2, 0x6c0
	v_sub_nc_u32_e32 v4, v4, v7
	v_mov_b32_e32 v7, 0
	v_add_nc_u32_e32 v3, s1, v220
	v_mul_hi_u32 v5, s48, v2
	v_add_nc_u32_e32 v32, s4, v30
	v_mad_i64_i32 v[39:40], null, v4, s34, 0
	v_mov_b32_e32 v12, v7
	v_mul_hi_u32 v6, s48, v3
	v_mov_b32_e32 v14, v7
	v_lshlrev_b32_e32 v4, 2, v236
	v_add_nc_u32_e32 v5, v2, v5
	v_mbcnt_lo_u32_b32 v209, -1, 0
	v_add_nc_u32_e32 v177, s3, v175
	v_mad_u32_u24 v37, 0x90, v245, s2
	s_movk_i32 s2, 0x1e00
	v_add_nc_u32_e32 v6, v3, v6
	v_lshrrev_b32_e32 v5, s49, v5
	v_mad_u32_u24 v36, 0xf0, v227, s2
	v_mul_u32_u24_e32 v17, 0x90, v245
	v_ashrrev_i32_e32 v21, 31, v20
	v_lshrrev_b32_e32 v6, s49, v6
	v_mul_lo_u32 v5, v5, s8
	v_mul_u32_u24_e32 v15, 0xf0, v227
	v_and_b32_e32 v13, 28, v4
	v_ashrrev_i32_e32 v27, 31, v26
	v_mul_lo_u32 v6, v6, s8
	v_ashrrev_i32_e32 v29, 31, v28
	v_ashrrev_i32_e32 v31, 31, v30
	;; [unrolled: 1-line block ×3, first 2 shown]
	v_sub_nc_u32_e32 v2, v2, v5
	v_mul_lo_u32 v5, v9, s8
	v_mul_u32_u24_e32 v9, 0xf0, v10
	v_xor_b32_e32 v210, 16, v209
	v_sub_nc_u32_e32 v3, v3, v6
	v_mad_i64_i32 v[45:46], null, v2, s34, 0
	v_and_or_b32 v6, v4, 4, 48
	v_xor_b32_e32 v181, 1, v161
	s_delay_alu instid0(VALU_DEP_4)
	v_mad_i64_i32 v[43:44], null, v3, s34, 0
	v_lshl_add_u32 v3, v245, 3, v11
	v_sub_nc_u32_e32 v2, v8, v5
	v_and_or_b32 v11, v4, 12, 32
	v_ashrrev_i32_e32 v252, 31, v251
	v_ashrrev_i32_e32 v170, 31, v169
	v_mul_lo_u32 v22, s12, v3
	v_mul_lo_u32 v173, s10, v3
	v_mad_i64_i32 v[41:42], null, v2, s34, 0
	v_and_or_b32 v2, v236, 12, v228
	v_mad_u32_u24 v16, 0xf0, v3, s2
	s_movk_i32 s2, 0x2d00
	v_mul_u32_u24_e32 v8, 0xf0, v3
	v_lshl_add_u32 v24, s12, 5, v22
	v_lshrrev_b32_e32 v2, 2, v2
	v_lshl_add_u32 v179, s10, 5, v173
	v_ashrrev_i32_e32 v23, 31, v22
	v_mad_u32_u24 v10, 0xf0, v227, s2
	v_ashrrev_i32_e32 v25, 31, v24
	v_mul_u32_u24_e32 v144, 0x90, v2
	v_ashrrev_i32_e32 v174, 31, v173
	v_ashrrev_i32_e32 v180, 31, v179
	;; [unrolled: 1-line block ×5, first 2 shown]
	v_or_b32_e32 v162, 0xf0, v225
	v_or_b32_e32 v164, 0x1e0, v225
	;; [unrolled: 1-line block ×7, first 2 shown]
	s_ashr_i32 s25, s12, 31
	s_ashr_i32 s5, s10, 31
	s_mov_b32 s3, 0xfeffffff
	s_mov_b32 s2, 0
	s_branch .LBB19_655
.LBB19_654:
                                        ; implicit-def: $sgpr0
                                        ; implicit-def: $sgpr3
                                        ; implicit-def: $vgpr17
                                        ; implicit-def: $vgpr45_vgpr46
                                        ; implicit-def: $vgpr18
                                        ; implicit-def: $vgpr43_vgpr44
                                        ; implicit-def: $vgpr34
                                        ; implicit-def: $vgpr39_vgpr40
                                        ; implicit-def: $vgpr37
                                        ; implicit-def: $vgpr41_vgpr42
                                        ; implicit-def: $vgpr228
                                        ; implicit-def: $vgpr9
                                        ; implicit-def: $vgpr20_vgpr21
                                        ; implicit-def: $vgpr6
                                        ; implicit-def: $vgpr8
                                        ; implicit-def: $vgpr22_vgpr23
                                        ; implicit-def: $vgpr11
                                        ; implicit-def: $vgpr16
                                        ; implicit-def: $vgpr24_vgpr25
                                        ; implicit-def: $vgpr15
                                        ; implicit-def: $vgpr13
                                        ; implicit-def: $vgpr26_vgpr27
                                        ; implicit-def: $vgpr35
                                        ; implicit-def: $vgpr28_vgpr29
                                        ; implicit-def: $vgpr36
                                        ; implicit-def: $vgpr30_vgpr31
                                        ; implicit-def: $vgpr10
                                        ; implicit-def: $vgpr32_vgpr33
                                        ; implicit-def: $vgpr144
                                        ; implicit-def: $vgpr209
                                        ; implicit-def: $vgpr210
                                        ; implicit-def: $vgpr211
                                        ; implicit-def: $vgpr181_vgpr182
                                        ; implicit-def: $vgpr251_vgpr252
                                        ; implicit-def: $vgpr173_vgpr174
                                        ; implicit-def: $vgpr179_vgpr180
                                        ; implicit-def: $vgpr169_vgpr170
                                        ; implicit-def: $vgpr171_vgpr172
                                        ; implicit-def: $vgpr175_vgpr176
                                        ; implicit-def: $vgpr177_vgpr178
                                        ; implicit-def: $vgpr162
                                        ; implicit-def: $vgpr164
                                        ; implicit-def: $vgpr163
                                        ; implicit-def: $vgpr165
                                        ; implicit-def: $vgpr166
                                        ; implicit-def: $vgpr168
                                        ; implicit-def: $vgpr167
                                        ; implicit-def: $sgpr24_sgpr25
                                        ; implicit-def: $sgpr4_sgpr5
.LBB19_655:
	v_dual_mov_b32 v63, s0 :: v_dual_mov_b32 v232, s3
	v_dual_mov_b32 v62, s0 :: v_dual_lshlrev_b32 v19, 1, v0
	v_dual_mov_b32 v60, s0 :: v_dual_add_nc_u32 v243, 0, v1
	v_dual_mov_b32 v58, s0 :: v_dual_lshlrev_b32 v249, 1, v161
	v_dual_mov_b32 v61, s0 :: v_dual_mov_b32 v56, s0
	v_dual_mov_b32 v59, s0 :: v_dual_mov_b32 v110, s0
	;; [unrolled: 1-line block ×25, first 2 shown]
	v_mov_b32_e32 v67, s0
	v_mov_b32_e32 v65, s0
	v_mov_b32_e32 v253, s0
	s_and_not1_b32 vcc_lo, exec_lo, s2
	s_cbranch_vccnz .LBB19_659
; %bb.656:
	v_dual_mov_b32 v18, 0 :: v_dual_add_nc_u32 v1, s1, v220
	v_add_nc_u32_e32 v0, s1, v245
	v_add_nc_u32_e32 v2, s1, v219
	v_dual_mov_b32 v16, v249 :: v_dual_add_nc_u32 v3, s1, v242
	s_delay_alu instid0(VALU_DEP_4) | instskip(NEXT) | instid1(VALU_DEP_4)
	v_mul_hi_u32 v5, s48, v1
	v_mul_hi_u32 v4, s48, v0
	s_delay_alu instid0(VALU_DEP_4) | instskip(NEXT) | instid1(VALU_DEP_4)
	v_mul_hi_u32 v6, s48, v2
	v_mul_hi_u32 v7, s48, v3
	v_dual_mov_b32 v66, v18 :: v_dual_lshlrev_b32 v15, 4, v245
	v_lshrrev_b32_e32 v8, 1, v236
	v_dual_mov_b32 v64, v18 :: v_dual_add_nc_u32 v5, v1, v5
	v_add_nc_u32_e32 v4, v0, v4
	v_add_nc_u32_e32 v6, v2, v6
	v_dual_mov_b32 v68, v18 :: v_dual_add_nc_u32 v7, v3, v7
	s_delay_alu instid0(VALU_DEP_4) | instskip(NEXT) | instid1(VALU_DEP_4)
	v_lshrrev_b32_e32 v5, s49, v5
	v_lshrrev_b32_e32 v4, s49, v4
	s_delay_alu instid0(VALU_DEP_4) | instskip(NEXT) | instid1(VALU_DEP_4)
	v_lshrrev_b32_e32 v6, s49, v6
	v_lshrrev_b32_e32 v7, s49, v7
	;; [unrolled: 1-line block ×3, first 2 shown]
	v_mul_lo_u32 v5, v5, s8
	v_mul_lo_u32 v4, v4, s8
	;; [unrolled: 1-line block ×4, first 2 shown]
	v_dual_mov_b32 v65, v18 :: v_dual_add_nc_u32 v8, v15, v8
	s_clause 0xb
	scratch_store_b32 off, v248, off offset:736
	scratch_store_b32 off, v247, off offset:732
	;; [unrolled: 1-line block ×12, first 2 shown]
	v_mov_b32_e32 v67, v18
	v_sub_nc_u32_e32 v11, v1, v5
	v_sub_nc_u32_e32 v10, v0, v4
	v_lshlrev_b32_e32 v0, 2, v236
	v_lshl_add_u32 v1, v245, 3, v9
	v_sub_nc_u32_e32 v12, v2, v6
	v_sub_nc_u32_e32 v13, v3, v7
	v_mad_u32_u24 v2, 0xf0, v8, 0
	v_dual_mov_b32 v70, v18 :: v_dual_and_b32 v9, 12, v0
	v_dual_mov_b32 v69, v18 :: v_dual_and_b32 v14, 4, v0
	v_mul_u32_u24_e32 v5, 0xf0, v1
	s_delay_alu instid0(VALU_DEP_3) | instskip(NEXT) | instid1(VALU_DEP_3)
	v_dual_mov_b32 v72, v18 :: v_dual_lshlrev_b32 v3, 2, v9
	v_dual_mov_b32 v71, v18 :: v_dual_lshlrev_b32 v4, 2, v14
	v_mul_u32_u24_e32 v6, 0xf0, v8
	s_delay_alu instid0(VALU_DEP_3) | instskip(SKIP_1) | instid1(VALU_DEP_3)
	v_add3_u32 v3, 0, v5, v3
	s_movk_i32 s3, 0x1e00
	v_add3_u32 v2, v2, v4, 0xc0
	v_mov_b32_e32 v73, v18
	v_or_b32_e32 v4, 32, v9
	v_mul_lo_u32 v22, s12, v1
	v_mul_lo_u32 v173, s10, v1
	s_clause 0x1
	scratch_store_b32 off, v2, off offset:288
	scratch_store_b32 off, v15, off offset:740
	v_add_nc_u32_e32 v2, 0x80, v3
	scratch_store_b32 off, v5, off offset:836 ; 4-byte Folded Spill
	v_mov_b32_e32 v79, v18
	v_mov_b32_e32 v5, v18
	v_dual_mov_b32 v82, v18 :: v_dual_lshlrev_b32 v7, 1, v225
	scratch_store_b32 off, v2, off offset:292 ; 4-byte Folded Spill
	v_add_nc_u32_e32 v2, 0x1e80, v3
	s_clause 0x1
	scratch_store_b32 off, v6, off offset:900
	scratch_store_b64 off, v[4:5], off offset:904
	v_dual_mov_b32 v75, v18 :: v_dual_and_b32 v4, 28, v0
	scratch_store_b32 off, v2, off offset:296 ; 4-byte Folded Spill
	v_mbcnt_lo_u32_b32 v2, -1, 0
	v_mad_u32_u24 v0, 0xf0, v1, s3
	v_mul_u32_u24_e32 v6, 0xf0, v227
	v_mul_lo_u32 v20, s12, v8
	v_mul_lo_u32 v251, s10, v8
	v_xor_b32_e32 v3, 16, v2
	v_dual_mov_b32 v89, v18 :: v_dual_add_nc_u32 v8, 0, v19
	s_movk_i32 s0, 0x240
	s_movk_i32 s1, 0x480
	s_delay_alu instid0(VALU_DEP_2)
	v_cmp_gt_i32_e32 vcc_lo, 32, v3
	s_movk_i32 s2, 0x6c0
	s_movk_i32 s4, 0xf00
	;; [unrolled: 1-line block ×3, first 2 shown]
	v_mul_lo_u32 v26, s12, v227
	v_cndmask_b32_e32 v1, v2, v3, vcc_lo
	s_lshl_b32 s5, s12, 4
	v_mov_b32_e32 v81, v18
	v_or_b32_e32 v17, 48, v14
	v_lshl_add_u32 v24, s12, 5, v22
	v_dual_mov_b32 v76, v18 :: v_dual_lshlrev_b32 v239, 2, v1
	v_add3_u32 v1, 0, 0xf00, v7
	scratch_store_b32 off, v3, off offset:800 ; 4-byte Folded Spill
	v_dual_mov_b32 v77, v18 :: v_dual_add_nc_u32 v28, s5, v26
	v_mov_b32_e32 v83, v18
	scratch_store_b32 off, v1, off offset:304 ; 4-byte Folded Spill
	v_add3_u32 v1, 0, 0x1e00, v7
	scratch_store_b32 off, v6, off offset:928 ; 4-byte Folded Spill
	v_add_nc_u32_e32 v30, s5, v28
	v_ashrrev_i32_e32 v21, 31, v20
	v_ashrrev_i32_e32 v23, 31, v22
	scratch_store_b32 off, v1, off offset:336 ; 4-byte Folded Spill
	v_add3_u32 v1, 0, 0x2d00, v7
	scratch_store_b32 off, v0, off offset:932 ; 4-byte Folded Spill
	v_lshlrev_b32_e32 v0, 2, v4
	v_dual_mov_b32 v85, v18 :: v_dual_add_nc_u32 v32, s5, v30
	scratch_store_b32 off, v1, off offset:368 ; 4-byte Folded Spill
	v_add3_u32 v1, 0, 32, v7
	v_add3_u32 v6, 0, v6, v0
	v_and_or_b32 v0, v236, 12, v15
	v_dual_mov_b32 v15, v245 :: v_dual_mov_b32 v90, v18
	scratch_store_b32 off, v1, off offset:400 ; 4-byte Folded Spill
	v_add3_u32 v1, 0, 0xf20, v7
	v_mov_b32_e32 v92, v18
	v_lshrrev_b32_e32 v0, 2, v0
	v_mov_b32_e32 v94, v18
	v_ashrrev_i32_e32 v25, 31, v24
	scratch_store_b32 off, v1, off offset:432 ; 4-byte Folded Spill
	v_add3_u32 v1, 0, 0x1e20, v7
	v_mul_u32_u24_e32 v0, 0x90, v0
	v_ashrrev_i32_e32 v27, 31, v26
	v_ashrrev_i32_e32 v29, 31, v28
	;; [unrolled: 1-line block ×3, first 2 shown]
	scratch_store_b32 off, v1, off offset:464 ; 4-byte Folded Spill
	v_add3_u32 v1, 0, 0x2d20, v7
	v_ashrrev_i32_e32 v33, 31, v32
	v_mad_i64_i32 v[43:44], null, v11, s34, 0
	v_mad_i64_i32 v[39:40], null, v12, s34, 0
	scratch_store_b32 off, v1, off offset:472 ; 4-byte Folded Spill
	v_add3_u32 v1, 0, 64, v7
	v_mad_i64_i32 v[41:42], null, v13, s34, 0
	v_mul_lo_u32 v169, s10, v227
	s_lshl_b32 s8, s10, 4
	scratch_store_b32 off, v1, off offset:480 ; 4-byte Folded Spill
	v_add3_u32 v1, 0, 0xf40, v7
	v_mov_b32_e32 v74, v18
	v_lshl_add_u32 v179, s10, 5, v173
	v_mov_b32_e32 v78, v18
	v_mad_i64_i32 v[45:46], null, v10, s34, 0
	scratch_store_b32 off, v1, off offset:488 ; 4-byte Folded Spill
	v_add3_u32 v1, 0, 0x1e40, v7
	v_add_nc_u32_e32 v171, s8, v169
	v_ashrrev_i32_e32 v252, 31, v251
	v_ashrrev_i32_e32 v174, 31, v173
	;; [unrolled: 1-line block ×3, first 2 shown]
	scratch_store_b32 off, v1, off offset:496 ; 4-byte Folded Spill
	v_add3_u32 v1, 0, 0x2d40, v7
	v_add_nc_u32_e32 v175, s8, v171
	v_ashrrev_i32_e32 v170, 31, v169
	v_ashrrev_i32_e32 v172, 31, v171
	v_dual_mov_b32 v87, v18 :: v_dual_add_nc_u32 v240, 0, v7
	scratch_store_b32 off, v1, off offset:504 ; 4-byte Folded Spill
	v_add3_u32 v1, 0, 0x60, v7
	v_dual_mov_b32 v80, v18 :: v_dual_add_nc_u32 v177, s8, v175
	v_ashrrev_i32_e32 v176, 31, v175
	v_add3_u32 v242, 0, 0x1e80, v7
	scratch_store_b32 off, v1, off offset:512 ; 4-byte Folded Spill
	v_add3_u32 v1, 0, 0xf60, v7
	v_ashrrev_i32_e32 v178, 31, v177
	v_add3_u32 v246, 0, 0x2d80, v7
	v_mov_b32_e32 v84, v18
	v_add3_u32 v241, 0, 0xa0, v7
	scratch_store_b32 off, v1, off offset:520 ; 4-byte Folded Spill
	v_add3_u32 v1, 0, 0x1e60, v7
	v_add3_u32 v233, 0, 0xfa0, v7
	v_mov_b32_e32 v86, v18
	v_add3_u32 v234, 0, 0x1ea0, v7
	v_add3_u32 v235, 0, 0x2da0, v7
	scratch_store_b32 off, v1, off offset:528 ; 4-byte Folded Spill
	v_add3_u32 v1, 0, 0x2d60, v7
	v_mov_b32_e32 v88, v18
	v_add3_u32 v236, 0, 0xc0, v7
	v_add3_u32 v237, 0, 0xfc0, v7
	;; [unrolled: 1-line block ×3, first 2 shown]
	scratch_store_b32 off, v1, off offset:536 ; 4-byte Folded Spill
	v_add3_u32 v1, 0, 0x80, v7
	v_add3_u32 v248, 0, 0x2dc0, v7
	v_dual_mov_b32 v91, v18 :: v_dual_mov_b32 v232, 0xfeffffff
	v_mov_b32_e32 v93, v18
	scratch_store_b32 off, v1, off offset:544 ; 4-byte Folded Spill
	v_add3_u32 v1, 0, 0xf80, v7
	v_mov_b32_e32 v95, v18
	v_mov_b32_e32 v96, v18
	;; [unrolled: 1-line block ×4, first 2 shown]
	scratch_store_b32 off, v1, off offset:552 ; 4-byte Folded Spill
	v_mul_u32_u24_e32 v1, 0x90, v15
	v_mov_b32_e32 v99, v18
	v_mov_b32_e32 v100, v18
	;; [unrolled: 1-line block ×4, first 2 shown]
	scratch_store_b32 off, v1, off offset:936 ; 4-byte Folded Spill
	v_add_nc_u32_e32 v1, v8, v1
	v_mov_b32_e32 v103, v18
	v_mov_b32_e32 v104, v18
	;; [unrolled: 1-line block ×4, first 2 shown]
	scratch_store_b32 off, v1, off offset:560 ; 4-byte Folded Spill
	v_lshlrev_b32_e32 v1, 2, v14
	v_mov_b32_e32 v107, v18
	v_mov_b32_e32 v108, v18
	;; [unrolled: 1-line block ×4, first 2 shown]
	scratch_store_b32 off, v1, off offset:568 ; 4-byte Folded Spill
	v_lshlrev_b32_e32 v1, 2, v9
	v_or_b32_e32 v9, 0xf0, v225
	v_mov_b32_e32 v111, v18
	v_mov_b32_e32 v56, v18
	;; [unrolled: 1-line block ×3, first 2 shown]
	scratch_store_b32 off, v1, off offset:576 ; 4-byte Folded Spill
	v_add_co_u32 v1, s24, s14, v19
	v_mov_b32_e32 v58, v18
	v_mov_b32_e32 v59, v18
	;; [unrolled: 1-line block ×3, first 2 shown]
	scratch_store_b32 off, v1, off offset:580 ; 4-byte Folded Spill
	v_add_co_ci_u32_e64 v1, null, s15, 0, s24
	v_mov_b32_e32 v61, v18
	v_mov_b32_e32 v62, v18
	;; [unrolled: 1-line block ×3, first 2 shown]
	scratch_store_b32 off, v1, off offset:584 ; 4-byte Folded Spill
	v_mad_u32_u24 v1, 0x90, v15, s0
	scratch_store_b32 off, v19, off offset:940 ; 4-byte Folded Spill
	v_add3_u32 v8, 0, v0, v16
	v_mov_b32_e32 v253, v18
	v_xor_b32_e32 v181, 1, v161
	scratch_store_b32 off, v1, off offset:944 ; 4-byte Folded Spill
	v_mad_u32_u24 v1, 0x90, v15, s1
	s_mov_b32 s16, 0
	s_ashr_i32 s25, s12, 31
	s_ashr_i32 s5, s10, 31
	s_lshl_b32 s8, s63, 6
	scratch_store_b32 off, v1, off offset:948 ; 4-byte Folded Spill
	v_mad_u32_u24 v1, 0x90, v15, s2
	s_mov_b32 s17, s16
	s_mov_b32 s18, s16
	;; [unrolled: 1-line block ×4, first 2 shown]
	scratch_store_b32 off, v1, off offset:960 ; 4-byte Folded Spill
	v_mad_u32_u24 v1, 0xf0, v227, s4
	s_mov_b32 s21, s16
	s_mov_b32 s22, s16
	s_mov_b32 s23, s16
	scratch_store_b32 off, v1, off offset:952 ; 4-byte Folded Spill
	v_add_nc_u32_e32 v1, 0xf00, v6
	scratch_store_b32 off, v1, off offset:588 ; 4-byte Folded Spill
	v_mad_u32_u24 v1, 0xf0, v227, s3
	scratch_store_b32 off, v1, off offset:956 ; 4-byte Folded Spill
	v_add_nc_u32_e32 v1, 0x1e00, v6
	s_clause 0x1
	scratch_store_b32 off, v1, off offset:620
	scratch_store_b32 off, v227, off offset:700
	v_mad_u32_u24 v1, 0xf0, v227, s9
	s_clause 0x1
	scratch_store_b32 off, v1, off offset:964
	scratch_store_b32 off, v6, off offset:300
	v_add_nc_u32_e32 v1, 0x2d00, v6
	s_clause 0x2
	scratch_store_b32 off, v1, off offset:652
	scratch_store_b32 off, v0, off offset:868
	;; [unrolled: 1-line block ×3, first 2 shown]
	v_or_b32_e32 v9, 0x1e0, v225
	scratch_store_b32 off, v9, off offset:780 ; 4-byte Folded Spill
	v_or_b32_e32 v9, 0x2d0, v225
	scratch_store_b32 off, v9, off offset:776 ; 4-byte Folded Spill
	;; [unrolled: 2-line block ×4, first 2 shown]
	v_or_b32_e32 v9, 0x5a0, v225
	s_clause 0x1
	scratch_store_b32 off, v9, off offset:796
	scratch_store_b32 off, v225, off offset:692
	v_or_b32_e32 v9, 0x690, v225
	s_clause 0x19
	scratch_store_b64 off, v[17:18], off offset:804
	scratch_store_b32 off, v9, off offset:792
	scratch_store_b64 off, v[4:5], off offset:920
	scratch_store_b128 off, v[120:123], off offset:12
	scratch_store_b128 off, v[124:127], off offset:28
	;; [unrolled: 1-line block ×12, first 2 shown]
	scratch_store_b64 off, v[20:21], off offset:204
	scratch_store_b64 off, v[22:23], off offset:212
	;; [unrolled: 1-line block ×7, first 2 shown]
	scratch_store_b32 off, v38, off offset:260
	scratch_store_b64 off, v[39:40], off offset:264
	scratch_store_b64 off, v[41:42], off offset:272
	;; [unrolled: 1-line block ×3, first 2 shown]
	scratch_load_b32 v238, off, off offset:536 ; 4-byte Folded Reload
	v_lshlrev_b32_e32 v9, 2, v4
.LBB19_657:                             ; =>This Inner Loop Header: Depth=1
	scratch_load_b32 v0, off, off offset:580 ; 4-byte Folded Reload
	s_ashr_i32 s9, s8, 31
	v_lshlrev_b64 v[10:11], 1, v[45:46]
	s_lshl_b64 s[0:1], s[8:9], 1
	v_lshlrev_b64 v[12:13], 1, v[43:44]
	v_lshlrev_b64 v[14:15], 1, v[39:40]
	;; [unrolled: 1-line block ×3, first 2 shown]
	v_cmp_eq_u32_e64 s2, 0, v161
	v_dual_mov_b32 v250, v180 :: v_dual_mov_b32 v135, s23
	v_dual_mov_b32 v134, s22 :: v_dual_mov_b32 v131, s19
	v_dual_mov_b32 v132, s20 :: v_dual_mov_b32 v129, s17
	v_mov_b32_e32 v130, s18
	v_dual_mov_b32 v128, s16 :: v_dual_mov_b32 v133, s21
	v_mov_b32_e32 v223, v172
	v_mov_b32_e32 v249, v179
	;; [unrolled: 1-line block ×4, first 2 shown]
	s_waitcnt vmcnt(0)
	v_add_co_u32 v18, vcc_lo, v0, s0
	scratch_load_b32 v0, off, off offset:584 ; 4-byte Folded Reload
	s_mul_i32 s0, s8, s12
	s_waitcnt vmcnt(0)
	v_add_co_ci_u32_e32 v19, vcc_lo, s1, v0, vcc_lo
	v_add_co_u32 v10, vcc_lo, v18, v10
	s_mul_hi_i32 s1, s8, s12
	s_delay_alu instid0(VALU_DEP_2)
	v_add_co_ci_u32_e32 v11, vcc_lo, v19, v11, vcc_lo
	v_add_co_u32 v12, vcc_lo, v18, v12
	v_add_co_ci_u32_e32 v13, vcc_lo, v19, v13, vcc_lo
	v_add_co_u32 v14, vcc_lo, v18, v14
	;; [unrolled: 2-line block ×3, first 2 shown]
	v_add_co_ci_u32_e32 v17, vcc_lo, v19, v17, vcc_lo
	s_clause 0x3
	global_load_b32 v10, v[10:11], off
	global_load_b32 v11, v[12:13], off
	;; [unrolled: 1-line block ×4, first 2 shown]
	s_clause 0x2
	scratch_load_b32 v0, off, off offset:560
	scratch_load_b32 v4, off, off offset:568
	;; [unrolled: 1-line block ×3, first 2 shown]
	s_lshl_b64 s[0:1], s[0:1], 2
	s_delay_alu instid0(SALU_CYCLE_1)
	s_add_u32 s0, s11, s0
	s_addc_u32 s1, s13, s1
	s_waitcnt vmcnt(2)
	v_add_nc_u32_e32 v14, 0x3c00, v0
	ds_store_2addr_b32 v14, v10, v11 offset1:144
	v_add_nc_u32_e32 v10, 0x4000, v0
	ds_store_2addr_b32 v10, v12, v13 offset0:32 offset1:176
	v_lshlrev_b64 v[10:11], 2, v[20:21]
	s_delay_alu instid0(VALU_DEP_1) | instskip(NEXT) | instid1(VALU_DEP_2)
	v_add_co_u32 v12, vcc_lo, s0, v10
	v_add_co_ci_u32_e32 v13, vcc_lo, s1, v11, vcc_lo
	v_lshlrev_b64 v[10:11], 2, v[22:23]
	s_delay_alu instid0(VALU_DEP_1) | instskip(NEXT) | instid1(VALU_DEP_2)
	v_add_co_u32 v14, vcc_lo, s0, v10
	v_add_co_ci_u32_e32 v15, vcc_lo, s1, v11, vcc_lo
	s_waitcnt vmcnt(1)
	v_add_co_u32 v10, vcc_lo, v12, v4
	v_add_co_ci_u32_e32 v11, vcc_lo, 0, v13, vcc_lo
	s_waitcnt vmcnt(0)
	v_add_co_u32 v14, vcc_lo, v14, v5
	v_add_co_ci_u32_e32 v15, vcc_lo, 0, v15, vcc_lo
	s_clause 0x1
	global_load_b128 v[10:13], v[10:11], off offset:192
	global_load_b128 v[14:17], v[14:15], off offset:128
	scratch_load_b32 v0, off, off offset:288 ; 4-byte Folded Reload
	s_waitcnt vmcnt(0)
	ds_store_b128 v0, v[10:13]
	v_lshlrev_b64 v[10:11], 2, v[24:25]
	s_delay_alu instid0(VALU_DEP_1) | instskip(NEXT) | instid1(VALU_DEP_2)
	v_add_co_u32 v12, vcc_lo, s0, v10
	v_add_co_ci_u32_e32 v13, vcc_lo, s1, v11, vcc_lo
	v_lshlrev_b64 v[10:11], 2, v[26:27]
	s_delay_alu instid0(VALU_DEP_1) | instskip(NEXT) | instid1(VALU_DEP_2)
	v_add_co_u32 v18, vcc_lo, s0, v10
	v_add_co_ci_u32_e32 v19, vcc_lo, s1, v11, vcc_lo
	v_add_co_u32 v10, vcc_lo, v12, v5
	v_add_co_ci_u32_e32 v11, vcc_lo, 0, v13, vcc_lo
	s_delay_alu instid0(VALU_DEP_4) | instskip(NEXT) | instid1(VALU_DEP_4)
	v_add_co_u32 v18, vcc_lo, v18, v9
	v_add_co_ci_u32_e32 v19, vcc_lo, 0, v19, vcc_lo
	s_clause 0x1
	global_load_b128 v[10:13], v[10:11], off offset:128
	global_load_b128 v[18:21], v[18:19], off
	s_clause 0x1
	scratch_load_b32 v1, off, off offset:292
	scratch_load_b32 v2, off, off offset:296
	s_waitcnt vmcnt(1)
	ds_store_b128 v1, v[14:17]
	s_waitcnt vmcnt(0)
	ds_store_b128 v2, v[10:13]
	v_lshlrev_b64 v[10:11], 2, v[28:29]
	s_delay_alu instid0(VALU_DEP_1) | instskip(NEXT) | instid1(VALU_DEP_2)
	v_add_co_u32 v12, vcc_lo, s0, v10
	v_add_co_ci_u32_e32 v13, vcc_lo, s1, v11, vcc_lo
	v_lshlrev_b64 v[10:11], 2, v[30:31]
	s_delay_alu instid0(VALU_DEP_1) | instskip(NEXT) | instid1(VALU_DEP_2)
	v_add_co_u32 v14, vcc_lo, s0, v10
	v_add_co_ci_u32_e32 v15, vcc_lo, s1, v11, vcc_lo
	v_add_co_u32 v10, vcc_lo, v12, v9
	v_add_co_ci_u32_e32 v11, vcc_lo, 0, v13, vcc_lo
	s_delay_alu instid0(VALU_DEP_4) | instskip(NEXT) | instid1(VALU_DEP_4)
	v_add_co_u32 v14, vcc_lo, v14, v9
	v_add_co_ci_u32_e32 v15, vcc_lo, 0, v15, vcc_lo
	s_clause 0x1
	global_load_b128 v[10:13], v[10:11], off
	global_load_b128 v[14:17], v[14:15], off
	s_clause 0x1
	scratch_load_b32 v3, off, off offset:300
	scratch_load_b32 v6, off, off offset:588
	s_waitcnt vmcnt(1)
	ds_store_b128 v3, v[18:21]
	s_waitcnt vmcnt(0)
	ds_store_b128 v6, v[10:13]
	v_lshlrev_b64 v[10:11], 2, v[32:33]
	s_delay_alu instid0(VALU_DEP_1) | instskip(NEXT) | instid1(VALU_DEP_2)
	v_add_co_u32 v10, vcc_lo, s0, v10
	v_add_co_ci_u32_e32 v11, vcc_lo, s1, v11, vcc_lo
	s_mul_hi_i32 s1, s8, s10
	s_delay_alu instid0(VALU_DEP_2) | instskip(NEXT) | instid1(VALU_DEP_2)
	v_add_co_u32 v10, vcc_lo, v10, v9
	v_add_co_ci_u32_e32 v11, vcc_lo, 0, v11, vcc_lo
	global_load_b128 v[10:13], v[10:11], off
	s_clause 0x1
	scratch_load_b32 v7, off, off offset:620
	scratch_load_b32 v44, off, off offset:652
	s_mul_i32 s0, s8, s10
	s_delay_alu instid0(SALU_CYCLE_1) | instskip(NEXT) | instid1(SALU_CYCLE_1)
	s_lshl_b64 s[0:1], s[0:1], 2
	s_add_u32 s0, s6, s0
	s_addc_u32 s1, s7, s1
	s_add_i32 s63, s63, 1
	s_add_i32 s8, s8, 64
	s_waitcnt vmcnt(1)
	ds_store_b128 v7, v[14:17]
	s_waitcnt vmcnt(0)
	ds_store_b128 v44, v[10:13]
	s_waitcnt lgkmcnt(0)
	s_waitcnt_vscnt null, 0x0
	s_barrier
	buffer_gl0_inv
	ds_load_b128 v[10:13], v243
	ds_load_b128 v[14:17], v243 offset:16
	ds_load_b128 v[18:21], v243 offset:3840
	;; [unrolled: 1-line block ×7, first 2 shown]
	s_clause 0x1
	scratch_load_b128 v[26:29], off, off offset:76
	scratch_load_b128 v[30:33], off, off offset:92
	s_waitcnt vmcnt(0) lgkmcnt(6)
	v_wmma_f32_16x16x16_f16 v[136:143], v[10:17], v[26:33], v[128:135]
	ds_load_b128 v[10:13], v243 offset:32
	ds_load_b128 v[14:17], v243 offset:48
	s_waitcnt lgkmcnt(6)
	v_wmma_f32_16x16x16_f16 v[144:151], v[18:25], v[26:33], v[128:135]
	s_waitcnt lgkmcnt(4)
	v_wmma_f32_16x16x16_f16 v[152:159], v[112:119], v[26:33], v[128:135]
	;; [unrolled: 2-line block ×4, first 2 shown]
	ds_load_b128 v[10:13], v243 offset:3872
	ds_load_b128 v[14:17], v243 offset:3888
	s_waitcnt lgkmcnt(0)
	v_wmma_f32_16x16x16_f16 v[144:151], v[10:17], v[201:208], v[144:151]
	ds_load_b128 v[10:13], v243 offset:7712
	ds_load_b128 v[14:17], v243 offset:7728
	s_waitcnt lgkmcnt(0)
	v_wmma_f32_16x16x16_f16 v[152:159], v[10:17], v[201:208], v[152:159]
	;; [unrolled: 4-line block ×3, first 2 shown]
	ds_load_b128 v[10:13], v243 offset:64
	ds_load_b128 v[14:17], v243 offset:80
	s_clause 0x1
	scratch_load_b128 v[18:21], off, off offset:44
	scratch_load_b128 v[22:25], off, off offset:60
	s_waitcnt vmcnt(0) lgkmcnt(0)
	v_wmma_f32_16x16x16_f16 v[136:143], v[10:17], v[18:25], v[136:143]
	ds_load_b128 v[10:13], v243 offset:3904
	ds_load_b128 v[14:17], v243 offset:3920
	s_waitcnt lgkmcnt(0)
	v_wmma_f32_16x16x16_f16 v[144:151], v[10:17], v[18:25], v[144:151]
	ds_load_b128 v[10:13], v243 offset:7744
	ds_load_b128 v[14:17], v243 offset:7760
	s_waitcnt lgkmcnt(0)
	;; [unrolled: 4-line block ×3, first 2 shown]
	v_wmma_f32_16x16x16_f16 v[112:119], v[10:17], v[18:25], v[112:119]
	ds_load_b128 v[10:13], v243 offset:96
	ds_load_b128 v[14:17], v243 offset:112
	s_clause 0x1
	scratch_load_b128 v[18:21], off, off offset:12
	scratch_load_b128 v[22:25], off, off offset:28
	s_waitcnt vmcnt(0) lgkmcnt(0)
	v_wmma_f32_16x16x16_f16 v[136:143], v[10:17], v[18:25], v[136:143]
	ds_load_b128 v[10:13], v243 offset:3936
	ds_load_b128 v[14:17], v243 offset:3952
	s_waitcnt lgkmcnt(0)
	v_wmma_f32_16x16x16_f16 v[144:151], v[10:17], v[18:25], v[144:151]
	ds_load_b128 v[10:13], v243 offset:7776
	ds_load_b128 v[14:17], v243 offset:7792
	s_waitcnt lgkmcnt(0)
	;; [unrolled: 4-line block ×15, first 2 shown]
	s_barrier
	buffer_gl0_inv
	v_wmma_f32_16x16x16_f16 v[112:119], v[10:17], v[183:190], v[112:119]
	ds_load_u16 v10, v8 offset:15360
	ds_load_u16 v11, v8 offset:15364
	;; [unrolled: 1-line block ×8, first 2 shown]
	s_waitcnt lgkmcnt(7)
	v_cvt_f32_f16_e32 v10, v10
	s_waitcnt lgkmcnt(6)
	v_cvt_f32_f16_e32 v11, v11
	;; [unrolled: 2-line block ×8, first 2 shown]
	v_add_f32_e32 v16, v138, v12
	v_add_f32_e32 v18, v139, v13
	;; [unrolled: 1-line block ×4, first 2 shown]
	v_dual_add_f32 v23, v142, v19 :: v_dual_add_f32 v24, v143, v17
	ds_load_u16 v12, v8 offset:15392
	ds_load_u16 v13, v8 offset:15396
	;; [unrolled: 1-line block ×8, first 2 shown]
	v_add_f32_e32 v11, v137, v11
	s_waitcnt lgkmcnt(7)
	v_cvt_f32_f16_e32 v12, v12
	s_waitcnt lgkmcnt(6)
	v_cvt_f32_f16_e32 v13, v13
	;; [unrolled: 2-line block ×8, first 2 shown]
	v_dual_add_f32 v10, v136, v10 :: v_dual_add_f32 v139, v145, v13
	v_dual_add_f32 v138, v144, v12 :: v_dual_add_f32 v31, v146, v14
	;; [unrolled: 1-line block ×4, first 2 shown]
	v_add_f32_e32 v26, v151, v25
	ds_load_u16 v12, v8 offset:15424
	ds_load_u16 v13, v8 offset:15428
	;; [unrolled: 1-line block ×8, first 2 shown]
	s_waitcnt lgkmcnt(7)
	v_cvt_f32_f16_e32 v12, v12
	s_waitcnt lgkmcnt(6)
	v_cvt_f32_f16_e32 v13, v13
	;; [unrolled: 2-line block ×8, first 2 shown]
	v_dual_add_f32 v17, v154, v14 :: v_dual_add_f32 v50, v155, v15
	v_dual_add_f32 v55, v156, v32 :: v_dual_add_f32 v226, v157, v33
	v_add_f32_e32 v52, v158, v34
	s_delay_alu instid0(VALU_DEP_4)
	v_add_f32_e32 v224, v159, v25
	ds_load_u16 v14, v8 offset:15456
	ds_load_u16 v15, v8 offset:15460
	;; [unrolled: 1-line block ×8, first 2 shown]
	v_add_f32_e32 v21, v153, v13
	v_add_f32_e32 v19, v152, v12
	s_waitcnt lgkmcnt(7)
	v_cvt_f32_f16_e32 v14, v14
	s_waitcnt lgkmcnt(6)
	v_cvt_f32_f16_e32 v15, v15
	s_waitcnt lgkmcnt(5)
	v_cvt_f32_f16_e32 v25, v25
	s_waitcnt lgkmcnt(4)
	v_cvt_f32_f16_e32 v32, v32
	s_waitcnt lgkmcnt(3)
	v_cvt_f32_f16_e32 v33, v33
	s_waitcnt lgkmcnt(2)
	v_cvt_f32_f16_e32 v34, v34
	v_add_f32_e32 v225, v113, v15
	v_add_f32_e32 v15, v114, v25
	v_dual_add_f32 v227, v115, v32 :: v_dual_add_f32 v228, v116, v33
	v_lshlrev_b64 v[32:33], 2, v[251:252]
	v_add_f32_e32 v47, v117, v34
	s_waitcnt lgkmcnt(1)
	v_cvt_f32_f16_e32 v35, v35
	s_waitcnt lgkmcnt(0)
	v_cvt_f32_f16_e32 v36, v36
	v_add_f32_e32 v14, v112, v14
	v_add_co_u32 v25, vcc_lo, s0, v32
	v_add_co_ci_u32_e32 v34, vcc_lo, s1, v33, vcc_lo
	v_lshlrev_b64 v[32:33], 2, v[173:174]
	v_dual_add_f32 v13, v118, v35 :: v_dual_add_f32 v12, v119, v36
	s_clause 0x2
	scratch_store_b32 off, v47, off offset:8
	scratch_store_b32 off, v13, off offset:4
	scratch_store_b32 off, v12, off
	v_add_co_u32 v35, vcc_lo, s0, v32
	v_add_co_ci_u32_e32 v37, vcc_lo, s1, v33, vcc_lo
	v_add_co_u32 v32, vcc_lo, v25, v4
	v_add_co_ci_u32_e32 v33, vcc_lo, 0, v34, vcc_lo
	s_delay_alu instid0(VALU_DEP_4) | instskip(NEXT) | instid1(VALU_DEP_4)
	v_add_co_u32 v36, vcc_lo, v35, v5
	v_add_co_ci_u32_e32 v37, vcc_lo, 0, v37, vcc_lo
	s_clause 0x1
	global_load_b128 v[32:35], v[32:33], off offset:192
	global_load_b128 v[36:39], v[36:37], off offset:128
	s_waitcnt vmcnt(1)
	ds_store_b128 v0, v[32:35]
	v_lshlrev_b64 v[32:33], 2, v[179:180]
	s_delay_alu instid0(VALU_DEP_1) | instskip(NEXT) | instid1(VALU_DEP_2)
	v_add_co_u32 v25, vcc_lo, s0, v32
	v_add_co_ci_u32_e32 v34, vcc_lo, s1, v33, vcc_lo
	v_lshlrev_b64 v[32:33], 2, v[169:170]
	s_delay_alu instid0(VALU_DEP_1) | instskip(NEXT) | instid1(VALU_DEP_2)
	v_add_co_u32 v35, vcc_lo, s0, v32
	v_add_co_ci_u32_e32 v41, vcc_lo, s1, v33, vcc_lo
	v_add_co_u32 v32, vcc_lo, v25, v5
	v_add_co_ci_u32_e32 v33, vcc_lo, 0, v34, vcc_lo
	s_delay_alu instid0(VALU_DEP_4) | instskip(NEXT) | instid1(VALU_DEP_4)
	v_add_co_u32 v40, vcc_lo, v35, v9
	v_add_co_ci_u32_e32 v41, vcc_lo, 0, v41, vcc_lo
	s_clause 0x1
	global_load_b128 v[32:35], v[32:33], off offset:128
	global_load_b128 v[40:43], v[40:41], off
	s_waitcnt vmcnt(2)
	ds_store_b128 v1, v[36:39]
	s_waitcnt vmcnt(1)
	ds_store_b128 v2, v[32:35]
	v_lshlrev_b64 v[32:33], 2, v[171:172]
	s_delay_alu instid0(VALU_DEP_1) | instskip(NEXT) | instid1(VALU_DEP_2)
	v_add_co_u32 v25, vcc_lo, s0, v32
	v_add_co_ci_u32_e32 v34, vcc_lo, s1, v33, vcc_lo
	v_lshlrev_b64 v[32:33], 2, v[175:176]
	s_delay_alu instid0(VALU_DEP_1) | instskip(NEXT) | instid1(VALU_DEP_2)
	v_add_co_u32 v35, vcc_lo, s0, v32
	v_add_co_ci_u32_e32 v37, vcc_lo, s1, v33, vcc_lo
	v_add_co_u32 v32, vcc_lo, v25, v9
	v_add_co_ci_u32_e32 v33, vcc_lo, 0, v34, vcc_lo
	s_delay_alu instid0(VALU_DEP_4) | instskip(NEXT) | instid1(VALU_DEP_4)
	v_add_co_u32 v36, vcc_lo, v35, v9
	v_add_co_ci_u32_e32 v37, vcc_lo, 0, v37, vcc_lo
	s_clause 0x1
	global_load_b128 v[32:35], v[32:33], off
	global_load_b128 v[36:39], v[36:37], off
	s_waitcnt vmcnt(2)
	ds_store_b128 v3, v[40:43]
	s_waitcnt vmcnt(1)
	ds_store_b128 v6, v[32:35]
	v_lshlrev_b64 v[32:33], 2, v[177:178]
	v_mov_b32_e32 v43, v181
	s_delay_alu instid0(VALU_DEP_2) | instskip(NEXT) | instid1(VALU_DEP_3)
	v_add_co_u32 v25, vcc_lo, s0, v32
	v_add_co_ci_u32_e32 v33, vcc_lo, s1, v33, vcc_lo
	v_cmp_eq_u32_e64 s1, 1, v161
	s_delay_alu instid0(VALU_DEP_3) | instskip(NEXT) | instid1(VALU_DEP_3)
	v_add_co_u32 v32, vcc_lo, v25, v9
	v_add_co_ci_u32_e32 v33, vcc_lo, 0, v33, vcc_lo
	v_mov_b32_e32 v25, v232
	global_load_b128 v[32:35], v[32:33], off
	s_waitcnt vmcnt(1)
	ds_store_b128 v7, v[36:39]
	s_waitcnt vmcnt(0)
	ds_store_b128 v44, v[32:35]
	s_waitcnt lgkmcnt(0)
	s_waitcnt_vscnt null, 0x0
	s_barrier
	buffer_gl0_inv
	ds_load_u16 v121, v240 offset:480
	ds_load_u16 v126, v240 offset:2880
	;; [unrolled: 1-line block ×7, first 2 shown]
	scratch_load_b32 v0, off, off offset:400 ; 4-byte Folded Reload
	s_waitcnt vmcnt(0)
	ds_load_u16 v131, v0 offset:1440
	ds_load_u16 v132, v0 offset:1920
	ds_load_u16 v134, v0 offset:2880
	ds_load_u16 v135, v0 offset:3360
	scratch_load_b32 v40, off, off offset:432 ; 4-byte Folded Reload
	s_waitcnt vmcnt(0)
	ds_load_u16 v137, v40 offset:480
	ds_load_u16 v133, v0 offset:2400
	ds_load_u16 v130, v0 offset:960
	ds_load_u16 v129, v0 offset:480
	;; [unrolled: 6-line block ×3, first 2 shown]
	ds_load_u16 v196, v0 offset:3360
	ds_load_u16 v191, v0 offset:960
	;; [unrolled: 1-line block ×3, first 2 shown]
	scratch_load_b32 v0, off, off offset:512 ; 4-byte Folded Reload
	v_dual_add_f32 v32, 0x40051340, v10 :: v_dual_add_f32 v33, 0x40051340, v11
	v_add_f32_e32 v34, 0x40051340, v18
	s_waitcnt vmcnt(0)
	ds_load_u16 v183, v0 offset:960
	ds_load_u16 v184, v0 offset:1440
	ds_load_u16 v185, v0 offset:1920
	ds_load_u16 v186, v0 offset:2400
	ds_load_u16 v187, v0 offset:2880
	ds_load_u16 v188, v0 offset:3360
	v_max3_f32 v32, v25, v32, v33
	v_add_f32_e32 v33, 0x40051340, v16
	scratch_load_b32 v41, off, off offset:520 ; 4-byte Folded Reload
	ds_load_u16 v182, v0 offset:480
	v_max3_f32 v32, v32, v33, v34
	v_dual_add_f32 v33, 0x40051340, v20 :: v_dual_add_f32 v34, 0x40051340, v22
	s_delay_alu instid0(VALU_DEP_1) | instskip(SKIP_1) | instid1(VALU_DEP_1)
	v_max3_f32 v32, v32, v33, v34
	v_dual_add_f32 v33, 0x40051340, v23 :: v_dual_add_f32 v34, 0x40051340, v24
	v_max3_f32 v32, v32, v33, v34
	v_dual_add_f32 v33, 0x40051340, v138 :: v_dual_add_f32 v34, 0x40051340, v139
	s_delay_alu instid0(VALU_DEP_1) | instskip(SKIP_1) | instid1(VALU_DEP_1)
	v_max3_f32 v32, v32, v33, v34
	v_dual_add_f32 v33, 0x40051340, v31 :: v_dual_add_f32 v34, 0x40051340, v30
	;; [unrolled: 5-line block ×4, first 2 shown]
	v_max3_f32 v32, v32, v33, v34
	v_dual_add_f32 v33, 0x40051340, v55 :: v_dual_add_f32 v34, 0x40051340, v226
	s_delay_alu instid0(VALU_DEP_1) | instskip(SKIP_2) | instid1(VALU_DEP_1)
	v_max3_f32 v32, v32, v33, v34
	v_add_f32_e32 v33, 0x40051340, v52
	v_add_f32_e32 v34, 0x40051340, v224
	v_max3_f32 v32, v32, v33, v34
	v_dual_add_f32 v33, 0x40051340, v14 :: v_dual_add_f32 v34, 0x40051340, v225
	s_delay_alu instid0(VALU_DEP_1) | instskip(SKIP_2) | instid1(VALU_DEP_1)
	v_max3_f32 v32, v32, v33, v34
	v_add_f32_e32 v33, 0x40051340, v15
	v_add_f32_e32 v34, 0x40051340, v227
	v_max3_f32 v32, v32, v33, v34
	v_dual_add_f32 v33, 0x40051340, v228 :: v_dual_add_f32 v34, 0x40051340, v47
	v_mov_b32_e32 v47, v169
	s_delay_alu instid0(VALU_DEP_2) | instskip(SKIP_3) | instid1(VALU_DEP_1)
	v_max3_f32 v32, v32, v33, v34
	v_add_f32_e32 v34, 0x40051340, v12
	scratch_load_b32 v12, off, off offset:544 ; 4-byte Folded Reload
	v_add_f32_e32 v33, 0x40051340, v13
	v_max3_f32 v32, v32, v33, v34
	ds_bpermute_b32 v33, v239, v32
	s_waitcnt lgkmcnt(0)
	v_max_f32_e32 v33, v33, v33
	s_delay_alu instid0(VALU_DEP_1) | instskip(NEXT) | instid1(VALU_DEP_1)
	v_max_f32_e32 v232, v32, v33
	v_sub_f32_e32 v11, v11, v232
	s_delay_alu instid0(VALU_DEP_1) | instskip(SKIP_1) | instid1(VALU_DEP_2)
	v_mul_f32_e32 v32, 0x3fb8aa3b, v11
	v_cmp_ngt_f32_e32 vcc_lo, 0xc2ce8ed0, v11
	v_fma_f32 v33, 0x3fb8aa3b, v11, -v32
	v_rndne_f32_e32 v34, v32
	s_delay_alu instid0(VALU_DEP_1)
	v_dual_fmac_f32 v33, 0x32a5705f, v11 :: v_dual_sub_f32 v32, v32, v34
	v_sub_f32_e32 v18, v18, v232
	v_sub_f32_e32 v10, v10, v232
	v_cvt_i32_f32_e32 v34, v34
	v_sub_f32_e32 v22, v22, v232
	v_dual_add_f32 v32, v32, v33 :: v_dual_sub_f32 v23, v23, v232
	s_delay_alu instid0(VALU_DEP_4)
	v_mul_f32_e32 v33, 0x3fb8aa3b, v10
	v_cmp_ngt_f32_e64 s0, 0xc2ce8ed0, v10
	v_sub_f32_e32 v16, v16, v232
	v_sub_f32_e32 v25, v25, v232
	;; [unrolled: 1-line block ×3, first 2 shown]
	v_fma_f32 v35, 0x3fb8aa3b, v10, -v33
	v_rndne_f32_e32 v36, v33
	v_cmp_ngt_f32_e64 s3, 0xc2ce8ed0, v16
	v_sub_f32_e32 v24, v24, v232
	v_sub_f32_e32 v19, v19, v232
	v_fmac_f32_e32 v35, 0x32a5705f, v10
	v_sub_f32_e32 v33, v33, v36
	v_exp_f32_e32 v32, v32
	v_sub_f32_e32 v28, v28, v232
	v_sub_f32_e32 v31, v31, v232
	s_delay_alu instid0(VALU_DEP_3)
	v_dual_sub_f32 v30, v30, v232 :: v_dual_add_f32 v33, v33, v35
	v_sub_f32_e32 v27, v27, v232
	v_sub_f32_e32 v26, v26, v232
	v_sub_f32_e32 v29, v29, v232
	v_sub_f32_e32 v21, v21, v232
	v_exp_f32_e32 v33, v33
	s_delay_alu instid0(TRANS32_DEP_2)
	v_ldexp_f32 v32, v32, v34
	v_cvt_i32_f32_e32 v34, v36
	v_mov_b32_e32 v244, v45
	v_sub_f32_e32 v17, v17, v232
	v_sub_f32_e32 v15, v15, v232
	v_cndmask_b32_e32 v32, 0, v32, vcc_lo
	v_cmp_nlt_f32_e32 vcc_lo, 0x42b17218, v11
	s_delay_alu instid0(TRANS32_DEP_1) | instskip(NEXT) | instid1(VALU_DEP_1)
	v_ldexp_f32 v33, v33, v34
	v_cndmask_b32_e64 v11, 0, v33, s0
	v_cmp_nlt_f32_e64 s0, 0x42b17218, v10
	s_delay_alu instid0(VALU_DEP_1)
	v_cndmask_b32_e64 v10, 0x7f800000, v11, s0
	v_cndmask_b32_e32 v11, 0x7f800000, v32, vcc_lo
	v_cmp_eq_u32_e64 s0, 0, v181
	v_cmp_eq_u32_e32 vcc_lo, 1, v181
	ds_bpermute_b32 v32, v239, v10
	ds_bpermute_b32 v34, v239, v11
	s_waitcnt lgkmcnt(1)
	v_cndmask_b32_e32 v33, v10, v32, vcc_lo
	v_cndmask_b32_e64 v32, v10, v32, s0
	s_delay_alu instid0(VALU_DEP_2) | instskip(NEXT) | instid1(VALU_DEP_2)
	v_cndmask_b32_e64 v36, v33, v11, s1
	v_cndmask_b32_e64 v35, v32, v11, s2
	v_cvt_f16_f32_e32 v32, v32
	s_waitcnt lgkmcnt(0)
	s_delay_alu instid0(VALU_DEP_2) | instskip(SKIP_2) | instid1(VALU_DEP_3)
	v_cndmask_b32_e64 v35, v35, v34, s0
	v_cndmask_b32_e32 v34, v36, v34, vcc_lo
	v_cvt_f16_f32_e32 v33, v33
	v_cvt_f16_f32_e32 v36, v35
	s_delay_alu instid0(VALU_DEP_3) | instskip(NEXT) | instid1(VALU_DEP_3)
	v_cvt_f16_f32_e32 v37, v34
	v_pack_b32_f16 v112, v32, v33
	v_mul_f32_e32 v32, 0x3fb8aa3b, v16
	s_delay_alu instid0(VALU_DEP_3) | instskip(NEXT) | instid1(VALU_DEP_2)
	v_pack_b32_f16 v113, v36, v37
	v_fma_f32 v33, 0x3fb8aa3b, v16, -v32
	v_rndne_f32_e32 v36, v32
	s_delay_alu instid0(VALU_DEP_2) | instskip(NEXT) | instid1(VALU_DEP_2)
	v_fmac_f32_e32 v33, 0x32a5705f, v16
	v_sub_f32_e32 v32, v32, v36
	s_delay_alu instid0(VALU_DEP_1) | instskip(SKIP_2) | instid1(VALU_DEP_3)
	v_add_f32_e32 v32, v32, v33
	v_cvt_i32_f32_e32 v33, v36
	v_dual_add_f32 v10, v10, v11 :: v_dual_mov_b32 v11, v253
	v_exp_f32_e32 v32, v32
	s_waitcnt_depctr 0xfff
	v_ldexp_f32 v32, v32, v33
	s_delay_alu instid0(VALU_DEP_1) | instskip(SKIP_1) | instid1(VALU_DEP_1)
	v_cndmask_b32_e64 v32, 0, v32, s3
	v_cmp_nlt_f32_e64 s3, 0x42b17218, v16
	v_cndmask_b32_e64 v16, 0x7f800000, v32, s3
	v_cmp_ngt_f32_e64 s3, 0xc2ce8ed0, v18
	s_delay_alu instid0(VALU_DEP_2) | instskip(SKIP_4) | instid1(VALU_DEP_2)
	v_cndmask_b32_e64 v32, v34, v16, s1
	ds_bpermute_b32 v34, v239, v16
	v_cndmask_b32_e64 v33, v35, v16, s2
	v_add_f32_e32 v10, v16, v10
	s_waitcnt lgkmcnt(0)
	v_cndmask_b32_e64 v33, v33, v34, s0
	v_cndmask_b32_e32 v32, v32, v34, vcc_lo
	s_delay_alu instid0(VALU_DEP_2) | instskip(NEXT) | instid1(VALU_DEP_2)
	v_cvt_f16_f32_e32 v34, v33
	v_cvt_f16_f32_e32 v35, v32
	s_waitcnt vmcnt(1)
	ds_load_u16 v144, v41 offset:480
	v_pack_b32_f16 v114, v34, v35
	v_mul_f32_e32 v34, 0x3fb8aa3b, v18
	s_delay_alu instid0(VALU_DEP_1) | instskip(SKIP_1) | instid1(VALU_DEP_1)
	v_fma_f32 v35, 0x3fb8aa3b, v18, -v34
	v_rndne_f32_e32 v36, v34
	v_dual_fmac_f32 v35, 0x32a5705f, v18 :: v_dual_sub_f32 v34, v34, v36
	s_delay_alu instid0(VALU_DEP_1) | instskip(SKIP_1) | instid1(VALU_DEP_2)
	v_add_f32_e32 v34, v34, v35
	v_cvt_i32_f32_e32 v35, v36
	v_exp_f32_e32 v34, v34
	s_waitcnt_depctr 0xfff
	v_ldexp_f32 v34, v34, v35
	s_delay_alu instid0(VALU_DEP_1) | instskip(SKIP_1) | instid1(VALU_DEP_1)
	v_cndmask_b32_e64 v34, 0, v34, s3
	v_cmp_nlt_f32_e64 s3, 0x42b17218, v18
	v_cndmask_b32_e64 v18, 0x7f800000, v34, s3
	v_cmp_ngt_f32_e64 s3, 0xc2ce8ed0, v20
	ds_bpermute_b32 v34, v239, v18
	v_cndmask_b32_e64 v32, v32, v18, s1
	v_cndmask_b32_e64 v33, v33, v18, s2
	v_add_f32_e32 v10, v18, v10
	s_waitcnt lgkmcnt(0)
	s_delay_alu instid0(VALU_DEP_2) | instskip(SKIP_1) | instid1(VALU_DEP_2)
	v_cndmask_b32_e64 v33, v33, v34, s0
	v_cndmask_b32_e32 v32, v32, v34, vcc_lo
	v_cvt_f16_f32_e32 v34, v33
	s_delay_alu instid0(VALU_DEP_2) | instskip(NEXT) | instid1(VALU_DEP_1)
	v_cvt_f16_f32_e32 v35, v32
	v_pack_b32_f16 v115, v34, v35
	v_mul_f32_e32 v34, 0x3fb8aa3b, v20
	s_waitcnt vmcnt(0)
	ds_load_u16 v200, v12 offset:1440
	v_dual_mov_b32 v0, v201 :: v_dual_mov_b32 v1, v202
	v_fma_f32 v35, 0x3fb8aa3b, v20, -v34
	v_rndne_f32_e32 v36, v34
	v_mov_b32_e32 v3, v204
	v_dual_mov_b32 v7, v208 :: v_dual_mov_b32 v2, v203
	s_delay_alu instid0(VALU_DEP_4) | instskip(NEXT) | instid1(VALU_DEP_4)
	v_fmac_f32_e32 v35, 0x32a5705f, v20
	v_sub_f32_e32 v34, v34, v36
	v_dual_mov_b32 v4, v205 :: v_dual_mov_b32 v5, v206
	v_mov_b32_e32 v6, v207
	ds_load_u16 v201, v12 offset:1920
	ds_load_u16 v202, v12 offset:2400
	;; [unrolled: 1-line block ×6, first 2 shown]
	ds_load_u16 v120, v240
	ds_load_u16 v128, v240 offset:32
	ds_load_u16 v189, v240 offset:64
	;; [unrolled: 1-line block ×20, first 2 shown]
	v_add_f32_e32 v34, v34, v35
	v_cvt_i32_f32_e32 v35, v36
	scratch_load_b32 v49, off, off offset:488 ; 4-byte Folded Reload
	v_dual_mov_b32 v12, v175 :: v_dual_mov_b32 v13, v176
	v_exp_f32_e32 v34, v34
	s_waitcnt_depctr 0xfff
	v_ldexp_f32 v34, v34, v35
	s_delay_alu instid0(VALU_DEP_1) | instskip(SKIP_1) | instid1(VALU_DEP_1)
	v_cndmask_b32_e64 v34, 0, v34, s3
	v_cmp_nlt_f32_e64 s3, 0x42b17218, v20
	v_cndmask_b32_e64 v20, 0x7f800000, v34, s3
	v_cmp_ngt_f32_e64 s3, 0xc2ce8ed0, v22
	ds_bpermute_b32 v34, v239, v20
	v_cndmask_b32_e64 v32, v32, v20, s1
	v_cndmask_b32_e64 v33, v33, v20, s2
	v_add_f32_e32 v10, v20, v10
	s_waitcnt lgkmcnt(0)
	s_delay_alu instid0(VALU_DEP_3) | instskip(NEXT) | instid1(VALU_DEP_3)
	v_cndmask_b32_e32 v32, v32, v34, vcc_lo
	v_cndmask_b32_e64 v33, v33, v34, s0
	s_delay_alu instid0(VALU_DEP_2) | instskip(NEXT) | instid1(VALU_DEP_2)
	v_cvt_f16_f32_e32 v35, v32
	v_cvt_f16_f32_e32 v34, v33
	s_delay_alu instid0(VALU_DEP_1) | instskip(SKIP_1) | instid1(VALU_DEP_1)
	v_pack_b32_f16 v116, v34, v35
	v_mul_f32_e32 v34, 0x3fb8aa3b, v22
	v_fma_f32 v35, 0x3fb8aa3b, v22, -v34
	v_rndne_f32_e32 v36, v34
	s_delay_alu instid0(VALU_DEP_1) | instskip(NEXT) | instid1(VALU_DEP_1)
	v_dual_fmac_f32 v35, 0x32a5705f, v22 :: v_dual_sub_f32 v34, v34, v36
	v_add_f32_e32 v34, v34, v35
	v_cvt_i32_f32_e32 v35, v36
	s_delay_alu instid0(VALU_DEP_2) | instskip(SKIP_2) | instid1(VALU_DEP_1)
	v_exp_f32_e32 v34, v34
	s_waitcnt_depctr 0xfff
	v_ldexp_f32 v34, v34, v35
	v_cndmask_b32_e64 v34, 0, v34, s3
	v_cmp_nlt_f32_e64 s3, 0x42b17218, v22
	s_delay_alu instid0(VALU_DEP_1)
	v_cndmask_b32_e64 v22, 0x7f800000, v34, s3
	ds_bpermute_b32 v34, v239, v22
	v_cndmask_b32_e64 v32, v32, v22, s1
	v_cndmask_b32_e64 v33, v33, v22, s2
	v_add_f32_e32 v10, v22, v10
	s_waitcnt lgkmcnt(0)
	s_delay_alu instid0(VALU_DEP_2) | instskip(SKIP_1) | instid1(VALU_DEP_2)
	v_cndmask_b32_e64 v33, v33, v34, s0
	v_cndmask_b32_e32 v32, v32, v34, vcc_lo
	v_cvt_f16_f32_e32 v34, v33
	s_delay_alu instid0(VALU_DEP_2) | instskip(NEXT) | instid1(VALU_DEP_1)
	v_cvt_f16_f32_e32 v35, v32
	v_pack_b32_f16 v117, v34, v35
	v_mul_f32_e32 v34, 0x3fb8aa3b, v23
	s_delay_alu instid0(VALU_DEP_1) | instskip(SKIP_1) | instid1(VALU_DEP_1)
	v_fma_f32 v35, 0x3fb8aa3b, v23, -v34
	v_rndne_f32_e32 v36, v34
	v_dual_fmac_f32 v35, 0x32a5705f, v23 :: v_dual_sub_f32 v34, v34, v36
	s_delay_alu instid0(VALU_DEP_1) | instskip(SKIP_2) | instid1(VALU_DEP_3)
	v_add_f32_e32 v34, v34, v35
	v_cvt_i32_f32_e32 v35, v36
	v_cmp_ngt_f32_e64 s3, 0xc2ce8ed0, v23
	v_exp_f32_e32 v34, v34
	s_waitcnt_depctr 0xfff
	v_ldexp_f32 v34, v34, v35
	s_delay_alu instid0(VALU_DEP_1) | instskip(SKIP_1) | instid1(VALU_DEP_1)
	v_cndmask_b32_e64 v34, 0, v34, s3
	v_cmp_nlt_f32_e64 s3, 0x42b17218, v23
	v_cndmask_b32_e64 v23, 0x7f800000, v34, s3
	v_cmp_ngt_f32_e64 s3, 0xc2ce8ed0, v24
	ds_bpermute_b32 v34, v239, v23
	v_cndmask_b32_e64 v32, v32, v23, s1
	v_cndmask_b32_e64 v33, v33, v23, s2
	v_add_f32_e32 v10, v23, v10
	s_waitcnt lgkmcnt(0)
	s_delay_alu instid0(VALU_DEP_2) | instskip(SKIP_1) | instid1(VALU_DEP_2)
	v_cndmask_b32_e64 v33, v33, v34, s0
	v_cndmask_b32_e32 v32, v32, v34, vcc_lo
	v_cvt_f16_f32_e32 v34, v33
	s_delay_alu instid0(VALU_DEP_2) | instskip(NEXT) | instid1(VALU_DEP_1)
	v_cvt_f16_f32_e32 v35, v32
	v_pack_b32_f16 v118, v34, v35
	v_mul_f32_e32 v34, 0x3fb8aa3b, v24
	s_delay_alu instid0(VALU_DEP_1) | instskip(SKIP_1) | instid1(VALU_DEP_2)
	v_fma_f32 v35, 0x3fb8aa3b, v24, -v34
	v_rndne_f32_e32 v36, v34
	v_fmac_f32_e32 v35, 0x32a5705f, v24
	s_delay_alu instid0(VALU_DEP_2) | instskip(NEXT) | instid1(VALU_DEP_1)
	v_sub_f32_e32 v34, v34, v36
	v_add_f32_e32 v34, v34, v35
	v_cvt_i32_f32_e32 v35, v36
	s_delay_alu instid0(VALU_DEP_2) | instskip(SKIP_2) | instid1(VALU_DEP_1)
	v_exp_f32_e32 v34, v34
	s_waitcnt_depctr 0xfff
	v_ldexp_f32 v34, v34, v35
	v_cndmask_b32_e64 v34, 0, v34, s3
	v_cmp_nlt_f32_e64 s3, 0x42b17218, v24
	s_delay_alu instid0(VALU_DEP_1)
	v_cndmask_b32_e64 v24, 0x7f800000, v34, s3
	ds_bpermute_b32 v34, v239, v24
	v_cndmask_b32_e64 v33, v33, v24, s2
	v_cndmask_b32_e64 v32, v32, v24, s1
	v_add_f32_e32 v10, v24, v10
	s_waitcnt lgkmcnt(0)
	s_delay_alu instid0(VALU_DEP_3) | instskip(NEXT) | instid1(VALU_DEP_3)
	v_cndmask_b32_e64 v33, v33, v34, s0
	v_cndmask_b32_e32 v32, v32, v34, vcc_lo
	s_delay_alu instid0(VALU_DEP_2) | instskip(NEXT) | instid1(VALU_DEP_2)
	v_cvt_f16_f32_e32 v33, v33
	v_cvt_f16_f32_e32 v32, v32
	s_delay_alu instid0(VALU_DEP_1) | instskip(SKIP_1) | instid1(VALU_DEP_1)
	v_pack_b32_f16 v119, v33, v32
	v_mul_f32_e32 v32, 0x3fb8aa3b, v25
	v_fma_f32 v33, 0x3fb8aa3b, v25, -v32
	v_rndne_f32_e32 v34, v32
	s_delay_alu instid0(VALU_DEP_1) | instskip(SKIP_1) | instid1(VALU_DEP_2)
	v_dual_sub_f32 v32, v32, v34 :: v_dual_fmac_f32 v33, 0x32a5705f, v25
	v_cmp_ngt_f32_e64 s3, 0xc2ce8ed0, v25
	v_add_f32_e32 v32, v32, v33
	v_cvt_i32_f32_e32 v33, v34
	s_delay_alu instid0(VALU_DEP_2) | instskip(SKIP_3) | instid1(VALU_DEP_2)
	v_exp_f32_e32 v32, v32
	s_waitcnt_depctr 0xfff
	v_ldexp_f32 v32, v32, v33
	v_sub_f32_e32 v33, v139, v232
	v_cndmask_b32_e64 v32, 0, v32, s3
	v_cmp_nlt_f32_e64 s3, 0x42b17218, v25
	s_delay_alu instid0(VALU_DEP_3) | instskip(NEXT) | instid1(VALU_DEP_2)
	v_mul_f32_e32 v34, 0x3fb8aa3b, v33
	v_cndmask_b32_e64 v32, 0x7f800000, v32, s3
	v_cmp_le_f32_e64 s3, 0xc1a00000, v25
	s_delay_alu instid0(VALU_DEP_3) | instskip(SKIP_1) | instid1(VALU_DEP_3)
	v_fma_f32 v35, 0x3fb8aa3b, v33, -v34
	v_rndne_f32_e32 v36, v34
	v_cndmask_b32_e64 v25, 0, v32, s3
	v_mov_b32_e32 v48, v170
	s_waitcnt vmcnt(0)
	ds_load_u16 v170, v49 offset:1440
	v_mov_b32_e32 v222, v171
	ds_load_u16 v171, v49 offset:1920
	ds_load_u16 v168, v49 offset:480
	v_mul_f32_e32 v77, v77, v25
	scratch_load_b32 v51, off, off offset:552 ; 4-byte Folded Reload
	s_waitcnt vmcnt(0)
	ds_load_u16 v162, v51 offset:1440
	ds_load_u16 v163, v51 offset:1920
	;; [unrolled: 1-line block ×4, first 2 shown]
	v_dual_mul_f32 v67, v67, v25 :: v_dual_sub_f32 v34, v34, v36
	v_fmac_f32_e32 v35, 0x32a5705f, v33
	v_mul_f32_e32 v69, v69, v25
	ds_load_u16 v176, v237 offset:480
	v_dual_mov_b32 v230, v177 :: v_dual_mul_f32 v75, v75, v25
	v_add_f32_e32 v34, v34, v35
	v_dual_sub_f32 v35, v138, v232 :: v_dual_mul_f32 v104, v104, v25
	ds_load_u16 v177, v237 offset:960
	ds_load_u16 v180, v237 offset:2400
	;; [unrolled: 1-line block ×3, first 2 shown]
	ds_load_u16_d16_hi v120, v240 offset:240
	ds_load_u16_d16_hi v121, v240 offset:720
	ds_load_u16_d16_hi v134, v240 offset:3152
	ds_load_u16_d16_hi v218, v240 offset:2832
	ds_load_u16_d16_hi v126, v240 offset:3120
	ds_load_u16_d16_hi v135, v240 offset:3632
	ds_load_u16_d16_hi v219, v240 offset:3312
	ds_load_u16_d16_hi v127, v240 offset:3600
	ds_load_u16_d16_hi v130, v240 offset:1232
	ds_load_u16_d16_hi v131, v240 offset:1712
	ds_load_u16_d16_hi v132, v240 offset:2192
	ds_load_u16_d16_hi v133, v240 offset:2672
	ds_load_u16 v221, v235 offset:3360
	ds_load_u16_d16_hi v214, v240 offset:912
	ds_load_u16_d16_hi v122, v240 offset:1200
	;; [unrolled: 1-line block ×34, first 2 shown]
	ds_load_u16 v136, v240 offset:3872
	ds_load_u16_d16_hi v196, v240 offset:3664
	ds_load_u16_d16_hi v188, v240 offset:3696
	;; [unrolled: 1-line block ×4, first 2 shown]
	s_waitcnt lgkmcnt(56)
	ds_load_u16_d16_hi v220, v240 offset:3792
	ds_load_u16 v32, v240 offset:3840
	v_mul_f32_e32 v37, 0x3fb8aa3b, v35
	ds_load_u16_d16_hi v129, v240 offset:752
	v_exp_f32_e32 v34, v34
	v_cvt_i32_f32_e32 v36, v36
	v_cmp_ngt_f32_e64 s3, 0xc2ce8ed0, v33
	v_fma_f32 v38, 0x3fb8aa3b, v35, -v37
	v_rndne_f32_e32 v39, v37
	v_mul_f32_e32 v106, v106, v25
	v_mul_f32_e32 v71, v71, v25
	;; [unrolled: 1-line block ×3, first 2 shown]
	v_fmac_f32_e32 v38, 0x32a5705f, v35
	v_dual_sub_f32 v37, v37, v39 :: v_dual_mul_f32 v108, v108, v25
	v_ldexp_f32 v34, v34, v36
	v_mul_f32_e32 v97, v97, v25
	s_delay_alu instid0(VALU_DEP_3)
	v_dual_mul_f32 v98, v98, v25 :: v_dual_add_f32 v37, v37, v38
	v_mul_f32_e32 v99, v99, v25
	v_mul_f32_e32 v100, v100, v25
	;; [unrolled: 1-line block ×4, first 2 shown]
	v_exp_f32_e32 v37, v37
	v_mul_f32_e32 v103, v103, v25
	v_mul_f32_e32 v61, v61, v25
	v_cvt_i32_f32_e32 v36, v39
	v_cndmask_b32_e64 v34, 0, v34, s3
	v_cmp_nlt_f32_e64 s3, 0x42b17218, v33
	s_waitcnt lgkmcnt(0)
	v_wmma_f32_16x16x16_f16 v[96:103], v[128:135], v[112:119], v[96:103]
	v_cmp_ngt_f32_e64 s4, 0xc2ce8ed0, v35
	v_mul_f32_e32 v105, v105, v25
	v_mul_f32_e32 v107, v107, v25
	v_ldexp_f32 v36, v37, v36
	v_cndmask_b32_e64 v129, 0x7f800000, v34, s3
	v_mul_f32_e32 v109, v109, v25
	v_mul_f32_e32 v111, v111, v25
	;; [unrolled: 1-line block ×3, first 2 shown]
	v_cndmask_b32_e64 v33, 0, v36, s4
	v_cmp_nlt_f32_e64 s4, 0x42b17218, v35
	ds_bpermute_b32 v35, v239, v129
	v_mul_f32_e32 v110, v110, v25
	v_mul_f32_e32 v89, v89, v25
	;; [unrolled: 1-line block ×5, first 2 shown]
	v_wmma_f32_16x16x16_f16 v[104:111], v[120:127], v[112:119], v[104:111]
	scratch_load_b32 v121, off, off offset:472 ; 4-byte Folded Reload
	s_waitcnt vmcnt(0)
	ds_load_u16 v229, v121 offset:3360
	ds_load_u16_d16_hi v190, v240 offset:784
	ds_load_u16_d16_hi v182, v240 offset:816
	ds_load_u16 v120, v238 offset:3360
	ds_load_u16_d16_hi v198, v240 offset:848
	ds_load_u16_d16_hi v206, v240 offset:880
	v_mul_f32_e32 v93, v93, v25
	v_mul_f32_e32 v94, v94, v25
	;; [unrolled: 1-line block ×29, first 2 shown]
	s_waitcnt lgkmcnt(4)
	v_wmma_f32_16x16x16_f16 v[88:95], v[189:196], v[112:119], v[88:95]
	s_waitcnt lgkmcnt(3)
	v_wmma_f32_16x16x16_f16 v[80:87], v[181:188], v[112:119], v[80:87]
	;; [unrolled: 2-line block ×4, first 2 shown]
	v_wmma_f32_16x16x16_f16 v[56:63], v[213:220], v[112:119], v[56:63]
	v_cndmask_b32_e64 v112, 0x7f800000, v33, s4
	v_cmp_ngt_f32_e64 s3, 0xc2ce8ed0, v31
	ds_load_u16 v169, v49 offset:960
	v_mov_b32_e32 v214, v161
	ds_load_u16 v161, v51 offset:960
	ds_load_u16 v179, v237 offset:1920
	;; [unrolled: 1-line block ×4, first 2 shown]
	ds_bpermute_b32 v33, v239, v112
	scratch_load_b32 v39, off, off offset:304 ; 4-byte Folded Reload
	v_cmp_ngt_f32_e64 s4, 0xc2ce8ed0, v19
	v_add_f32_e32 v10, v112, v10
	s_delay_alu instid0(VALU_DEP_1) | instskip(SKIP_3) | instid1(VALU_DEP_2)
	v_add_f32_e32 v10, v129, v10
	s_waitcnt lgkmcnt(0)
	v_cndmask_b32_e32 v34, v112, v33, vcc_lo
	v_cndmask_b32_e64 v33, v112, v33, s0
	v_cndmask_b32_e64 v37, v34, v129, s1
	s_delay_alu instid0(VALU_DEP_2) | instskip(SKIP_2) | instid1(VALU_DEP_3)
	v_cndmask_b32_e64 v36, v33, v129, s2
	v_cvt_f16_f32_e32 v33, v33
	v_cvt_f16_f32_e32 v34, v34
	v_cndmask_b32_e64 v36, v36, v35, s0
	v_cndmask_b32_e32 v35, v37, v35, vcc_lo
	s_delay_alu instid0(VALU_DEP_3) | instskip(SKIP_1) | instid1(VALU_DEP_4)
	v_pack_b32_f16 v183, v33, v34
	v_mul_f32_e32 v33, 0x3fb8aa3b, v31
	v_cvt_f16_f32_e32 v37, v36
	s_delay_alu instid0(VALU_DEP_4) | instskip(NEXT) | instid1(VALU_DEP_3)
	v_cvt_f16_f32_e32 v38, v35
	v_fma_f32 v34, 0x3fb8aa3b, v31, -v33
	s_delay_alu instid0(VALU_DEP_2) | instskip(SKIP_1) | instid1(VALU_DEP_1)
	v_pack_b32_f16 v184, v37, v38
	v_rndne_f32_e32 v37, v33
	v_dual_fmac_f32 v34, 0x32a5705f, v31 :: v_dual_sub_f32 v33, v33, v37
	s_delay_alu instid0(VALU_DEP_1) | instskip(SKIP_1) | instid1(VALU_DEP_2)
	v_add_f32_e32 v33, v33, v34
	v_cvt_i32_f32_e32 v34, v37
	v_exp_f32_e32 v33, v33
	s_waitcnt_depctr 0xfff
	v_ldexp_f32 v33, v33, v34
	s_delay_alu instid0(VALU_DEP_1) | instskip(SKIP_1) | instid1(VALU_DEP_1)
	v_cndmask_b32_e64 v33, 0, v33, s3
	v_cmp_nlt_f32_e64 s3, 0x42b17218, v31
	v_cndmask_b32_e64 v31, 0x7f800000, v33, s3
	v_cmp_ngt_f32_e64 s3, 0xc2ce8ed0, v30
	s_delay_alu instid0(VALU_DEP_2) | instskip(SKIP_4) | instid1(VALU_DEP_2)
	v_cndmask_b32_e64 v34, v35, v31, s1
	ds_bpermute_b32 v35, v239, v31
	v_cndmask_b32_e64 v33, v36, v31, s2
	v_add_f32_e32 v10, v31, v10
	s_waitcnt lgkmcnt(0)
	v_cndmask_b32_e64 v33, v33, v35, s0
	v_cndmask_b32_e32 v34, v34, v35, vcc_lo
	s_delay_alu instid0(VALU_DEP_2) | instskip(NEXT) | instid1(VALU_DEP_2)
	v_cvt_f16_f32_e32 v35, v33
	v_cvt_f16_f32_e32 v36, v34
	s_delay_alu instid0(VALU_DEP_1) | instskip(SKIP_1) | instid1(VALU_DEP_1)
	v_pack_b32_f16 v185, v35, v36
	v_mul_f32_e32 v35, 0x3fb8aa3b, v30
	v_fma_f32 v36, 0x3fb8aa3b, v30, -v35
	v_rndne_f32_e32 v37, v35
	s_delay_alu instid0(VALU_DEP_1) | instskip(NEXT) | instid1(VALU_DEP_1)
	v_dual_fmac_f32 v36, 0x32a5705f, v30 :: v_dual_sub_f32 v35, v35, v37
	v_add_f32_e32 v35, v35, v36
	v_cvt_i32_f32_e32 v36, v37
	s_delay_alu instid0(VALU_DEP_2) | instskip(SKIP_2) | instid1(VALU_DEP_1)
	v_exp_f32_e32 v35, v35
	s_waitcnt_depctr 0xfff
	v_ldexp_f32 v35, v35, v36
	v_cndmask_b32_e64 v35, 0, v35, s3
	v_cmp_nlt_f32_e64 s3, 0x42b17218, v30
	s_delay_alu instid0(VALU_DEP_1)
	v_cndmask_b32_e64 v30, 0x7f800000, v35, s3
	v_cmp_ngt_f32_e64 s3, 0xc2ce8ed0, v29
	ds_bpermute_b32 v35, v239, v30
	v_cndmask_b32_e64 v33, v33, v30, s2
	v_cndmask_b32_e64 v34, v34, v30, s1
	v_add_f32_e32 v10, v30, v10
	s_waitcnt lgkmcnt(0)
	s_delay_alu instid0(VALU_DEP_3) | instskip(NEXT) | instid1(VALU_DEP_3)
	v_cndmask_b32_e64 v33, v33, v35, s0
	v_cndmask_b32_e32 v34, v34, v35, vcc_lo
	s_delay_alu instid0(VALU_DEP_2) | instskip(NEXT) | instid1(VALU_DEP_2)
	v_cvt_f16_f32_e32 v35, v33
	v_cvt_f16_f32_e32 v36, v34
	s_delay_alu instid0(VALU_DEP_1) | instskip(SKIP_1) | instid1(VALU_DEP_1)
	v_pack_b32_f16 v186, v35, v36
	v_mul_f32_e32 v35, 0x3fb8aa3b, v29
	v_fma_f32 v36, 0x3fb8aa3b, v29, -v35
	v_rndne_f32_e32 v37, v35
	s_delay_alu instid0(VALU_DEP_2) | instskip(NEXT) | instid1(VALU_DEP_2)
	v_fmac_f32_e32 v36, 0x32a5705f, v29
	v_sub_f32_e32 v35, v35, v37
	s_delay_alu instid0(VALU_DEP_1) | instskip(SKIP_1) | instid1(VALU_DEP_2)
	v_add_f32_e32 v35, v35, v36
	v_cvt_i32_f32_e32 v36, v37
	v_exp_f32_e32 v35, v35
	s_waitcnt_depctr 0xfff
	v_ldexp_f32 v35, v35, v36
	s_delay_alu instid0(VALU_DEP_1) | instskip(SKIP_1) | instid1(VALU_DEP_1)
	v_cndmask_b32_e64 v35, 0, v35, s3
	v_cmp_nlt_f32_e64 s3, 0x42b17218, v29
	v_cndmask_b32_e64 v29, 0x7f800000, v35, s3
	v_cmp_ngt_f32_e64 s3, 0xc2ce8ed0, v28
	ds_bpermute_b32 v35, v239, v29
	v_cndmask_b32_e64 v33, v33, v29, s2
	v_cndmask_b32_e64 v34, v34, v29, s1
	v_add_f32_e32 v10, v29, v10
	s_waitcnt lgkmcnt(0)
	s_delay_alu instid0(VALU_DEP_3) | instskip(NEXT) | instid1(VALU_DEP_3)
	v_cndmask_b32_e64 v33, v33, v35, s0
	v_cndmask_b32_e32 v34, v34, v35, vcc_lo
	s_delay_alu instid0(VALU_DEP_2) | instskip(NEXT) | instid1(VALU_DEP_2)
	v_cvt_f16_f32_e32 v35, v33
	v_cvt_f16_f32_e32 v36, v34
	s_delay_alu instid0(VALU_DEP_1) | instskip(SKIP_1) | instid1(VALU_DEP_1)
	v_pack_b32_f16 v187, v35, v36
	v_mul_f32_e32 v35, 0x3fb8aa3b, v28
	v_fma_f32 v36, 0x3fb8aa3b, v28, -v35
	v_rndne_f32_e32 v37, v35
	s_delay_alu instid0(VALU_DEP_1) | instskip(NEXT) | instid1(VALU_DEP_1)
	v_dual_fmac_f32 v36, 0x32a5705f, v28 :: v_dual_sub_f32 v35, v35, v37
	v_add_f32_e32 v35, v35, v36
	v_cvt_i32_f32_e32 v36, v37
	s_delay_alu instid0(VALU_DEP_2) | instskip(SKIP_2) | instid1(VALU_DEP_1)
	v_exp_f32_e32 v35, v35
	s_waitcnt_depctr 0xfff
	v_ldexp_f32 v35, v35, v36
	v_cndmask_b32_e64 v35, 0, v35, s3
	v_cmp_nlt_f32_e64 s3, 0x42b17218, v28
	s_delay_alu instid0(VALU_DEP_1)
	v_cndmask_b32_e64 v28, 0x7f800000, v35, s3
	v_cmp_ngt_f32_e64 s3, 0xc2ce8ed0, v27
	ds_bpermute_b32 v35, v239, v28
	v_cndmask_b32_e64 v33, v33, v28, s2
	v_cndmask_b32_e64 v34, v34, v28, s1
	v_add_f32_e32 v10, v28, v10
	s_waitcnt lgkmcnt(0)
	s_delay_alu instid0(VALU_DEP_3) | instskip(NEXT) | instid1(VALU_DEP_3)
	v_cndmask_b32_e64 v33, v33, v35, s0
	v_cndmask_b32_e32 v34, v34, v35, vcc_lo
	s_delay_alu instid0(VALU_DEP_2) | instskip(NEXT) | instid1(VALU_DEP_2)
	v_cvt_f16_f32_e32 v35, v33
	v_cvt_f16_f32_e32 v36, v34
	s_delay_alu instid0(VALU_DEP_1) | instskip(SKIP_1) | instid1(VALU_DEP_1)
	v_pack_b32_f16 v188, v35, v36
	v_mul_f32_e32 v35, 0x3fb8aa3b, v27
	v_fma_f32 v36, 0x3fb8aa3b, v27, -v35
	v_rndne_f32_e32 v37, v35
	s_delay_alu instid0(VALU_DEP_1) | instskip(NEXT) | instid1(VALU_DEP_1)
	v_dual_fmac_f32 v36, 0x32a5705f, v27 :: v_dual_sub_f32 v35, v35, v37
	v_add_f32_e32 v35, v35, v36
	v_cvt_i32_f32_e32 v36, v37
	s_delay_alu instid0(VALU_DEP_2) | instskip(SKIP_2) | instid1(VALU_DEP_1)
	v_exp_f32_e32 v35, v35
	s_waitcnt_depctr 0xfff
	v_ldexp_f32 v35, v35, v36
	v_cndmask_b32_e64 v35, 0, v35, s3
	v_cmp_nlt_f32_e64 s3, 0x42b17218, v27
	s_delay_alu instid0(VALU_DEP_1)
	;; [unrolled: 29-line block ×3, first 2 shown]
	v_cndmask_b32_e64 v26, 0x7f800000, v35, s3
	v_cmp_ngt_f32_e64 s3, 0xc2ce8ed0, v21
	ds_bpermute_b32 v35, v239, v26
	v_cndmask_b32_e64 v33, v33, v26, s2
	v_cndmask_b32_e64 v34, v34, v26, s1
	v_add_f32_e32 v10, v26, v10
	s_waitcnt lgkmcnt(0)
	s_delay_alu instid0(VALU_DEP_3) | instskip(NEXT) | instid1(VALU_DEP_3)
	v_cndmask_b32_e64 v33, v33, v35, s0
	v_cndmask_b32_e32 v34, v34, v35, vcc_lo
	s_delay_alu instid0(VALU_DEP_2) | instskip(NEXT) | instid1(VALU_DEP_2)
	v_cvt_f16_f32_e32 v33, v33
	v_cvt_f16_f32_e32 v34, v34
	s_delay_alu instid0(VALU_DEP_1)
	v_pack_b32_f16 v190, v33, v34
	s_waitcnt vmcnt(0)
	ds_load_u16 v37, v39 offset:2400
	ds_load_u16 v33, v39 offset:480
	ds_load_u16 v34, v39 offset:960
	ds_load_u16 v36, v39 offset:1920
	ds_load_u16 v35, v39 offset:1440
	ds_load_u16 v143, v40 offset:3360
	ds_load_u16 v138, v40 offset:960
	ds_load_u16 v139, v40 offset:1440
	scratch_load_b32 v114, off, off offset:464 ; 4-byte Folded Reload
	s_waitcnt vmcnt(0)
	ds_load_u16 v131, v114 offset:480
	ds_load_u16 v142, v40 offset:2880
	ds_load_u16 v141, v40 offset:2400
	ds_load_u16 v140, v40 offset:1920
	ds_load_u16 v145, v41 offset:960
	ds_load_u16 v146, v41 offset:1440
	ds_load_u16 v148, v41 offset:2400
	ds_load_u16 v149, v41 offset:2880
	ds_load_u16 v150, v41 offset:3360
	scratch_load_b32 v116, off, off offset:528 ; 4-byte Folded Reload
	s_waitcnt vmcnt(0)
	ds_load_u16 v191, v116 offset:480
	;; [unrolled: 11-line block ×3, first 2 shown]
	ds_load_u16 v211, v113 offset:2400
	ds_load_u16 v212, v113 offset:2880
	;; [unrolled: 1-line block ×15, first 2 shown]
	s_waitcnt lgkmcnt(36)
	ds_load_u16_d16_hi v143, v240 offset:7472
	s_waitcnt lgkmcnt(36)
	ds_load_u16_d16_hi v138, v240 offset:5072
	ds_load_u16_d16_hi v169, v240 offset:5104
	s_waitcnt lgkmcnt(32)
	ds_load_u16_d16_hi v145, v240 offset:5136
	ds_load_u16_d16_hi v161, v240 offset:5168
	;; [unrolled: 1-line block ×4, first 2 shown]
	s_waitcnt lgkmcnt(35)
	ds_load_u16_d16_hi v146, v240 offset:5616
	ds_load_u16_d16_hi v162, v240 offset:5648
	s_waitcnt lgkmcnt(26)
	ds_load_u16_d16_hi v154, v240 offset:5680
	ds_load_u16_d16_hi v37, v240 offset:6480
	;; [unrolled: 1-line block ×19, first 2 shown]
	s_waitcnt lgkmcnt(40)
	ds_load_u16_d16_hi v38, v240 offset:6960
	ds_load_u16_d16_hi v180, v240 offset:6672
	s_waitcnt lgkmcnt(41)
	ds_load_u16_d16_hi v39, v240 offset:7440
	s_waitcnt lgkmcnt(39)
	;; [unrolled: 2-line block ×3, first 2 shown]
	ds_load_u16_d16_hi v128, v240 offset:15312
	ds_load_u16_d16_hi v33, v240 offset:4560
	;; [unrolled: 1-line block ×4, first 2 shown]
	ds_load_u16 v175, v240 offset:4032
	s_waitcnt lgkmcnt(2)
	v_wmma_f32_16x16x16_f16 v[104:111], v[32:39], v[183:190], v[104:111]
	v_dual_mov_b32 v39, v173 :: v_dual_mov_b32 v40, v174
	ds_load_u16 v173, v49 offset:2880
	ds_load_u16 v174, v49 offset:3360
	;; [unrolled: 1-line block ×4, first 2 shown]
	scratch_load_b32 v115, off, off offset:496 ; 4-byte Folded Reload
	s_waitcnt vmcnt(0)
	ds_load_u16 v37, v115 offset:2400
	ds_load_u16 v38, v115 offset:2880
	ds_load_u16 v35, v115 offset:1440
	ds_load_u16 v33, v115 offset:480
	ds_load_u16 v53, v242 offset:2400
	ds_load_u16 v54, v242 offset:2880
	ds_load_u16 v51, v242 offset:1440
	ds_load_u16 v49, v242 offset:480
	ds_load_u16_d16_hi v137, v240 offset:4592
	ds_load_u16_d16_hi v142, v240 offset:6992
	s_waitcnt lgkmcnt(13)
	ds_load_u16_d16_hi v173, v240 offset:7024
	ds_load_u16_d16_hi v149, v240 offset:7056
	s_waitcnt lgkmcnt(13)
	ds_load_u16_d16_hi v165, v240 offset:7088
	ds_load_u16_d16_hi v157, v240 offset:7120
	;; [unrolled: 1-line block ×5, first 2 shown]
	v_mul_f32_e32 v34, 0x3fb8aa3b, v21
	s_delay_alu instid0(VALU_DEP_1) | instskip(NEXT) | instid1(VALU_DEP_1)
	v_fma_f32 v36, 0x3fb8aa3b, v21, -v34
	v_fmac_f32_e32 v36, 0x32a5705f, v21
	s_waitcnt lgkmcnt(7)
	v_wmma_f32_16x16x16_f16 v[96:103], v[136:143], v[183:190], v[96:103]
	ds_load_u16 v167, v240 offset:3904
	ds_load_u16 v143, v240 offset:3936
	;; [unrolled: 1-line block ×4, first 2 shown]
	ds_load_u16_d16_hi v174, v240 offset:7504
	ds_load_u16_d16_hi v150, v240 offset:7536
	;; [unrolled: 1-line block ×5, first 2 shown]
	ds_load_u16 v206, v240 offset:7680
	ds_load_u16 v130, v240 offset:7712
	;; [unrolled: 1-line block ×3, first 2 shown]
	s_waitcnt lgkmcnt(11)
	ds_load_u16_d16_hi v167, v240 offset:4144
	s_waitcnt lgkmcnt(11)
	ds_load_u16_d16_hi v143, v240 offset:4176
	;; [unrolled: 2-line block ×4, first 2 shown]
	ds_load_u16_d16_hi v160, v240 offset:4688
	ds_load_u16_d16_hi v152, v240 offset:4720
	ds_load_u16_d16_hi v153, v240 offset:5200
	s_waitcnt lgkmcnt(10)
	v_wmma_f32_16x16x16_f16 v[56:63], v[175:182], v[183:190], v[56:63]
	v_dual_mov_b32 v181, v43 :: v_dual_mov_b32 v176, v13
	v_dual_mov_b32 v175, v12 :: v_dual_sub_f32 v12, v50, v232
	v_sub_f32_e32 v13, v55, v232
	v_mov_b32_e32 v179, v249
	v_dual_mov_b32 v177, v230 :: v_dual_mov_b32 v178, v231
	s_waitcnt lgkmcnt(6)
	v_wmma_f32_16x16x16_f16 v[88:95], v[167:174], v[183:190], v[88:95]
	v_dual_mov_b32 v174, v40 :: v_dual_mov_b32 v173, v39
	v_rndne_f32_e32 v39, v34
	v_dual_mov_b32 v170, v48 :: v_dual_mov_b32 v169, v47
	v_dual_mov_b32 v171, v222 :: v_dual_mov_b32 v172, v223
	s_delay_alu instid0(VALU_DEP_3)
	v_sub_f32_e32 v34, v34, v39
	v_cvt_i32_f32_e32 v39, v39
	s_waitcnt lgkmcnt(2)
	v_wmma_f32_16x16x16_f16 v[72:79], v[159:166], v[183:190], v[72:79]
	v_wmma_f32_16x16x16_f16 v[80:87], v[143:150], v[183:190], v[80:87]
	s_waitcnt lgkmcnt(0)
	v_wmma_f32_16x16x16_f16 v[64:71], v[151:158], v[183:190], v[64:71]
	v_add_f32_e32 v34, v34, v36
	v_mul_f32_e32 v36, 0x3fb8aa3b, v19
	s_delay_alu instid0(VALU_DEP_2) | instskip(NEXT) | instid1(VALU_DEP_1)
	v_exp_f32_e32 v34, v34
	v_fma_f32 v40, 0x3fb8aa3b, v19, -v36
	v_rndne_f32_e32 v43, v36
	s_delay_alu instid0(VALU_DEP_2) | instskip(NEXT) | instid1(VALU_DEP_2)
	v_fmac_f32_e32 v40, 0x32a5705f, v19
	v_sub_f32_e32 v36, v36, v43
	s_waitcnt_depctr 0xfff
	v_ldexp_f32 v34, v34, v39
	v_cvt_i32_f32_e32 v39, v43
	v_add_f32_e32 v36, v36, v40
	s_delay_alu instid0(VALU_DEP_3) | instskip(SKIP_1) | instid1(VALU_DEP_3)
	v_cndmask_b32_e64 v34, 0, v34, s3
	v_cmp_nlt_f32_e64 s3, 0x42b17218, v21
	v_exp_f32_e32 v36, v36
	s_waitcnt_depctr 0xfff
	v_ldexp_f32 v36, v36, v39
	s_delay_alu instid0(VALU_DEP_1) | instskip(SKIP_1) | instid1(VALU_DEP_1)
	v_cndmask_b32_e64 v21, 0, v36, s4
	v_cmp_nlt_f32_e64 s4, 0x42b17218, v19
	v_cndmask_b32_e64 v19, 0x7f800000, v21, s4
	v_cndmask_b32_e64 v21, 0x7f800000, v34, s3
	v_cmp_ngt_f32_e64 s3, 0xc2ce8ed0, v17
	ds_bpermute_b32 v34, v239, v19
	ds_bpermute_b32 v39, v239, v21
	v_add_f32_e32 v10, v19, v10
	s_delay_alu instid0(VALU_DEP_1) | instskip(SKIP_3) | instid1(VALU_DEP_2)
	v_add_f32_e32 v10, v21, v10
	s_waitcnt lgkmcnt(1)
	v_cndmask_b32_e32 v36, v19, v34, vcc_lo
	v_cndmask_b32_e64 v34, v19, v34, s0
	v_cndmask_b32_e64 v43, v36, v21, s1
	s_delay_alu instid0(VALU_DEP_2) | instskip(SKIP_3) | instid1(VALU_DEP_3)
	v_cndmask_b32_e64 v40, v34, v21, s2
	v_cvt_f16_f32_e32 v34, v34
	v_cvt_f16_f32_e32 v36, v36
	s_waitcnt lgkmcnt(0)
	v_cndmask_b32_e64 v40, v40, v39, s0
	v_cndmask_b32_e32 v39, v43, v39, vcc_lo
	s_delay_alu instid0(VALU_DEP_3) | instskip(SKIP_1) | instid1(VALU_DEP_4)
	v_pack_b32_f16 v138, v34, v36
	v_mul_f32_e32 v34, 0x3fb8aa3b, v17
	v_cvt_f16_f32_e32 v43, v40
	s_delay_alu instid0(VALU_DEP_4) | instskip(NEXT) | instid1(VALU_DEP_3)
	v_cvt_f16_f32_e32 v47, v39
	v_fma_f32 v36, 0x3fb8aa3b, v17, -v34
	s_delay_alu instid0(VALU_DEP_2) | instskip(SKIP_1) | instid1(VALU_DEP_3)
	v_pack_b32_f16 v139, v43, v47
	v_rndne_f32_e32 v43, v34
	v_fmac_f32_e32 v36, 0x32a5705f, v17
	s_delay_alu instid0(VALU_DEP_2) | instskip(NEXT) | instid1(VALU_DEP_1)
	v_sub_f32_e32 v34, v34, v43
	v_add_f32_e32 v34, v34, v36
	v_cvt_i32_f32_e32 v36, v43
	s_delay_alu instid0(VALU_DEP_2) | instskip(SKIP_2) | instid1(VALU_DEP_1)
	v_exp_f32_e32 v34, v34
	s_waitcnt_depctr 0xfff
	v_ldexp_f32 v34, v34, v36
	v_cndmask_b32_e64 v34, 0, v34, s3
	v_cmp_nlt_f32_e64 s3, 0x42b17218, v17
	s_delay_alu instid0(VALU_DEP_1) | instskip(SKIP_1) | instid1(VALU_DEP_2)
	v_cndmask_b32_e64 v17, 0x7f800000, v34, s3
	v_cmp_ngt_f32_e64 s3, 0xc2ce8ed0, v12
	v_cndmask_b32_e64 v36, v39, v17, s1
	ds_bpermute_b32 v39, v239, v17
	v_cndmask_b32_e64 v34, v40, v17, s2
	v_add_f32_e32 v10, v17, v10
	s_waitcnt lgkmcnt(0)
	s_delay_alu instid0(VALU_DEP_2) | instskip(SKIP_1) | instid1(VALU_DEP_2)
	v_cndmask_b32_e64 v34, v34, v39, s0
	v_cndmask_b32_e32 v36, v36, v39, vcc_lo
	v_cvt_f16_f32_e32 v39, v34
	s_delay_alu instid0(VALU_DEP_2) | instskip(NEXT) | instid1(VALU_DEP_1)
	v_cvt_f16_f32_e32 v40, v36
	v_pack_b32_f16 v140, v39, v40
	v_mul_f32_e32 v39, 0x3fb8aa3b, v12
	s_delay_alu instid0(VALU_DEP_1) | instskip(SKIP_1) | instid1(VALU_DEP_1)
	v_fma_f32 v40, 0x3fb8aa3b, v12, -v39
	v_rndne_f32_e32 v43, v39
	v_dual_fmac_f32 v40, 0x32a5705f, v12 :: v_dual_sub_f32 v39, v39, v43
	s_delay_alu instid0(VALU_DEP_1) | instskip(SKIP_1) | instid1(VALU_DEP_2)
	v_add_f32_e32 v39, v39, v40
	v_cvt_i32_f32_e32 v40, v43
	v_exp_f32_e32 v39, v39
	s_waitcnt_depctr 0xfff
	v_ldexp_f32 v39, v39, v40
	s_delay_alu instid0(VALU_DEP_1) | instskip(SKIP_1) | instid1(VALU_DEP_1)
	v_cndmask_b32_e64 v39, 0, v39, s3
	v_cmp_nlt_f32_e64 s3, 0x42b17218, v12
	v_cndmask_b32_e64 v12, 0x7f800000, v39, s3
	v_cmp_ngt_f32_e64 s3, 0xc2ce8ed0, v13
	ds_bpermute_b32 v39, v239, v12
	v_cndmask_b32_e64 v34, v34, v12, s2
	v_cndmask_b32_e64 v36, v36, v12, s1
	v_add_f32_e32 v10, v12, v10
	s_waitcnt lgkmcnt(0)
	s_delay_alu instid0(VALU_DEP_3) | instskip(NEXT) | instid1(VALU_DEP_3)
	v_cndmask_b32_e64 v34, v34, v39, s0
	v_cndmask_b32_e32 v36, v36, v39, vcc_lo
	s_delay_alu instid0(VALU_DEP_2) | instskip(NEXT) | instid1(VALU_DEP_2)
	v_cvt_f16_f32_e32 v39, v34
	v_cvt_f16_f32_e32 v40, v36
	s_delay_alu instid0(VALU_DEP_1) | instskip(SKIP_1) | instid1(VALU_DEP_1)
	v_pack_b32_f16 v141, v39, v40
	v_mul_f32_e32 v39, 0x3fb8aa3b, v13
	v_fma_f32 v40, 0x3fb8aa3b, v13, -v39
	v_rndne_f32_e32 v43, v39
	s_delay_alu instid0(VALU_DEP_1) | instskip(NEXT) | instid1(VALU_DEP_1)
	v_dual_fmac_f32 v40, 0x32a5705f, v13 :: v_dual_sub_f32 v39, v39, v43
	v_add_f32_e32 v39, v39, v40
	v_cvt_i32_f32_e32 v40, v43
	s_delay_alu instid0(VALU_DEP_2) | instskip(SKIP_2) | instid1(VALU_DEP_1)
	v_exp_f32_e32 v39, v39
	s_waitcnt_depctr 0xfff
	v_ldexp_f32 v39, v39, v40
	v_cndmask_b32_e64 v39, 0, v39, s3
	v_cmp_nlt_f32_e64 s3, 0x42b17218, v13
	s_delay_alu instid0(VALU_DEP_1)
	v_cndmask_b32_e64 v13, 0x7f800000, v39, s3
	ds_bpermute_b32 v39, v239, v13
	v_cndmask_b32_e64 v34, v34, v13, s2
	v_cndmask_b32_e64 v36, v36, v13, s1
	v_add_f32_e32 v10, v13, v10
	s_waitcnt lgkmcnt(0)
	s_delay_alu instid0(VALU_DEP_3) | instskip(NEXT) | instid1(VALU_DEP_3)
	v_cndmask_b32_e64 v34, v34, v39, s0
	v_cndmask_b32_e32 v36, v36, v39, vcc_lo
	s_delay_alu instid0(VALU_DEP_2) | instskip(NEXT) | instid1(VALU_DEP_2)
	v_cvt_f16_f32_e32 v39, v34
	v_cvt_f16_f32_e32 v40, v36
	s_delay_alu instid0(VALU_DEP_1) | instskip(SKIP_1) | instid1(VALU_DEP_1)
	v_pack_b32_f16 v142, v39, v40
	v_sub_f32_e32 v39, v226, v232
	v_mul_f32_e32 v40, 0x3fb8aa3b, v39
	v_cmp_ngt_f32_e64 s3, 0xc2ce8ed0, v39
	s_delay_alu instid0(VALU_DEP_2) | instskip(SKIP_1) | instid1(VALU_DEP_2)
	v_fma_f32 v43, 0x3fb8aa3b, v39, -v40
	v_rndne_f32_e32 v47, v40
	v_dual_mov_b32 v180, v250 :: v_dual_fmac_f32 v43, 0x32a5705f, v39
	s_delay_alu instid0(VALU_DEP_2) | instskip(NEXT) | instid1(VALU_DEP_1)
	v_sub_f32_e32 v40, v40, v47
	v_add_f32_e32 v40, v40, v43
	v_cvt_i32_f32_e32 v43, v47
	s_delay_alu instid0(VALU_DEP_2) | instskip(SKIP_2) | instid1(VALU_DEP_1)
	v_exp_f32_e32 v40, v40
	s_waitcnt_depctr 0xfff
	v_ldexp_f32 v40, v40, v43
	v_cndmask_b32_e64 v40, 0, v40, s3
	v_cmp_nlt_f32_e64 s3, 0x42b17218, v39
	s_delay_alu instid0(VALU_DEP_1)
	v_cndmask_b32_e64 v162, 0x7f800000, v40, s3
	ds_bpermute_b32 v39, v239, v162
	v_cndmask_b32_e64 v34, v34, v162, s2
	v_cndmask_b32_e64 v36, v36, v162, s1
	v_add_f32_e32 v10, v162, v10
	s_waitcnt lgkmcnt(0)
	s_delay_alu instid0(VALU_DEP_3) | instskip(NEXT) | instid1(VALU_DEP_3)
	v_cndmask_b32_e64 v34, v34, v39, s0
	v_cndmask_b32_e32 v36, v36, v39, vcc_lo
	s_delay_alu instid0(VALU_DEP_2) | instskip(NEXT) | instid1(VALU_DEP_2)
	v_cvt_f16_f32_e32 v39, v34
	v_cvt_f16_f32_e32 v40, v36
	s_delay_alu instid0(VALU_DEP_1) | instskip(SKIP_1) | instid1(VALU_DEP_1)
	v_pack_b32_f16 v143, v39, v40
	v_sub_f32_e32 v39, v52, v232
	v_mul_f32_e32 v40, 0x3fb8aa3b, v39
	v_cmp_ngt_f32_e64 s3, 0xc2ce8ed0, v39
	s_delay_alu instid0(VALU_DEP_2) | instskip(SKIP_1) | instid1(VALU_DEP_2)
	v_fma_f32 v43, 0x3fb8aa3b, v39, -v40
	v_rndne_f32_e32 v47, v40
	v_fmac_f32_e32 v43, 0x32a5705f, v39
	s_delay_alu instid0(VALU_DEP_2) | instskip(NEXT) | instid1(VALU_DEP_1)
	v_sub_f32_e32 v40, v40, v47
	v_add_f32_e32 v40, v40, v43
	v_cvt_i32_f32_e32 v43, v47
	s_delay_alu instid0(VALU_DEP_2) | instskip(SKIP_2) | instid1(VALU_DEP_1)
	v_exp_f32_e32 v40, v40
	s_waitcnt_depctr 0xfff
	v_ldexp_f32 v40, v40, v43
	v_cndmask_b32_e64 v40, 0, v40, s3
	v_cmp_nlt_f32_e64 s3, 0x42b17218, v39
	s_delay_alu instid0(VALU_DEP_1)
	v_cndmask_b32_e64 v163, 0x7f800000, v40, s3
	ds_bpermute_b32 v39, v239, v163
	v_cndmask_b32_e64 v34, v34, v163, s2
	v_cndmask_b32_e64 v36, v36, v163, s1
	v_add_f32_e32 v10, v163, v10
	s_waitcnt lgkmcnt(0)
	s_delay_alu instid0(VALU_DEP_3) | instskip(NEXT) | instid1(VALU_DEP_3)
	v_cndmask_b32_e64 v34, v34, v39, s0
	v_cndmask_b32_e32 v36, v36, v39, vcc_lo
	s_delay_alu instid0(VALU_DEP_2) | instskip(NEXT) | instid1(VALU_DEP_2)
	v_cvt_f16_f32_e32 v39, v34
	v_cvt_f16_f32_e32 v40, v36
	s_delay_alu instid0(VALU_DEP_1) | instskip(SKIP_1) | instid1(VALU_DEP_1)
	v_pack_b32_f16 v144, v39, v40
	v_sub_f32_e32 v39, v224, v232
	v_mul_f32_e32 v40, 0x3fb8aa3b, v39
	v_cmp_ngt_f32_e64 s3, 0xc2ce8ed0, v39
	s_delay_alu instid0(VALU_DEP_2) | instskip(SKIP_1) | instid1(VALU_DEP_2)
	v_fma_f32 v43, 0x3fb8aa3b, v39, -v40
	v_rndne_f32_e32 v47, v40
	v_fmac_f32_e32 v43, 0x32a5705f, v39
	s_delay_alu instid0(VALU_DEP_2) | instskip(NEXT) | instid1(VALU_DEP_1)
	v_sub_f32_e32 v40, v40, v47
	v_add_f32_e32 v40, v40, v43
	v_cvt_i32_f32_e32 v43, v47
	s_delay_alu instid0(VALU_DEP_2) | instskip(SKIP_2) | instid1(VALU_DEP_1)
	v_exp_f32_e32 v40, v40
	s_waitcnt_depctr 0xfff
	v_ldexp_f32 v40, v40, v43
	v_cndmask_b32_e64 v40, 0, v40, s3
	v_cmp_nlt_f32_e64 s3, 0x42b17218, v39
	s_delay_alu instid0(VALU_DEP_1)
	v_cndmask_b32_e64 v164, 0x7f800000, v40, s3
	ds_bpermute_b32 v39, v239, v164
	v_cndmask_b32_e64 v34, v34, v164, s2
	v_cndmask_b32_e64 v36, v36, v164, s1
	v_add_f32_e32 v10, v164, v10
	s_waitcnt lgkmcnt(0)
	s_delay_alu instid0(VALU_DEP_3) | instskip(NEXT) | instid1(VALU_DEP_3)
	v_cndmask_b32_e64 v34, v34, v39, s0
	v_cndmask_b32_e32 v36, v36, v39, vcc_lo
	s_delay_alu instid0(VALU_DEP_2) | instskip(NEXT) | instid1(VALU_DEP_2)
	v_cvt_f16_f32_e32 v34, v34
	v_cvt_f16_f32_e32 v36, v36
	s_delay_alu instid0(VALU_DEP_1)
	v_pack_b32_f16 v145, v34, v36
	ds_load_u16 v209, v113 offset:1440
	ds_load_u16 v34, v115 offset:960
	;; [unrolled: 1-line block ×29, first 2 shown]
	scratch_load_b32 v115, off, off offset:368 ; 4-byte Folded Reload
	s_waitcnt vmcnt(0)
	ds_load_u16 v149, v115 offset:1440
	ds_load_u16 v150, v115 offset:1920
	;; [unrolled: 1-line block ×6, first 2 shown]
	ds_load_u16_d16_hi v207, v240 offset:8400
	s_waitcnt lgkmcnt(23)
	ds_load_u16_d16_hi v136, v240 offset:10832
	ds_load_u16_d16_hi v137, v240 offset:11312
	scratch_load_b32 v116, off, off offset:504 ; 4-byte Folded Reload
	s_waitcnt vmcnt(0)
	ds_load_u16 v155, v116 offset:480
	s_waitcnt lgkmcnt(22)
	ds_load_u16_d16_hi v39, v240 offset:11344
	ds_load_u16_d16_hi v132, v240 offset:8912
	;; [unrolled: 1-line block ×9, first 2 shown]
	s_waitcnt lgkmcnt(26)
	ds_load_u16_d16_hi v194, v240 offset:9936
	ds_load_u16_d16_hi v52, v240 offset:9968
	s_waitcnt lgkmcnt(22)
	ds_load_u16_d16_hi v202, v240 offset:10000
	ds_load_u16_d16_hi v208, v240 offset:8880
	ds_load_u16_d16_hi v41, v240 offset:8592
	ds_load_u16_d16_hi v133, v240 offset:9392
	ds_load_u16_d16_hi v35, v240 offset:9424
	ds_load_u16_d16_hi v193, v240 offset:9456
	ds_load_u16_d16_hi v51, v240 offset:9488
	s_waitcnt lgkmcnt(28)
	ds_load_u16_d16_hi v201, v240 offset:9520
	ds_load_u16_d16_hi v43, v240 offset:9552
	;; [unrolled: 1-line block ×13, first 2 shown]
	ds_load_u16 v40, v240 offset:7872
	ds_load_u16_d16_hi v131, v240 offset:8432
	ds_load_u16_d16_hi v135, v240 offset:10352
	;; [unrolled: 1-line block ×9, first 2 shown]
	s_waitcnt lgkmcnt(9)
	ds_load_u16_d16_hi v40, v240 offset:8112
	ds_load_u16_d16_hi v38, v240 offset:10864
	ds_load_u16_d16_hi v196, v240 offset:10896
	ds_load_u16_d16_hi v54, v240 offset:10928
	ds_load_u16_d16_hi v204, v240 offset:10960
	v_wmma_f32_16x16x16_f16 v[104:111], v[206:213], v[138:145], v[104:111]
	s_waitcnt lgkmcnt(12)
	v_wmma_f32_16x16x16_f16 v[96:103], v[130:137], v[138:145], v[96:103]
	s_waitcnt lgkmcnt(3)
	v_wmma_f32_16x16x16_f16 v[88:95], v[32:39], v[138:145], v[88:95]
	ds_load_u16 v55, v242 offset:3360
	ds_load_u16 v47, v247 offset:3360
	;; [unrolled: 1-line block ×9, first 2 shown]
	ds_load_u16_d16_hi v197, v240 offset:11376
	ds_load_u16 v33, v246 offset:480
	s_waitcnt lgkmcnt(10)
	ds_load_u16_d16_hi v55, v240 offset:11408
	ds_load_u16_d16_hi v205, v240 offset:11440
	s_waitcnt lgkmcnt(11)
	ds_load_u16_d16_hi v47, v240 offset:11472
	ds_load_u16 v146, v240 offset:11520
	ds_load_u16 v222, v240 offset:11552
	ds_load_u16 v154, v240 offset:11584
	ds_load_u16 v113, v240 offset:11616
	s_waitcnt lgkmcnt(15)
	ds_load_u16_d16_hi v190, v240 offset:8016
	s_waitcnt lgkmcnt(15)
	ds_load_u16_d16_hi v48, v240 offset:8048
	;; [unrolled: 2-line block ×3, first 2 shown]
	v_sub_f32_e32 v32, v225, v232
	s_delay_alu instid0(VALU_DEP_1) | instskip(SKIP_1) | instid1(VALU_DEP_2)
	v_mul_f32_e32 v34, 0x3fb8aa3b, v32
	v_cmp_ngt_f32_e64 s3, 0xc2ce8ed0, v32
	v_fma_f32 v35, 0x3fb8aa3b, v32, -v34
	v_rndne_f32_e32 v36, v34
	s_waitcnt lgkmcnt(7)
	v_wmma_f32_16x16x16_f16 v[56:63], v[40:47], v[138:145], v[56:63]
	s_delay_alu instid0(VALU_DEP_3) | instskip(NEXT) | instid1(VALU_DEP_3)
	v_fmac_f32_e32 v35, 0x32a5705f, v32
	v_sub_f32_e32 v34, v34, v36
	s_waitcnt lgkmcnt(2)
	v_wmma_f32_16x16x16_f16 v[80:87], v[190:197], v[138:145], v[80:87]
	s_clause 0x1
	scratch_load_b128 v[183:186], off, off offset:172
	scratch_load_b128 v[187:190], off, off offset:188
	ds_load_u16_d16_hi v199, v240 offset:8560
	v_cvt_i32_f32_e32 v36, v36
	v_add_f32_e32 v34, v34, v35
	v_sub_f32_e32 v35, v14, v232
	s_waitcnt lgkmcnt(2)
	v_wmma_f32_16x16x16_f16 v[72:79], v[48:55], v[138:145], v[72:79]
	v_sub_f32_e32 v14, v227, v232
	v_exp_f32_e32 v34, v34
	v_mul_f32_e32 v37, 0x3fb8aa3b, v35
	v_cmp_ngt_f32_e64 s4, 0xc2ce8ed0, v35
	s_delay_alu instid0(VALU_DEP_2)
	v_fma_f32 v38, 0x3fb8aa3b, v35, -v37
	v_rndne_f32_e32 v39, v37
	s_waitcnt_depctr 0xfff
	v_ldexp_f32 v34, v34, v36
	v_fmac_f32_e32 v38, 0x32a5705f, v35
	v_sub_f32_e32 v37, v37, v39
	s_waitcnt lgkmcnt(0)
	v_wmma_f32_16x16x16_f16 v[64:71], v[198:205], v[138:145], v[64:71]
	v_dual_mov_b32 v208, v7 :: v_dual_mov_b32 v207, v6
	v_dual_mov_b32 v206, v5 :: v_dual_mov_b32 v205, v4
	v_dual_mov_b32 v204, v3 :: v_dual_mov_b32 v203, v2
	v_dual_mov_b32 v202, v1 :: v_dual_mov_b32 v201, v0
	s_clause 0x2
	scratch_load_b128 v[193:196], off, off offset:140
	scratch_load_b128 v[197:200], off, off offset:156
	scratch_load_b32 v0, off, off offset:8
	v_add_f32_e32 v37, v37, v38
	v_cvt_i32_f32_e32 v36, v39
	v_cndmask_b32_e64 v34, 0, v34, s3
	v_cmp_nlt_f32_e64 s3, 0x42b17218, v32
	s_delay_alu instid0(VALU_DEP_4) | instskip(NEXT) | instid1(VALU_DEP_1)
	v_exp_f32_e32 v37, v37
	v_cndmask_b32_e64 v49, 0x7f800000, v34, s3
	v_cmp_ngt_f32_e64 s3, 0xc2ce8ed0, v15
	s_waitcnt_depctr 0xfff
	v_ldexp_f32 v36, v37, v36
	s_delay_alu instid0(VALU_DEP_1)
	v_cndmask_b32_e64 v32, 0, v36, s4
	v_cmp_nlt_f32_e64 s4, 0x42b17218, v35
	ds_bpermute_b32 v35, v239, v49
	v_cndmask_b32_e64 v48, 0x7f800000, v32, s4
	ds_bpermute_b32 v32, v239, v48
	v_add_f32_e32 v10, v48, v10
	s_delay_alu instid0(VALU_DEP_1) | instskip(SKIP_3) | instid1(VALU_DEP_2)
	v_add_f32_e32 v10, v49, v10
	s_waitcnt lgkmcnt(0)
	v_cndmask_b32_e32 v34, v48, v32, vcc_lo
	v_cndmask_b32_e64 v32, v48, v32, s0
	v_cndmask_b32_e64 v37, v34, v49, s1
	s_delay_alu instid0(VALU_DEP_2) | instskip(SKIP_2) | instid1(VALU_DEP_3)
	v_cndmask_b32_e64 v36, v32, v49, s2
	v_cvt_f16_f32_e32 v32, v32
	v_cvt_f16_f32_e32 v34, v34
	v_cndmask_b32_e64 v36, v36, v35, s0
	v_cndmask_b32_e32 v35, v37, v35, vcc_lo
	s_delay_alu instid0(VALU_DEP_3) | instskip(SKIP_1) | instid1(VALU_DEP_4)
	v_pack_b32_f16 v40, v32, v34
	v_mul_f32_e32 v32, 0x3fb8aa3b, v15
	v_cvt_f16_f32_e32 v37, v36
	s_delay_alu instid0(VALU_DEP_4) | instskip(NEXT) | instid1(VALU_DEP_3)
	v_cvt_f16_f32_e32 v38, v35
	v_fma_f32 v34, 0x3fb8aa3b, v15, -v32
	s_delay_alu instid0(VALU_DEP_2) | instskip(SKIP_1) | instid1(VALU_DEP_3)
	v_pack_b32_f16 v41, v37, v38
	v_rndne_f32_e32 v37, v32
	v_fmac_f32_e32 v34, 0x32a5705f, v15
	s_delay_alu instid0(VALU_DEP_2) | instskip(NEXT) | instid1(VALU_DEP_1)
	v_sub_f32_e32 v32, v32, v37
	v_add_f32_e32 v32, v32, v34
	v_cvt_i32_f32_e32 v34, v37
	s_delay_alu instid0(VALU_DEP_2) | instskip(SKIP_2) | instid1(VALU_DEP_1)
	v_exp_f32_e32 v32, v32
	s_waitcnt_depctr 0xfff
	v_ldexp_f32 v32, v32, v34
	v_cndmask_b32_e64 v32, 0, v32, s3
	v_cmp_nlt_f32_e64 s3, 0x42b17218, v15
	s_delay_alu instid0(VALU_DEP_1) | instskip(SKIP_1) | instid1(VALU_DEP_2)
	v_cndmask_b32_e64 v15, 0x7f800000, v32, s3
	v_cmp_ngt_f32_e64 s3, 0xc2ce8ed0, v14
	v_cndmask_b32_e64 v34, v35, v15, s1
	ds_bpermute_b32 v35, v239, v15
	v_cndmask_b32_e64 v32, v36, v15, s2
	v_add_f32_e32 v10, v15, v10
	s_waitcnt lgkmcnt(0)
	s_delay_alu instid0(VALU_DEP_2) | instskip(SKIP_1) | instid1(VALU_DEP_2)
	v_cndmask_b32_e64 v32, v32, v35, s0
	v_cndmask_b32_e32 v34, v34, v35, vcc_lo
	v_cvt_f16_f32_e32 v35, v32
	s_delay_alu instid0(VALU_DEP_2) | instskip(NEXT) | instid1(VALU_DEP_1)
	v_cvt_f16_f32_e32 v36, v34
	v_pack_b32_f16 v42, v35, v36
	v_mul_f32_e32 v35, 0x3fb8aa3b, v14
	s_delay_alu instid0(VALU_DEP_1) | instskip(SKIP_1) | instid1(VALU_DEP_1)
	v_fma_f32 v36, 0x3fb8aa3b, v14, -v35
	v_rndne_f32_e32 v37, v35
	v_dual_fmac_f32 v36, 0x32a5705f, v14 :: v_dual_sub_f32 v35, v35, v37
	s_delay_alu instid0(VALU_DEP_1) | instskip(SKIP_1) | instid1(VALU_DEP_2)
	v_add_f32_e32 v35, v35, v36
	v_cvt_i32_f32_e32 v36, v37
	v_exp_f32_e32 v35, v35
	s_waitcnt_depctr 0xfff
	v_ldexp_f32 v35, v35, v36
	s_delay_alu instid0(VALU_DEP_1) | instskip(SKIP_1) | instid1(VALU_DEP_1)
	v_cndmask_b32_e64 v35, 0, v35, s3
	v_cmp_nlt_f32_e64 s3, 0x42b17218, v14
	v_cndmask_b32_e64 v14, 0x7f800000, v35, s3
	ds_bpermute_b32 v35, v239, v14
	v_cndmask_b32_e64 v32, v32, v14, s2
	v_cndmask_b32_e64 v34, v34, v14, s1
	v_add_f32_e32 v10, v14, v10
	s_waitcnt lgkmcnt(0)
	s_delay_alu instid0(VALU_DEP_3) | instskip(NEXT) | instid1(VALU_DEP_3)
	v_cndmask_b32_e64 v32, v32, v35, s0
	v_cndmask_b32_e32 v34, v34, v35, vcc_lo
	s_delay_alu instid0(VALU_DEP_2) | instskip(NEXT) | instid1(VALU_DEP_2)
	v_cvt_f16_f32_e32 v35, v32
	v_cvt_f16_f32_e32 v36, v34
	s_delay_alu instid0(VALU_DEP_1) | instskip(SKIP_1) | instid1(VALU_DEP_1)
	v_pack_b32_f16 v43, v35, v36
	v_sub_f32_e32 v35, v228, v232
	v_mul_f32_e32 v36, 0x3fb8aa3b, v35
	v_cmp_ngt_f32_e64 s3, 0xc2ce8ed0, v35
	s_delay_alu instid0(VALU_DEP_2) | instskip(SKIP_1) | instid1(VALU_DEP_1)
	v_fma_f32 v37, 0x3fb8aa3b, v35, -v36
	v_rndne_f32_e32 v38, v36
	v_dual_fmac_f32 v37, 0x32a5705f, v35 :: v_dual_sub_f32 v36, v36, v38
	s_delay_alu instid0(VALU_DEP_1) | instskip(SKIP_1) | instid1(VALU_DEP_2)
	v_add_f32_e32 v36, v36, v37
	v_cvt_i32_f32_e32 v37, v38
	v_exp_f32_e32 v36, v36
	s_waitcnt_depctr 0xfff
	v_ldexp_f32 v36, v36, v37
	s_delay_alu instid0(VALU_DEP_1) | instskip(SKIP_1) | instid1(VALU_DEP_1)
	v_cndmask_b32_e64 v36, 0, v36, s3
	v_cmp_nlt_f32_e64 s3, 0x42b17218, v35
	v_cndmask_b32_e64 v50, 0x7f800000, v36, s3
	ds_bpermute_b32 v35, v239, v50
	v_cndmask_b32_e64 v32, v32, v50, s2
	v_cndmask_b32_e64 v34, v34, v50, s1
	v_add_f32_e32 v10, v50, v10
	s_waitcnt lgkmcnt(0)
	s_delay_alu instid0(VALU_DEP_3) | instskip(NEXT) | instid1(VALU_DEP_3)
	v_cndmask_b32_e64 v32, v32, v35, s0
	v_cndmask_b32_e32 v34, v34, v35, vcc_lo
	s_delay_alu instid0(VALU_DEP_2) | instskip(NEXT) | instid1(VALU_DEP_2)
	v_cvt_f16_f32_e32 v35, v32
	v_cvt_f16_f32_e32 v36, v34
	s_delay_alu instid0(VALU_DEP_1)
	v_pack_b32_f16 v44, v35, v36
	s_waitcnt vmcnt(0)
	v_sub_f32_e32 v35, v0, v232
	scratch_load_b32 v0, off, off offset:4  ; 4-byte Folded Reload
	v_mul_f32_e32 v36, 0x3fb8aa3b, v35
	v_cmp_ngt_f32_e64 s3, 0xc2ce8ed0, v35
	s_delay_alu instid0(VALU_DEP_2) | instskip(SKIP_1) | instid1(VALU_DEP_1)
	v_fma_f32 v37, 0x3fb8aa3b, v35, -v36
	v_rndne_f32_e32 v38, v36
	v_dual_fmac_f32 v37, 0x32a5705f, v35 :: v_dual_sub_f32 v36, v36, v38
	s_delay_alu instid0(VALU_DEP_1) | instskip(SKIP_1) | instid1(VALU_DEP_2)
	v_add_f32_e32 v36, v36, v37
	v_cvt_i32_f32_e32 v37, v38
	v_exp_f32_e32 v36, v36
	s_waitcnt_depctr 0xfff
	v_ldexp_f32 v36, v36, v37
	s_delay_alu instid0(VALU_DEP_1) | instskip(SKIP_1) | instid1(VALU_DEP_1)
	v_cndmask_b32_e64 v36, 0, v36, s3
	v_cmp_nlt_f32_e64 s3, 0x42b17218, v35
	v_cndmask_b32_e64 v51, 0x7f800000, v36, s3
	ds_bpermute_b32 v35, v239, v51
	v_cndmask_b32_e64 v32, v32, v51, s2
	v_cndmask_b32_e64 v34, v34, v51, s1
	v_add_f32_e32 v10, v51, v10
	s_waitcnt lgkmcnt(0)
	s_delay_alu instid0(VALU_DEP_3) | instskip(NEXT) | instid1(VALU_DEP_3)
	v_cndmask_b32_e64 v32, v32, v35, s0
	v_cndmask_b32_e32 v34, v34, v35, vcc_lo
	s_delay_alu instid0(VALU_DEP_2) | instskip(NEXT) | instid1(VALU_DEP_2)
	v_cvt_f16_f32_e32 v35, v32
	v_cvt_f16_f32_e32 v36, v34
	s_delay_alu instid0(VALU_DEP_1)
	v_pack_b32_f16 v45, v35, v36
	s_waitcnt vmcnt(0)
	v_sub_f32_e32 v35, v0, v232
	scratch_load_b32 v0, off, off           ; 4-byte Folded Reload
	v_mul_f32_e32 v36, 0x3fb8aa3b, v35
	v_cmp_ngt_f32_e64 s3, 0xc2ce8ed0, v35
	s_delay_alu instid0(VALU_DEP_2) | instskip(SKIP_1) | instid1(VALU_DEP_1)
	v_fma_f32 v37, 0x3fb8aa3b, v35, -v36
	v_rndne_f32_e32 v38, v36
	v_dual_fmac_f32 v37, 0x32a5705f, v35 :: v_dual_sub_f32 v36, v36, v38
	s_delay_alu instid0(VALU_DEP_1) | instskip(SKIP_1) | instid1(VALU_DEP_2)
	v_add_f32_e32 v36, v36, v37
	v_cvt_i32_f32_e32 v37, v38
	v_exp_f32_e32 v36, v36
	s_waitcnt_depctr 0xfff
	v_ldexp_f32 v36, v36, v37
	s_delay_alu instid0(VALU_DEP_1) | instskip(SKIP_1) | instid1(VALU_DEP_1)
	v_cndmask_b32_e64 v36, 0, v36, s3
	v_cmp_nlt_f32_e64 s3, 0x42b17218, v35
	v_cndmask_b32_e64 v52, 0x7f800000, v36, s3
	ds_bpermute_b32 v35, v239, v52
	v_cndmask_b32_e64 v32, v32, v52, s2
	v_cndmask_b32_e64 v34, v34, v52, s1
	v_add_f32_e32 v10, v52, v10
	s_waitcnt lgkmcnt(0)
	s_delay_alu instid0(VALU_DEP_3) | instskip(NEXT) | instid1(VALU_DEP_3)
	v_cndmask_b32_e64 v32, v32, v35, s0
	v_cndmask_b32_e32 v34, v34, v35, vcc_lo
	s_delay_alu instid0(VALU_DEP_2) | instskip(NEXT) | instid1(VALU_DEP_2)
	v_cvt_f16_f32_e32 v35, v32
	v_cvt_f16_f32_e32 v36, v34
	s_delay_alu instid0(VALU_DEP_1) | instskip(SKIP_2) | instid1(VALU_DEP_1)
	v_pack_b32_f16 v46, v35, v36
	s_waitcnt vmcnt(0)
	v_sub_f32_e32 v35, v0, v232
	v_mul_f32_e32 v36, 0x3fb8aa3b, v35
	v_cmp_ngt_f32_e64 s3, 0xc2ce8ed0, v35
	s_delay_alu instid0(VALU_DEP_2) | instskip(SKIP_1) | instid1(VALU_DEP_1)
	v_fma_f32 v37, 0x3fb8aa3b, v35, -v36
	v_rndne_f32_e32 v38, v36
	v_dual_fmac_f32 v37, 0x32a5705f, v35 :: v_dual_sub_f32 v36, v36, v38
	s_delay_alu instid0(VALU_DEP_1) | instskip(SKIP_1) | instid1(VALU_DEP_2)
	v_add_f32_e32 v36, v36, v37
	v_cvt_i32_f32_e32 v37, v38
	v_exp_f32_e32 v36, v36
	s_waitcnt_depctr 0xfff
	v_ldexp_f32 v36, v36, v37
	s_delay_alu instid0(VALU_DEP_1) | instskip(SKIP_1) | instid1(VALU_DEP_1)
	v_cndmask_b32_e64 v36, 0, v36, s3
	v_cmp_nlt_f32_e64 s3, 0x42b17218, v35
	v_cndmask_b32_e64 v53, 0x7f800000, v36, s3
	ds_bpermute_b32 v35, v239, v53
	v_cndmask_b32_e64 v32, v32, v53, s2
	v_cndmask_b32_e64 v34, v34, v53, s1
	v_add_f32_e32 v253, v53, v10
	s_delay_alu instid0(VALU_DEP_1) | instskip(SKIP_3) | instid1(VALU_DEP_2)
	v_fmac_f32_e32 v253, v11, v25
	s_waitcnt lgkmcnt(0)
	v_cndmask_b32_e64 v32, v32, v35, s0
	v_cndmask_b32_e32 v34, v34, v35, vcc_lo
	v_cvt_f16_f32_e32 v32, v32
	s_delay_alu instid0(VALU_DEP_2) | instskip(NEXT) | instid1(VALU_DEP_1)
	v_cvt_f16_f32_e32 v34, v34
	v_pack_b32_f16 v47, v32, v34
	ds_load_u16 v148, v115 offset:960
	ds_load_u16 v123, v248 offset:960
	;; [unrolled: 1-line block ×23, first 2 shown]
	ds_load_u16_d16_hi v147, v240 offset:12240
	s_waitcnt lgkmcnt(21)
	ds_load_u16_d16_hi v227, v240 offset:14192
	s_waitcnt lgkmcnt(21)
	;; [unrolled: 2-line block ×3, first 2 shown]
	ds_load_u16_d16_hi v160, v240 offset:14704
	ds_load_u16_d16_hi v229, v240 offset:15152
	s_waitcnt lgkmcnt(20)
	ds_load_u16_d16_hi v161, v240 offset:15184
	ds_load_u16_d16_hi v120, v240 offset:15216
	;; [unrolled: 1-line block ×4, first 2 shown]
	s_waitcnt lgkmcnt(21)
	ds_load_u16_d16_hi v157, v240 offset:13264
	s_waitcnt lgkmcnt(20)
	ds_load_u16_d16_hi v116, v240 offset:13296
	;; [unrolled: 2-line block ×4, first 2 shown]
	ds_load_u16_d16_hi v224, v240 offset:12752
	ds_load_u16_d16_hi v156, v240 offset:12784
	ds_load_u16_d16_hi v115, v240 offset:12816
	s_waitcnt lgkmcnt(19)
	ds_load_u16_d16_hi v34, v240 offset:12848
	s_waitcnt lgkmcnt(19)
	ds_load_u16_d16_hi v216, v240 offset:12880
	ds_load_u16_d16_hi v123, v240 offset:12912
	;; [unrolled: 1-line block ×16, first 2 shown]
	ds_load_u16 v121, v240 offset:11712
	ds_load_u16 v117, v238 offset:1920
	;; [unrolled: 1-line block ×6, first 2 shown]
	ds_load_u16_d16_hi v223, v240 offset:12272
	s_waitcnt lgkmcnt(41)
	ds_load_u16_d16_hi v226, v240 offset:13712
	ds_load_u16_d16_hi v158, v240 offset:13744
	s_waitcnt lgkmcnt(7)
	ds_load_u16_d16_hi v117, v240 offset:13776
	;; [unrolled: 3-line block ×3, first 2 shown]
	ds_load_u16_d16_hi v155, v240 offset:12304
	ds_load_u16_d16_hi v114, v240 offset:12336
	;; [unrolled: 1-line block ×6, first 2 shown]
	s_waitcnt lgkmcnt(14)
	ds_load_u16_d16_hi v118, v240 offset:14256
	ds_load_u16_d16_hi v37, v240 offset:14288
	s_waitcnt lgkmcnt(15)
	ds_load_u16_d16_hi v219, v240 offset:14320
	ds_load_u16_d16_hi v119, v240 offset:14736
	;; [unrolled: 1-line block ×3, first 2 shown]
	s_waitcnt lgkmcnt(17)
	ds_load_u16_d16_hi v220, v240 offset:14800
	v_wmma_f32_16x16x16_f16 v[104:111], v[146:153], v[40:47], v[104:111]
	s_waitcnt lgkmcnt(16)
	v_wmma_f32_16x16x16_f16 v[96:103], v[222:229], v[40:47], v[96:103]
	s_waitcnt lgkmcnt(6)
	v_wmma_f32_16x16x16_f16 v[88:95], v[154:161], v[40:47], v[88:95]
	v_mov_b32_e32 v161, v214
	ds_load_u16 v39, v246 offset:3360
	ds_load_u16 v32, v240 offset:11648
	;; [unrolled: 1-line block ×3, first 2 shown]
	s_waitcnt lgkmcnt(2)
	ds_load_u16_d16_hi v39, v240 offset:15248
	ds_load_u16_d16_hi v221, v240 offset:15280
	s_waitcnt lgkmcnt(3)
	ds_load_u16_d16_hi v32, v240 offset:11888
	s_waitcnt lgkmcnt(3)
	ds_load_u16_d16_hi v214, v240 offset:11920
	v_wmma_f32_16x16x16_f16 v[80:87], v[113:120], v[40:47], v[80:87]
	v_wmma_f32_16x16x16_f16 v[56:63], v[121:128], v[40:47], v[56:63]
	s_waitcnt lgkmcnt(1)
	v_wmma_f32_16x16x16_f16 v[72:79], v[32:39], v[40:47], v[72:79]
	s_clause 0x1
	scratch_load_b32 v38, off, off offset:260
	scratch_load_b64 v[32:33], off, off offset:252
	s_waitcnt lgkmcnt(0)
	v_wmma_f32_16x16x16_f16 v[64:71], v[214:221], v[40:47], v[64:71]
	s_clause 0xa
	scratch_load_b64 v[43:44], off, off offset:280
	scratch_load_b64 v[41:42], off, off offset:272
	;; [unrolled: 1-line block ×8, first 2 shown]
	scratch_load_b128 v[48:51], off, off offset:108
	scratch_load_b128 v[52:55], off, off offset:124
	scratch_load_b64 v[24:25], off, off offset:220
	v_dual_mov_b32 v45, v244 :: v_dual_mov_b32 v46, v245
	s_waitcnt vmcnt(0)
	s_barrier
	buffer_gl0_inv
	v_cmp_lt_i32_e32 vcc_lo, s63, v38
	s_cbranch_vccnz .LBB19_657
; %bb.658:
	s_clause 0x1f
	scratch_load_b32 v245, off, off offset:1212
	scratch_load_b64 v[236:237], off, off offset:912
	scratch_load_b32 v219, off, off offset:1216
	scratch_load_b32 v220, off, off offset:1220
	;; [unrolled: 1-line block ×25, first 2 shown]
	scratch_load_b128 v[120:123], off, off offset:12
	scratch_load_b128 v[124:127], off, off offset:28
	;; [unrolled: 1-line block ×5, first 2 shown]
	s_clause 0x11
	scratch_load_b128 v[140:143], off, off offset:92
	scratch_load_b32 v210, off, off offset:800
	scratch_load_b64 v[6:7], off, off offset:804
	scratch_load_b32 v8, off, off offset:836
	scratch_load_b32 v144, off, off offset:868
	;; [unrolled: 1-line block ×3, first 2 shown]
	scratch_load_b64 v[11:12], off, off offset:904
	scratch_load_b64 v[13:14], off, off offset:920
	scratch_load_b32 v15, off, off offset:928
	scratch_load_b32 v16, off, off offset:932
	;; [unrolled: 1-line block ×10, first 2 shown]
	v_lshlrev_b32_e32 v249, 1, v161
	v_mbcnt_lo_u32_b32 v209, -1, 0
	s_waitcnt vmcnt(49)
	v_dual_mov_b32 v211, 32 :: v_dual_add_nc_u32 v234, 60, v245
	v_add_nc_u32_e32 v224, 56, v245
	v_add_nc_u32_e32 v216, 36, v245
	;; [unrolled: 1-line block ×6, first 2 shown]
	v_and_b32_e32 v240, 15, v245
	v_add_nc_u32_e32 v241, 32, v245
	v_add_nc_u32_e32 v242, 12, v245
	;; [unrolled: 1-line block ×3, first 2 shown]
.LBB19_659:
	s_lshl_b32 s0, s63, 6
	v_lshlrev_b64 v[0:1], 1, v[45:46]
	s_ashr_i32 s1, s0, 31
	v_lshlrev_b64 v[2:3], 1, v[43:44]
	s_lshl_b64 s[2:3], s[0:1], 1
	s_mov_b32 s16, 0
	s_add_u32 s2, s14, s2
	s_addc_u32 s3, s15, s3
	s_waitcnt vmcnt(6)
	v_add_co_u32 v4, s2, s2, v19
	s_delay_alu instid0(VALU_DEP_1) | instskip(SKIP_1) | instid1(VALU_DEP_2)
	v_add_co_ci_u32_e64 v5, null, s3, 0, s2
	s_mov_b32 s17, s16
	v_add_co_u32 v0, vcc_lo, v4, v0
	s_delay_alu instid0(VALU_DEP_2)
	v_add_co_ci_u32_e32 v1, vcc_lo, v5, v1, vcc_lo
	v_add_co_u32 v112, vcc_lo, v4, v2
	v_add_co_ci_u32_e32 v113, vcc_lo, v5, v3, vcc_lo
	v_lshlrev_b64 v[2:3], 1, v[39:40]
	s_mov_b32 s18, s16
	s_mov_b32 s19, s16
	;; [unrolled: 1-line block ×5, first 2 shown]
	v_add_co_u32 v114, vcc_lo, v4, v2
	v_add_co_ci_u32_e32 v115, vcc_lo, v5, v3, vcc_lo
	v_lshlrev_b64 v[2:3], 1, v[41:42]
	s_mov_b32 s23, s16
	v_add_nc_u32_e32 v119, 0, v19
	s_mul_hi_u32 s2, s12, s0
	s_mul_i32 s3, s12, s1
	s_mul_i32 s4, s25, s0
	v_add_co_u32 v116, vcc_lo, v4, v2
	v_add_co_ci_u32_e32 v117, vcc_lo, v5, v3, vcc_lo
	s_clause 0x3
	global_load_b32 v0, v[0:1], off
	global_load_b32 v1, v[112:113], off
	;; [unrolled: 1-line block ×4, first 2 shown]
	v_add_nc_u32_e32 v4, v119, v17
	s_add_i32 s3, s2, s3
	s_mul_i32 s2, s12, s0
	s_add_i32 s3, s3, s4
	v_lshlrev_b64 v[117:118], 2, v[6:7]
	s_lshl_b64 s[2:3], s[2:3], 2
	v_lshlrev_b64 v[115:116], 2, v[11:12]
	s_add_u32 s2, s11, s2
	s_addc_u32 s3, s13, s3
	v_lshlrev_b64 v[113:114], 2, v[13:14]
	s_mul_i32 s1, s10, s1
	s_waitcnt vmcnt(3)
	ds_store_b32 v4, v0 offset:15360
	v_add_nc_u32_e32 v0, v119, v18
	s_waitcnt vmcnt(2)
	ds_store_b32 v0, v1 offset:15360
	v_add_nc_u32_e32 v0, v119, v34
	;; [unrolled: 3-line block ×3, first 2 shown]
	s_waitcnt vmcnt(0)
	ds_store_b32 v0, v3 offset:15360
	v_lshlrev_b32_e32 v0, 2, v6
	s_delay_alu instid0(VALU_DEP_1) | instskip(SKIP_1) | instid1(VALU_DEP_1)
	v_add3_u32 v146, 0, v9, v0
	v_lshlrev_b64 v[0:1], 2, v[20:21]
	v_add_co_u32 v2, vcc_lo, s2, v0
	s_delay_alu instid0(VALU_DEP_2) | instskip(SKIP_1) | instid1(VALU_DEP_1)
	v_add_co_ci_u32_e32 v3, vcc_lo, s3, v1, vcc_lo
	v_lshlrev_b64 v[0:1], 2, v[22:23]
	v_add_co_u32 v4, vcc_lo, s2, v0
	s_delay_alu instid0(VALU_DEP_2) | instskip(SKIP_2) | instid1(VALU_DEP_4)
	v_add_co_ci_u32_e32 v5, vcc_lo, s3, v1, vcc_lo
	v_add_co_u32 v0, vcc_lo, v2, v117
	v_add_co_ci_u32_e32 v1, vcc_lo, v3, v118, vcc_lo
	v_add_co_u32 v4, vcc_lo, v4, v115
	s_delay_alu instid0(VALU_DEP_4)
	v_add_co_ci_u32_e32 v5, vcc_lo, v5, v116, vcc_lo
	s_clause 0x1
	global_load_b128 v[0:3], v[0:1], off
	global_load_b128 v[4:7], v[4:5], off
	s_waitcnt vmcnt(1)
	ds_store_b128 v146, v[0:3]
	v_lshlrev_b32_e32 v0, 2, v11
	s_delay_alu instid0(VALU_DEP_1)
	v_add3_u32 v149, 0, v8, v0
	v_add3_u32 v148, 0, v16, v0
	v_lshlrev_b64 v[0:1], 2, v[24:25]
	v_lshlrev_b32_e32 v8, 2, v13
	s_waitcnt vmcnt(0)
	ds_store_b128 v149, v[4:7]
	v_add_co_u32 v2, vcc_lo, s2, v0
	v_add_co_ci_u32_e32 v3, vcc_lo, s3, v1, vcc_lo
	v_lshlrev_b64 v[0:1], 2, v[26:27]
	v_add3_u32 v150, 0, v15, v8
	v_add3_u32 v151, 0, v35, v8
	;; [unrolled: 1-line block ×4, first 2 shown]
	v_add_co_u32 v4, vcc_lo, s2, v0
	v_add_co_ci_u32_e32 v5, vcc_lo, s3, v1, vcc_lo
	v_add_co_u32 v0, vcc_lo, v2, v115
	v_add_co_ci_u32_e32 v1, vcc_lo, v3, v116, vcc_lo
	s_delay_alu instid0(VALU_DEP_4) | instskip(NEXT) | instid1(VALU_DEP_4)
	v_add_co_u32 v4, vcc_lo, v4, v113
	v_add_co_ci_u32_e32 v5, vcc_lo, v5, v114, vcc_lo
	s_clause 0x1
	global_load_b128 v[0:3], v[0:1], off
	global_load_b128 v[4:7], v[4:5], off
	s_waitcnt vmcnt(1)
	ds_store_b128 v148, v[0:3]
	v_lshlrev_b64 v[0:1], 2, v[28:29]
	s_waitcnt vmcnt(0)
	ds_store_b128 v150, v[4:7]
	v_add_co_u32 v2, vcc_lo, s2, v0
	v_add_co_ci_u32_e32 v3, vcc_lo, s3, v1, vcc_lo
	v_lshlrev_b64 v[0:1], 2, v[30:31]
	s_delay_alu instid0(VALU_DEP_1) | instskip(NEXT) | instid1(VALU_DEP_2)
	v_add_co_u32 v4, vcc_lo, s2, v0
	v_add_co_ci_u32_e32 v5, vcc_lo, s3, v1, vcc_lo
	v_add_co_u32 v0, vcc_lo, v2, v113
	v_add_co_ci_u32_e32 v1, vcc_lo, v3, v114, vcc_lo
	s_delay_alu instid0(VALU_DEP_4) | instskip(NEXT) | instid1(VALU_DEP_4)
	v_add_co_u32 v4, vcc_lo, v4, v113
	v_add_co_ci_u32_e32 v5, vcc_lo, v5, v114, vcc_lo
	s_clause 0x1
	global_load_b128 v[0:3], v[0:1], off
	global_load_b128 v[4:7], v[4:5], off
	s_waitcnt vmcnt(1)
	ds_store_b128 v151, v[0:3]
	v_lshlrev_b64 v[0:1], 2, v[32:33]
	s_waitcnt vmcnt(0)
	ds_store_b128 v152, v[4:7]
	v_dual_mov_b32 v39, s23 :: v_dual_mov_b32 v38, s22
	v_dual_mov_b32 v37, s21 :: v_dual_mov_b32 v36, s20
	v_add_co_u32 v0, vcc_lo, s2, v0
	v_add_co_ci_u32_e32 v1, vcc_lo, s3, v1, vcc_lo
	v_mov_b32_e32 v35, s19
	s_delay_alu instid0(VALU_DEP_3) | instskip(NEXT) | instid1(VALU_DEP_3)
	v_add_co_u32 v0, vcc_lo, v0, v113
	v_add_co_ci_u32_e32 v1, vcc_lo, v1, v114, vcc_lo
	v_dual_mov_b32 v34, s18 :: v_dual_mov_b32 v33, s17
	v_mov_b32_e32 v32, s16
	global_load_b128 v[0:3], v[0:1], off
	v_cmp_lt_i32_e32 vcc_lo, v210, v211
	s_mul_hi_u32 s2, s10, s0
	s_mul_i32 s3, s5, s0
	s_add_i32 s1, s2, s1
	s_mul_i32 s0, s10, s0
	s_add_i32 s1, s1, s3
	v_cmp_eq_u32_e64 s2, 0, v161
	s_lshl_b64 s[0:1], s[0:1], 2
	s_delay_alu instid0(SALU_CYCLE_1)
	s_add_u32 s0, s6, s0
	s_addc_u32 s1, s7, s1
	s_waitcnt vmcnt(0)
	ds_store_b128 v147, v[0:3]
	s_waitcnt lgkmcnt(0)
	s_barrier
	buffer_gl0_inv
	ds_load_b128 v[0:3], v243
	ds_load_b128 v[4:7], v243 offset:16
	ds_load_b128 v[8:11], v243 offset:3840
	;; [unrolled: 1-line block ×7, first 2 shown]
	s_waitcnt lgkmcnt(6)
	v_wmma_f32_16x16x16_f16 v[40:47], v[0:7], v[136:143], v[32:39]
	s_waitcnt lgkmcnt(4)
	v_wmma_f32_16x16x16_f16 v[0:7], v[8:15], v[136:143], v[32:39]
	;; [unrolled: 2-line block ×3, first 2 shown]
	ds_load_b128 v[16:19], v243 offset:32
	ds_load_b128 v[20:23], v243 offset:48
	s_waitcnt lgkmcnt(2)
	v_wmma_f32_16x16x16_f16 v[32:39], v[24:31], v[136:143], v[32:39]
	s_waitcnt lgkmcnt(0)
	v_wmma_f32_16x16x16_f16 v[40:47], v[16:23], v[201:208], v[40:47]
	ds_load_b128 v[16:19], v243 offset:3872
	ds_load_b128 v[20:23], v243 offset:3888
	s_waitcnt lgkmcnt(0)
	v_wmma_f32_16x16x16_f16 v[0:7], v[16:23], v[201:208], v[0:7]
	ds_load_b128 v[16:19], v243 offset:7712
	ds_load_b128 v[20:23], v243 offset:7728
	;; [unrolled: 4-line block ×23, first 2 shown]
	s_waitcnt lgkmcnt(0)
	s_barrier
	buffer_gl0_inv
	v_wmma_f32_16x16x16_f16 v[32:39], v[16:23], v[183:190], v[32:39]
	v_add3_u32 v16, 0, v144, v249
	ds_load_u16 v17, v16 offset:15360
	ds_load_u16 v18, v16 offset:15364
	ds_load_u16 v19, v16 offset:15368
	ds_load_u16 v20, v16 offset:15372
	ds_load_u16 v21, v16 offset:15376
	ds_load_u16 v22, v16 offset:15380
	ds_load_u16 v23, v16 offset:15384
	ds_load_u16 v24, v16 offset:15388
	s_waitcnt lgkmcnt(7)
	v_cvt_f32_f16_e32 v17, v17
	s_waitcnt lgkmcnt(6)
	v_cvt_f32_f16_e32 v18, v18
	s_waitcnt lgkmcnt(5)
	v_cvt_f32_f16_e32 v19, v19
	s_waitcnt lgkmcnt(4)
	v_cvt_f32_f16_e32 v20, v20
	s_waitcnt lgkmcnt(3)
	v_cvt_f32_f16_e32 v21, v21
	s_waitcnt lgkmcnt(2)
	v_cvt_f32_f16_e32 v22, v22
	s_waitcnt lgkmcnt(1)
	v_cvt_f32_f16_e32 v23, v23
	s_waitcnt lgkmcnt(0)
	v_cvt_f32_f16_e32 v24, v24
	v_dual_add_f32 v160, v40, v17 :: v_dual_add_f32 v159, v41, v18
	v_dual_add_f32 v158, v42, v19 :: v_dual_add_f32 v157, v43, v20
	v_dual_add_f32 v156, v44, v21 :: v_dual_add_f32 v155, v45, v22
	s_delay_alu instid0(VALU_DEP_4)
	v_dual_add_f32 v154, v46, v23 :: v_dual_add_f32 v153, v47, v24
	ds_load_u16 v17, v16 offset:15392
	ds_load_u16 v18, v16 offset:15396
	ds_load_u16 v19, v16 offset:15400
	ds_load_u16 v20, v16 offset:15404
	ds_load_u16 v21, v16 offset:15408
	ds_load_u16 v22, v16 offset:15412
	ds_load_u16 v23, v16 offset:15416
	ds_load_u16 v24, v16 offset:15420
	s_waitcnt lgkmcnt(7)
	v_cvt_f32_f16_e32 v17, v17
	s_waitcnt lgkmcnt(6)
	v_cvt_f32_f16_e32 v18, v18
	s_waitcnt lgkmcnt(5)
	v_cvt_f32_f16_e32 v19, v19
	s_waitcnt lgkmcnt(4)
	v_cvt_f32_f16_e32 v20, v20
	s_waitcnt lgkmcnt(3)
	v_cvt_f32_f16_e32 v21, v21
	s_waitcnt lgkmcnt(2)
	v_cvt_f32_f16_e32 v22, v22
	s_waitcnt lgkmcnt(1)
	v_cvt_f32_f16_e32 v23, v23
	s_waitcnt lgkmcnt(0)
	v_cvt_f32_f16_e32 v24, v24
	v_dual_add_f32 v144, v0, v17 :: v_dual_add_f32 v145, v1, v18
	v_dual_add_f32 v143, v2, v19 :: v_dual_add_f32 v142, v3, v20
	v_dual_add_f32 v141, v4, v21 :: v_dual_add_f32 v140, v5, v22
	s_delay_alu instid0(VALU_DEP_4)
	v_dual_add_f32 v139, v6, v23 :: v_dual_add_f32 v138, v7, v24
	;; [unrolled: 29-line block ×3, first 2 shown]
	ds_load_u16 v0, v16 offset:15456
	ds_load_u16 v1, v16 offset:15460
	;; [unrolled: 1-line block ×8, first 2 shown]
	s_waitcnt lgkmcnt(7)
	v_cvt_f32_f16_e32 v0, v0
	s_waitcnt lgkmcnt(6)
	v_cvt_f32_f16_e32 v1, v1
	;; [unrolled: 2-line block ×5, first 2 shown]
	v_dual_add_f32 v127, v32, v0 :: v_dual_add_f32 v128, v33, v1
	v_dual_add_f32 v0, 0x40051340, v160 :: v_dual_add_f32 v1, 0x40051340, v159
	v_add_f32_e32 v126, v34, v2
	v_dual_add_f32 v2, 0x40051340, v157 :: v_dual_add_f32 v125, v35, v3
	v_add_f32_e32 v124, v36, v4
	s_delay_alu instid0(VALU_DEP_4)
	v_max3_f32 v0, v232, v0, v1
	v_add_f32_e32 v1, 0x40051340, v158
	s_waitcnt lgkmcnt(2)
	v_cvt_f32_f16_e32 v5, v5
	s_waitcnt lgkmcnt(1)
	v_cvt_f32_f16_e32 v6, v6
	;; [unrolled: 2-line block ×3, first 2 shown]
	v_max3_f32 v0, v0, v1, v2
	v_dual_add_f32 v1, 0x40051340, v156 :: v_dual_add_f32 v2, 0x40051340, v155
	v_dual_add_f32 v123, v37, v5 :: v_dual_add_f32 v122, v38, v6
	s_delay_alu instid0(VALU_DEP_4) | instskip(NEXT) | instid1(VALU_DEP_3)
	v_add_f32_e32 v121, v39, v7
	v_max3_f32 v0, v0, v1, v2
	v_dual_add_f32 v1, 0x40051340, v154 :: v_dual_add_f32 v2, 0x40051340, v153
	s_delay_alu instid0(VALU_DEP_1) | instskip(SKIP_1) | instid1(VALU_DEP_1)
	v_max3_f32 v0, v0, v1, v2
	v_dual_add_f32 v1, 0x40051340, v144 :: v_dual_add_f32 v2, 0x40051340, v145
	v_max3_f32 v0, v0, v1, v2
	v_dual_add_f32 v1, 0x40051340, v143 :: v_dual_add_f32 v2, 0x40051340, v142
	s_delay_alu instid0(VALU_DEP_1) | instskip(SKIP_1) | instid1(VALU_DEP_1)
	v_max3_f32 v0, v0, v1, v2
	v_dual_add_f32 v1, 0x40051340, v141 :: v_dual_add_f32 v2, 0x40051340, v140
	;; [unrolled: 5-line block ×6, first 2 shown]
	v_max3_f32 v0, v0, v1, v2
	v_dual_add_f32 v1, 0x40051340, v122 :: v_dual_add_f32 v2, 0x40051340, v121
	s_delay_alu instid0(VALU_DEP_1) | instskip(SKIP_1) | instid1(VALU_DEP_1)
	v_max3_f32 v0, v0, v1, v2
	v_cndmask_b32_e32 v1, v209, v210, vcc_lo
	v_lshlrev_b32_e32 v120, 2, v1
	ds_bpermute_b32 v1, v120, v0
	s_waitcnt lgkmcnt(0)
	v_max_f32_e32 v1, v1, v1
	s_delay_alu instid0(VALU_DEP_1) | instskip(NEXT) | instid1(VALU_DEP_1)
	v_max_f32_e32 v112, v0, v1
	v_sub_f32_e32 v0, v232, v112
	s_delay_alu instid0(VALU_DEP_1) | instskip(SKIP_1) | instid1(VALU_DEP_2)
	v_mul_f32_e32 v1, 0x3fb8aa3b, v0
	v_cmp_ngt_f32_e32 vcc_lo, 0xc2ce8ed0, v0
	v_fma_f32 v2, 0x3fb8aa3b, v0, -v1
	v_rndne_f32_e32 v3, v1
	s_delay_alu instid0(VALU_DEP_1) | instskip(NEXT) | instid1(VALU_DEP_1)
	v_dual_fmac_f32 v2, 0x32a5705f, v0 :: v_dual_sub_f32 v1, v1, v3
	v_add_f32_e32 v1, v1, v2
	v_cvt_i32_f32_e32 v2, v3
	s_delay_alu instid0(VALU_DEP_2) | instskip(SKIP_2) | instid1(VALU_DEP_1)
	v_exp_f32_e32 v1, v1
	s_waitcnt_depctr 0xfff
	v_ldexp_f32 v1, v1, v2
	v_cndmask_b32_e32 v1, 0, v1, vcc_lo
	v_cmp_nlt_f32_e32 vcc_lo, 0x42b17218, v0
	s_delay_alu instid0(VALU_DEP_2) | instskip(SKIP_1) | instid1(VALU_DEP_2)
	v_cndmask_b32_e32 v1, 0x7f800000, v1, vcc_lo
	v_cmp_le_f32_e32 vcc_lo, 0xc1a00000, v0
	v_cndmask_b32_e32 v129, 0, v1, vcc_lo
	s_delay_alu instid0(VALU_DEP_1)
	v_mul_f32_e32 v0, v56, v129
	v_mul_f32_e32 v1, v57, v129
	v_lshlrev_b64 v[56:57], 2, v[251:252]
	v_mul_f32_e32 v2, v58, v129
	v_mul_f32_e32 v3, v59, v129
	v_lshlrev_b64 v[58:59], 2, v[173:174]
	v_mul_f32_e32 v4, v60, v129
	v_mul_f32_e32 v5, v61, v129
	v_add_co_u32 v56, vcc_lo, s0, v56
	v_add_co_ci_u32_e32 v57, vcc_lo, s1, v57, vcc_lo
	v_mul_f32_e32 v6, v62, v129
	s_delay_alu instid0(VALU_DEP_3) | instskip(NEXT) | instid1(VALU_DEP_3)
	v_add_co_u32 v56, vcc_lo, v56, v117
	v_add_co_ci_u32_e32 v57, vcc_lo, v57, v118, vcc_lo
	v_add_co_u32 v58, vcc_lo, s0, v58
	v_add_co_ci_u32_e32 v59, vcc_lo, s1, v59, vcc_lo
	v_mul_f32_e32 v7, v63, v129
	s_delay_alu instid0(VALU_DEP_3) | instskip(NEXT) | instid1(VALU_DEP_3)
	v_add_co_u32 v60, vcc_lo, v58, v115
	v_add_co_ci_u32_e32 v61, vcc_lo, v59, v116, vcc_lo
	s_clause 0x1
	global_load_b128 v[56:59], v[56:57], off
	global_load_b128 v[60:63], v[60:61], off
	v_mul_f32_e32 v49, v105, v129
	v_mul_f32_e32 v50, v106, v129
	;; [unrolled: 1-line block ×18, first 2 shown]
	v_lshl_add_u32 v99, v166, 1, 0
	v_mul_f32_e32 v16, v72, v129
	v_mul_f32_e32 v22, v78, v129
	;; [unrolled: 1-line block ×3, first 2 shown]
	s_waitcnt vmcnt(1)
	ds_store_b128 v146, v[56:59]
	s_waitcnt vmcnt(0)
	ds_store_b128 v149, v[60:63]
	v_lshlrev_b64 v[56:57], 2, v[179:180]
	v_lshlrev_b64 v[58:59], 2, v[169:170]
	s_delay_alu instid0(VALU_DEP_2) | instskip(NEXT) | instid1(VALU_DEP_3)
	v_add_co_u32 v56, vcc_lo, s0, v56
	v_add_co_ci_u32_e32 v57, vcc_lo, s1, v57, vcc_lo
	s_delay_alu instid0(VALU_DEP_2) | instskip(NEXT) | instid1(VALU_DEP_2)
	v_add_co_u32 v56, vcc_lo, v56, v115
	v_add_co_ci_u32_e32 v57, vcc_lo, v57, v116, vcc_lo
	v_add_co_u32 v58, vcc_lo, s0, v58
	v_add_co_ci_u32_e32 v59, vcc_lo, s1, v59, vcc_lo
	v_lshl_add_u32 v116, v225, 1, 0
	s_delay_alu instid0(VALU_DEP_3) | instskip(NEXT) | instid1(VALU_DEP_3)
	v_add_co_u32 v60, vcc_lo, v58, v113
	v_add_co_ci_u32_e32 v61, vcc_lo, v59, v114, vcc_lo
	s_clause 0x1
	global_load_b128 v[56:59], v[56:57], off
	global_load_b128 v[60:63], v[60:61], off
	v_lshl_add_u32 v115, v162, 1, 0
	s_waitcnt vmcnt(1)
	ds_store_b128 v148, v[56:59]
	s_waitcnt vmcnt(0)
	ds_store_b128 v150, v[60:63]
	v_lshlrev_b64 v[56:57], 2, v[171:172]
	s_delay_alu instid0(VALU_DEP_1) | instskip(NEXT) | instid1(VALU_DEP_2)
	v_add_co_u32 v58, vcc_lo, s0, v56
	v_add_co_ci_u32_e32 v59, vcc_lo, s1, v57, vcc_lo
	v_lshlrev_b64 v[56:57], 2, v[175:176]
	s_delay_alu instid0(VALU_DEP_1) | instskip(NEXT) | instid1(VALU_DEP_2)
	v_add_co_u32 v60, vcc_lo, s0, v56
	v_add_co_ci_u32_e32 v61, vcc_lo, s1, v57, vcc_lo
	v_add_co_u32 v56, vcc_lo, v58, v113
	v_add_co_ci_u32_e32 v57, vcc_lo, v59, v114, vcc_lo
	s_delay_alu instid0(VALU_DEP_4) | instskip(NEXT) | instid1(VALU_DEP_4)
	v_add_co_u32 v60, vcc_lo, v60, v113
	v_add_co_ci_u32_e32 v61, vcc_lo, v61, v114, vcc_lo
	s_clause 0x1
	global_load_b128 v[56:59], v[56:57], off
	global_load_b128 v[60:63], v[60:61], off
	s_waitcnt vmcnt(1)
	ds_store_b128 v151, v[56:59]
	s_waitcnt vmcnt(0)
	ds_store_b128 v152, v[60:63]
	v_lshlrev_b64 v[56:57], 2, v[177:178]
	s_delay_alu instid0(VALU_DEP_1) | instskip(NEXT) | instid1(VALU_DEP_2)
	v_add_co_u32 v56, vcc_lo, s0, v56
	v_add_co_ci_u32_e32 v57, vcc_lo, s1, v57, vcc_lo
	v_cmp_eq_u32_e64 s0, 0, v181
	s_delay_alu instid0(VALU_DEP_3) | instskip(NEXT) | instid1(VALU_DEP_3)
	v_add_co_u32 v56, vcc_lo, v56, v113
	v_add_co_ci_u32_e32 v57, vcc_lo, v57, v114, vcc_lo
	v_lshl_add_u32 v114, v167, 1, 0
	v_lshl_add_u32 v113, v165, 1, 0
	global_load_b128 v[56:59], v[56:57], off
	s_waitcnt vmcnt(0)
	ds_store_b128 v147, v[56:59]
	v_sub_f32_e32 v56, v160, v112
	v_mul_f32_e32 v48, v104, v129
	s_waitcnt lgkmcnt(0)
	s_barrier
	buffer_gl0_inv
	v_mul_f32_e32 v57, 0x3fb8aa3b, v56
	v_cmp_ngt_f32_e32 vcc_lo, 0xc2ce8ed0, v56
	s_delay_alu instid0(VALU_DEP_2) | instskip(SKIP_1) | instid1(VALU_DEP_2)
	v_fma_f32 v58, 0x3fb8aa3b, v56, -v57
	v_rndne_f32_e32 v59, v57
	v_dual_mul_f32 v51, v107, v129 :: v_dual_fmac_f32 v58, 0x32a5705f, v56
	s_delay_alu instid0(VALU_DEP_2) | instskip(NEXT) | instid1(VALU_DEP_1)
	v_sub_f32_e32 v57, v57, v59
	v_add_f32_e32 v57, v57, v58
	v_cvt_i32_f32_e32 v58, v59
	s_delay_alu instid0(VALU_DEP_2) | instskip(SKIP_2) | instid1(VALU_DEP_1)
	v_exp_f32_e32 v57, v57
	s_waitcnt_depctr 0xfff
	v_ldexp_f32 v57, v57, v58
	v_cndmask_b32_e32 v57, 0, v57, vcc_lo
	v_cmp_nlt_f32_e32 vcc_lo, 0x42b17218, v56
	s_delay_alu instid0(VALU_DEP_2)
	v_dual_cndmask_b32 v102, 0x7f800000, v57 :: v_dual_sub_f32 v57, v159, v112
	v_cmp_eq_u32_e32 vcc_lo, 1, v181
	v_mul_f32_e32 v47, v103, v129
	v_mul_f32_e32 v15, v71, v129
	ds_bpermute_b32 v56, v120, v102
	v_mul_f32_e32 v58, 0x3fb8aa3b, v57
	v_cmp_ngt_f32_e64 s1, 0xc2ce8ed0, v57
	v_mul_f32_e32 v52, v108, v129
	s_delay_alu instid0(VALU_DEP_3) | instskip(SKIP_2) | instid1(VALU_DEP_2)
	v_fma_f32 v59, 0x3fb8aa3b, v57, -v58
	v_rndne_f32_e32 v60, v58
	v_mul_f32_e32 v53, v109, v129
	v_dual_fmac_f32 v59, 0x32a5705f, v57 :: v_dual_sub_f32 v58, v58, v60
	v_mul_f32_e32 v55, v111, v129
	v_lshl_add_u32 v111, v164, 1, 0
	s_delay_alu instid0(VALU_DEP_3) | instskip(SKIP_1) | instid1(VALU_DEP_2)
	v_add_f32_e32 v58, v58, v59
	v_cvt_i32_f32_e32 v59, v60
	v_exp_f32_e32 v58, v58
	s_waitcnt_depctr 0xfff
	v_ldexp_f32 v58, v58, v59
	s_delay_alu instid0(VALU_DEP_1) | instskip(SKIP_4) | instid1(VALU_DEP_3)
	v_cndmask_b32_e64 v58, 0, v58, s1
	v_cmp_nlt_f32_e64 s1, 0x42b17218, v57
	s_waitcnt lgkmcnt(0)
	v_cndmask_b32_e32 v57, v102, v56, vcc_lo
	v_cndmask_b32_e64 v56, v102, v56, s0
	v_cndmask_b32_e64 v103, 0x7f800000, v58, s1
	v_cmp_eq_u32_e64 s1, 1, v161
	ds_bpermute_b32 v58, v120, v103
	v_cndmask_b32_e64 v59, v56, v103, s2
	v_cndmask_b32_e64 v60, v57, v103, s1
	v_mul_f32_e32 v41, v97, v129
	v_cvt_f16_f32_e32 v56, v56
	v_cvt_f16_f32_e32 v57, v57
	v_lshl_add_u32 v97, v163, 1, 0
	s_delay_alu instid0(VALU_DEP_2) | instskip(SKIP_3) | instid1(VALU_DEP_2)
	v_pack_b32_f16 v56, v56, v57
	s_waitcnt lgkmcnt(0)
	v_cndmask_b32_e64 v59, v59, v58, s0
	v_cndmask_b32_e32 v58, v60, v58, vcc_lo
	v_cvt_f16_f32_e32 v60, v59
	s_delay_alu instid0(VALU_DEP_2) | instskip(NEXT) | instid1(VALU_DEP_1)
	v_cvt_f16_f32_e32 v61, v58
	v_pack_b32_f16 v57, v60, v61
	v_sub_f32_e32 v60, v158, v112
	v_mul_f32_e32 v54, v110, v129
	v_lshl_add_u32 v110, v168, 1, 0
	s_delay_alu instid0(VALU_DEP_3) | instskip(SKIP_1) | instid1(VALU_DEP_2)
	v_mul_f32_e32 v61, 0x3fb8aa3b, v60
	v_cmp_ngt_f32_e64 s3, 0xc2ce8ed0, v60
	v_fma_f32 v62, 0x3fb8aa3b, v60, -v61
	v_rndne_f32_e32 v63, v61
	v_mul_f32_e32 v40, v96, v129
	s_delay_alu instid0(VALU_DEP_3) | instskip(NEXT) | instid1(VALU_DEP_3)
	v_dual_mul_f32 v45, v101, v129 :: v_dual_fmac_f32 v62, 0x32a5705f, v60
	v_dual_sub_f32 v61, v61, v63 :: v_dual_mul_f32 v42, v98, v129
	s_delay_alu instid0(VALU_DEP_1) | instskip(SKIP_1) | instid1(VALU_DEP_2)
	v_add_f32_e32 v61, v61, v62
	v_cvt_i32_f32_e32 v62, v63
	v_exp_f32_e32 v61, v61
	s_waitcnt_depctr 0xfff
	v_ldexp_f32 v61, v61, v62
	s_delay_alu instid0(VALU_DEP_1) | instskip(SKIP_1) | instid1(VALU_DEP_1)
	v_cndmask_b32_e64 v61, 0, v61, s3
	v_cmp_nlt_f32_e64 s3, 0x42b17218, v60
	v_cndmask_b32_e64 v104, 0x7f800000, v61, s3
	ds_bpermute_b32 v60, v120, v104
	v_cndmask_b32_e64 v59, v59, v104, s2
	v_cndmask_b32_e64 v58, v58, v104, s1
	s_waitcnt lgkmcnt(0)
	s_delay_alu instid0(VALU_DEP_2) | instskip(NEXT) | instid1(VALU_DEP_2)
	v_cndmask_b32_e64 v59, v59, v60, s0
	v_cndmask_b32_e32 v60, v58, v60, vcc_lo
	s_delay_alu instid0(VALU_DEP_2) | instskip(NEXT) | instid1(VALU_DEP_2)
	v_cvt_f16_f32_e32 v58, v59
	v_cvt_f16_f32_e32 v61, v60
	s_delay_alu instid0(VALU_DEP_1) | instskip(SKIP_1) | instid1(VALU_DEP_1)
	v_pack_b32_f16 v58, v58, v61
	v_sub_f32_e32 v61, v157, v112
	v_mul_f32_e32 v62, 0x3fb8aa3b, v61
	v_cmp_ngt_f32_e64 s3, 0xc2ce8ed0, v61
	s_delay_alu instid0(VALU_DEP_2) | instskip(SKIP_2) | instid1(VALU_DEP_2)
	v_fma_f32 v63, 0x3fb8aa3b, v61, -v62
	v_rndne_f32_e32 v64, v62
	v_mul_f32_e32 v33, v89, v129
	v_dual_fmac_f32 v63, 0x32a5705f, v61 :: v_dual_sub_f32 v62, v62, v64
	s_delay_alu instid0(VALU_DEP_1) | instskip(SKIP_1) | instid1(VALU_DEP_2)
	v_dual_mul_f32 v35, v91, v129 :: v_dual_add_f32 v62, v62, v63
	v_cvt_i32_f32_e32 v63, v64
	v_exp_f32_e32 v62, v62
	s_waitcnt_depctr 0xfff
	v_ldexp_f32 v62, v62, v63
	s_delay_alu instid0(VALU_DEP_1) | instskip(SKIP_1) | instid1(VALU_DEP_1)
	v_cndmask_b32_e64 v62, 0, v62, s3
	v_cmp_nlt_f32_e64 s3, 0x42b17218, v61
	v_cndmask_b32_e64 v105, 0x7f800000, v62, s3
	ds_bpermute_b32 v61, v120, v105
	v_cndmask_b32_e64 v59, v59, v105, s2
	v_cndmask_b32_e64 v60, v60, v105, s1
	s_waitcnt lgkmcnt(0)
	s_delay_alu instid0(VALU_DEP_2) | instskip(NEXT) | instid1(VALU_DEP_2)
	v_cndmask_b32_e64 v62, v59, v61, s0
	v_cndmask_b32_e32 v60, v60, v61, vcc_lo
	s_delay_alu instid0(VALU_DEP_2) | instskip(NEXT) | instid1(VALU_DEP_2)
	v_cvt_f16_f32_e32 v59, v62
	v_cvt_f16_f32_e32 v61, v60
	s_delay_alu instid0(VALU_DEP_1) | instskip(SKIP_1) | instid1(VALU_DEP_1)
	v_pack_b32_f16 v59, v59, v61
	v_sub_f32_e32 v61, v156, v112
	v_mul_f32_e32 v63, 0x3fb8aa3b, v61
	v_cmp_ngt_f32_e64 s3, 0xc2ce8ed0, v61
	s_delay_alu instid0(VALU_DEP_2) | instskip(SKIP_1) | instid1(VALU_DEP_2)
	v_fma_f32 v64, 0x3fb8aa3b, v61, -v63
	v_rndne_f32_e32 v65, v63
	v_fmac_f32_e32 v64, 0x32a5705f, v61
	s_delay_alu instid0(VALU_DEP_2) | instskip(NEXT) | instid1(VALU_DEP_1)
	v_sub_f32_e32 v63, v63, v65
	v_dual_mul_f32 v32, v88, v129 :: v_dual_add_f32 v63, v63, v64
	v_cvt_i32_f32_e32 v64, v65
	s_delay_alu instid0(VALU_DEP_2) | instskip(SKIP_2) | instid1(VALU_DEP_1)
	v_exp_f32_e32 v63, v63
	s_waitcnt_depctr 0xfff
	v_ldexp_f32 v63, v63, v64
	v_cndmask_b32_e64 v63, 0, v63, s3
	v_cmp_nlt_f32_e64 s3, 0x42b17218, v61
	s_delay_alu instid0(VALU_DEP_1) | instskip(NEXT) | instid1(VALU_DEP_1)
	v_cndmask_b32_e64 v106, 0x7f800000, v63, s3
	v_cndmask_b32_e64 v61, v62, v106, s2
	ds_bpermute_b32 v62, v120, v106
	v_cndmask_b32_e64 v60, v60, v106, s1
	v_mul_f32_e32 v37, v93, v129
	s_waitcnt lgkmcnt(0)
	v_cndmask_b32_e64 v61, v61, v62, s0
	s_delay_alu instid0(VALU_DEP_3) | instskip(NEXT) | instid1(VALU_DEP_2)
	v_cndmask_b32_e32 v62, v60, v62, vcc_lo
	v_cvt_f16_f32_e32 v60, v61
	s_delay_alu instid0(VALU_DEP_2) | instskip(NEXT) | instid1(VALU_DEP_1)
	v_cvt_f16_f32_e32 v63, v62
	v_pack_b32_f16 v60, v60, v63
	v_sub_f32_e32 v63, v155, v112
	s_delay_alu instid0(VALU_DEP_1) | instskip(SKIP_1) | instid1(VALU_DEP_2)
	v_dual_mul_f32 v39, v95, v129 :: v_dual_mul_f32 v64, 0x3fb8aa3b, v63
	v_cmp_ngt_f32_e64 s3, 0xc2ce8ed0, v63
	v_fma_f32 v65, 0x3fb8aa3b, v63, -v64
	v_rndne_f32_e32 v66, v64
	v_mul_f32_e32 v36, v92, v129
	v_mul_f32_e32 v25, v81, v129
	s_delay_alu instid0(VALU_DEP_3) | instskip(NEXT) | instid1(VALU_DEP_1)
	v_dual_fmac_f32 v65, 0x32a5705f, v63 :: v_dual_sub_f32 v64, v64, v66
	v_add_f32_e32 v64, v64, v65
	v_cvt_i32_f32_e32 v65, v66
	s_delay_alu instid0(VALU_DEP_2) | instskip(SKIP_2) | instid1(VALU_DEP_1)
	v_exp_f32_e32 v64, v64
	s_waitcnt_depctr 0xfff
	v_ldexp_f32 v64, v64, v65
	v_cndmask_b32_e64 v64, 0, v64, s3
	v_cmp_nlt_f32_e64 s3, 0x42b17218, v63
	s_delay_alu instid0(VALU_DEP_1) | instskip(SKIP_4) | instid1(VALU_DEP_2)
	v_cndmask_b32_e64 v107, 0x7f800000, v64, s3
	ds_bpermute_b32 v63, v120, v107
	v_cndmask_b32_e64 v62, v62, v107, s1
	v_cndmask_b32_e64 v61, v61, v107, s2
	s_waitcnt lgkmcnt(0)
	v_dual_mul_f32 v27, v83, v129 :: v_dual_cndmask_b32 v62, v62, v63
	s_delay_alu instid0(VALU_DEP_2) | instskip(NEXT) | instid1(VALU_DEP_2)
	v_cndmask_b32_e64 v64, v61, v63, s0
	v_cvt_f16_f32_e32 v63, v62
	s_delay_alu instid0(VALU_DEP_2) | instskip(NEXT) | instid1(VALU_DEP_1)
	v_cvt_f16_f32_e32 v61, v64
	v_pack_b32_f16 v61, v61, v63
	v_sub_f32_e32 v63, v154, v112
	s_delay_alu instid0(VALU_DEP_1) | instskip(SKIP_1) | instid1(VALU_DEP_2)
	v_dual_mul_f32 v38, v94, v129 :: v_dual_mul_f32 v65, 0x3fb8aa3b, v63
	v_cmp_ngt_f32_e64 s3, 0xc2ce8ed0, v63
	v_fma_f32 v66, 0x3fb8aa3b, v63, -v65
	v_rndne_f32_e32 v67, v65
	v_mul_f32_e32 v26, v82, v129
	s_delay_alu instid0(VALU_DEP_3) | instskip(NEXT) | instid1(VALU_DEP_3)
	v_dual_mul_f32 v29, v85, v129 :: v_dual_fmac_f32 v66, 0x32a5705f, v63
	v_dual_sub_f32 v65, v65, v67 :: v_dual_mul_f32 v28, v84, v129
	s_delay_alu instid0(VALU_DEP_1) | instskip(SKIP_1) | instid1(VALU_DEP_2)
	v_add_f32_e32 v65, v65, v66
	v_cvt_i32_f32_e32 v66, v67
	v_exp_f32_e32 v65, v65
	s_waitcnt_depctr 0xfff
	v_ldexp_f32 v65, v65, v66
	s_delay_alu instid0(VALU_DEP_1) | instskip(SKIP_1) | instid1(VALU_DEP_1)
	v_cndmask_b32_e64 v65, 0, v65, s3
	v_cmp_nlt_f32_e64 s3, 0x42b17218, v63
	v_cndmask_b32_e64 v108, 0x7f800000, v65, s3
	s_delay_alu instid0(VALU_DEP_1)
	v_cndmask_b32_e64 v63, v64, v108, s2
	ds_bpermute_b32 v64, v120, v108
	v_cndmask_b32_e64 v62, v62, v108, s1
	v_mul_f32_e32 v31, v87, v129
	s_waitcnt lgkmcnt(0)
	v_cndmask_b32_e64 v63, v63, v64, s0
	s_delay_alu instid0(VALU_DEP_3) | instskip(NEXT) | instid1(VALU_DEP_2)
	v_cndmask_b32_e32 v64, v62, v64, vcc_lo
	v_cvt_f16_f32_e32 v62, v63
	s_delay_alu instid0(VALU_DEP_2) | instskip(NEXT) | instid1(VALU_DEP_1)
	v_cvt_f16_f32_e32 v65, v64
	v_pack_b32_f16 v62, v62, v65
	v_sub_f32_e32 v65, v153, v112
	s_delay_alu instid0(VALU_DEP_1) | instskip(SKIP_1) | instid1(VALU_DEP_2)
	v_mul_f32_e32 v66, 0x3fb8aa3b, v65
	v_cmp_ngt_f32_e64 s3, 0xc2ce8ed0, v65
	v_fma_f32 v67, 0x3fb8aa3b, v65, -v66
	v_rndne_f32_e32 v68, v66
	v_mul_f32_e32 v17, v73, v129
	s_delay_alu instid0(VALU_DEP_2) | instskip(NEXT) | instid1(VALU_DEP_1)
	v_dual_fmac_f32 v67, 0x32a5705f, v65 :: v_dual_sub_f32 v66, v66, v68
	v_dual_mul_f32 v19, v75, v129 :: v_dual_add_f32 v66, v66, v67
	v_cvt_i32_f32_e32 v67, v68
	s_delay_alu instid0(VALU_DEP_2) | instskip(SKIP_2) | instid1(VALU_DEP_1)
	v_exp_f32_e32 v66, v66
	s_waitcnt_depctr 0xfff
	v_ldexp_f32 v66, v66, v67
	v_cndmask_b32_e64 v66, 0, v66, s3
	v_cmp_nlt_f32_e64 s3, 0x42b17218, v65
	s_delay_alu instid0(VALU_DEP_1)
	v_cndmask_b32_e64 v109, 0x7f800000, v66, s3
	ds_load_u16 v71, v114
	ds_load_u16 v66, v111
	ds_load_u16 v79, v114 offset:32
	ds_load_u16 v74, v111 offset:32
	;; [unrolled: 1-line block ×4, first 2 shown]
	ds_bpermute_b32 v65, v120, v109
	v_cndmask_b32_e64 v64, v64, v109, s1
	v_cndmask_b32_e64 v63, v63, v109, s2
	s_waitcnt lgkmcnt(0)
	s_delay_alu instid0(VALU_DEP_1) | instskip(NEXT) | instid1(VALU_DEP_3)
	v_cndmask_b32_e64 v63, v63, v65, s0
	v_cndmask_b32_e32 v64, v64, v65, vcc_lo
	ds_load_u16 v95, v114 offset:96
	ds_load_u16 v100, v110 offset:11712
	ds_load_u16_d16_hi v71, v116 offset:3600
	ds_load_u16 v67, v97
	ds_load_u16 v75, v97 offset:32
	ds_load_u16 v83, v97 offset:64
	;; [unrolled: 1-line block ×8, first 2 shown]
	ds_load_u16_d16_hi v74, v116 offset:1232
	ds_load_u16_d16_hi v82, v116 offset:1264
	ds_load_u16 v69, v99
	ds_load_u16 v77, v99 offset:32
	ds_load_u16 v85, v99 offset:64
	ds_load_u16 v93, v99 offset:96
	ds_load_u16 v65, v115
	ds_load_u16 v73, v115 offset:32
	ds_load_u16 v81, v115 offset:64
	ds_load_u16 v89, v115 offset:96
	;; [unrolled: 4-line block ×3, first 2 shown]
	ds_load_u16 v150, v113 offset:128
	ds_load_u16 v101, v114 offset:11712
	v_cvt_f16_f32_e32 v63, v63
	v_cvt_f16_f32_e32 v64, v64
	s_delay_alu instid0(VALU_DEP_1)
	v_pack_b32_f16 v63, v63, v64
	s_waitcnt lgkmcnt(23)
	ds_load_u16_d16_hi v75, v116 offset:1712
	s_waitcnt lgkmcnt(23)
	ds_load_u16_d16_hi v83, v116 offset:1744
	;; [unrolled: 2-line block ×3, first 2 shown]
	ds_load_u16 v64, v116
	ds_load_u16 v72, v116 offset:32
	ds_load_u16 v80, v116 offset:64
	;; [unrolled: 1-line block ×5, first 2 shown]
	s_waitcnt lgkmcnt(21)
	ds_load_u16_d16_hi v77, v116 offset:2672
	s_waitcnt lgkmcnt(21)
	ds_load_u16_d16_hi v85, v116 offset:2704
	;; [unrolled: 2-line block ×3, first 2 shown]
	ds_load_u16 v151, v99 offset:128
	ds_load_u16 v159, v99 offset:160
	;; [unrolled: 1-line block ×5, first 2 shown]
	s_waitcnt lgkmcnt(21)
	ds_load_u16_d16_hi v76, v116 offset:2192
	s_waitcnt lgkmcnt(21)
	ds_load_u16_d16_hi v84, v116 offset:2224
	;; [unrolled: 2-line block ×5, first 2 shown]
	ds_load_u16_d16_hi v65, v116 offset:720
	ds_load_u16 v162, v116 offset:192
	s_waitcnt lgkmcnt(20)
	ds_load_u16_d16_hi v64, v116 offset:240
	s_waitcnt lgkmcnt(20)
	ds_load_u16_d16_hi v72, v116 offset:272
	;; [unrolled: 2-line block ×6, first 2 shown]
	ds_load_u16 v163, v115 offset:192
	ds_load_u16 v167, v99 offset:192
	;; [unrolled: 1-line block ×7, first 2 shown]
	s_waitcnt lgkmcnt(24)
	ds_load_u16_d16_hi v151, v116 offset:2768
	s_waitcnt lgkmcnt(24)
	ds_load_u16_d16_hi v159, v116 offset:2800
	ds_load_u16 v165, v97 offset:192
	ds_load_u16 v70, v110
	ds_load_u16 v78, v110 offset:32
	ds_load_u16 v86, v110 offset:64
	;; [unrolled: 1-line block ×9, first 2 shown]
	s_waitcnt lgkmcnt(26)
	ds_load_u16_d16_hi v162, v116 offset:432
	ds_load_u16 v171, v115 offset:3840
	ds_load_u16 v178, v115 offset:3872
	;; [unrolled: 1-line block ×5, first 2 shown]
	ds_load_u16_d16_hi v66, v116 offset:1200
	s_waitcnt lgkmcnt(26)
	ds_load_u16_d16_hi v163, v116 offset:912
	ds_load_u16 v96, v111 offset:11712
	ds_load_u16_d16_hi v67, v116 offset:1680
	ds_load_u16_d16_hi v164, v116 offset:1392
	ds_load_u16 v173, v97 offset:3840
	ds_load_u16 v180, v97 offset:3872
	;; [unrolled: 1-line block ×5, first 2 shown]
	ds_load_u16_d16_hi v68, v116 offset:2160
	s_waitcnt lgkmcnt(27)
	ds_load_u16_d16_hi v165, v116 offset:1872
	ds_load_u16 v98, v113 offset:11712
	ds_load_u16_d16_hi v69, v116 offset:2640
	ds_load_u16_d16_hi v166, v116 offset:2352
	ds_load_u16 v176, v110 offset:3840
	s_waitcnt lgkmcnt(31)
	ds_load_u16_d16_hi v70, v116 offset:3120
	s_waitcnt lgkmcnt(31)
	ds_load_u16_d16_hi v78, v116 offset:3152
	;; [unrolled: 2-line block ×7, first 2 shown]
	ds_load_u16_d16_hi v167, v116 offset:2832
	ds_load_u16 v177, v114 offset:3840
	ds_load_u16 v184, v114 offset:3872
	;; [unrolled: 1-line block ×5, first 2 shown]
	ds_load_u16_d16_hi v79, v116 offset:3632
	ds_load_u16_d16_hi v87, v116 offset:3664
	;; [unrolled: 1-line block ×3, first 2 shown]
	s_waitcnt lgkmcnt(40)
	ds_load_u16_d16_hi v153, v116 offset:3728
	s_waitcnt lgkmcnt(40)
	ds_load_u16_d16_hi v161, v116 offset:3760
	;; [unrolled: 2-line block ×3, first 2 shown]
	ds_load_u16 v170, v116 offset:3840
	ds_load_u16_d16_hi v73, v116 offset:752
	ds_load_u16 v147, v115 offset:128
	ds_load_u16 v155, v115 offset:160
	ds_load_u16_d16_hi v81, v116 offset:784
	ds_load_u16_d16_hi v89, v116 offset:816
	s_waitcnt lgkmcnt(3)
	ds_load_u16_d16_hi v147, v116 offset:848
	s_waitcnt lgkmcnt(3)
	ds_load_u16_d16_hi v155, v116 offset:880
	ds_load_u16_d16_hi v90, v116 offset:1296
	ds_load_u16_d16_hi v148, v116 offset:1328
	ds_load_u16_d16_hi v156, v116 offset:1360
	ds_load_u16 v149, v97 offset:128
	ds_load_u16 v157, v97 offset:160
	s_waitcnt lgkmcnt(1)
	ds_load_u16_d16_hi v149, v116 offset:1808
	s_waitcnt lgkmcnt(1)
	ds_load_u16_d16_hi v157, v116 offset:1840
	ds_load_u16_d16_hi v158, v116 offset:2320
	v_wmma_f32_16x16x16_f16 v[48:55], v[64:71], v[56:63], v[48:55]
	v_wmma_f32_16x16x16_f16 v[40:47], v[72:79], v[56:63], v[40:47]
	;; [unrolled: 1-line block ×5, first 2 shown]
	s_waitcnt lgkmcnt(2)
	v_wmma_f32_16x16x16_f16 v[16:23], v[146:153], v[56:63], v[16:23]
	s_waitcnt lgkmcnt(0)
	v_wmma_f32_16x16x16_f16 v[8:15], v[154:161], v[56:63], v[8:15]
	v_sub_f32_e32 v56, v145, v112
	s_delay_alu instid0(VALU_DEP_1) | instskip(SKIP_1) | instid1(VALU_DEP_2)
	v_mul_f32_e32 v57, 0x3fb8aa3b, v56
	v_cmp_ngt_f32_e64 s3, 0xc2ce8ed0, v56
	v_fma_f32 v58, 0x3fb8aa3b, v56, -v57
	v_rndne_f32_e32 v59, v57
	s_delay_alu instid0(VALU_DEP_1) | instskip(SKIP_1) | instid1(VALU_DEP_2)
	v_dual_fmac_f32 v58, 0x32a5705f, v56 :: v_dual_sub_f32 v57, v57, v59
	v_cvt_i32_f32_e32 v59, v59
	v_dual_add_f32 v57, v57, v58 :: v_dual_sub_f32 v58, v144, v112
	s_delay_alu instid0(VALU_DEP_1) | instskip(NEXT) | instid1(VALU_DEP_1)
	v_exp_f32_e32 v57, v57
	v_mul_f32_e32 v60, 0x3fb8aa3b, v58
	v_cmp_ngt_f32_e64 s4, 0xc2ce8ed0, v58
	s_delay_alu instid0(VALU_DEP_2)
	v_fma_f32 v61, 0x3fb8aa3b, v58, -v60
	v_rndne_f32_e32 v62, v60
	s_waitcnt_depctr 0xfff
	v_ldexp_f32 v57, v57, v59
	v_fmac_f32_e32 v61, 0x32a5705f, v58
	v_sub_f32_e32 v60, v60, v62
	s_delay_alu instid0(VALU_DEP_3) | instskip(SKIP_1) | instid1(VALU_DEP_3)
	v_cndmask_b32_e64 v57, 0, v57, s3
	v_cmp_nlt_f32_e64 s3, 0x42b17218, v56
	v_add_f32_e32 v60, v60, v61
	s_delay_alu instid0(VALU_DEP_2) | instskip(NEXT) | instid1(VALU_DEP_2)
	v_cndmask_b32_e64 v57, 0x7f800000, v57, s3
	v_exp_f32_e32 v59, v60
	v_cvt_i32_f32_e32 v60, v62
	s_waitcnt_depctr 0xfff
	v_ldexp_f32 v59, v59, v60
	ds_bpermute_b32 v60, v120, v57
	v_cndmask_b32_e64 v56, 0, v59, s4
	v_cmp_nlt_f32_e64 s4, 0x42b17218, v58
	s_delay_alu instid0(VALU_DEP_1) | instskip(SKIP_4) | instid1(VALU_DEP_2)
	v_cndmask_b32_e64 v56, 0x7f800000, v56, s4
	ds_bpermute_b32 v58, v120, v56
	s_waitcnt lgkmcnt(0)
	v_cndmask_b32_e64 v59, v56, v58, s0
	v_cndmask_b32_e32 v58, v56, v58, vcc_lo
	v_cndmask_b32_e64 v61, v59, v57, s2
	s_delay_alu instid0(VALU_DEP_2) | instskip(SKIP_2) | instid1(VALU_DEP_4)
	v_cndmask_b32_e64 v62, v58, v57, s1
	v_cvt_f16_f32_e32 v59, v59
	v_cvt_f16_f32_e32 v58, v58
	v_cndmask_b32_e64 v61, v61, v60, s0
	s_delay_alu instid0(VALU_DEP_4) | instskip(NEXT) | instid1(VALU_DEP_3)
	v_cndmask_b32_e32 v60, v62, v60, vcc_lo
	v_pack_b32_f16 v64, v59, v58
	v_sub_f32_e32 v58, v143, v112
	s_delay_alu instid0(VALU_DEP_4) | instskip(NEXT) | instid1(VALU_DEP_4)
	v_cvt_f16_f32_e32 v62, v61
	v_cvt_f16_f32_e32 v63, v60
	s_delay_alu instid0(VALU_DEP_3) | instskip(SKIP_1) | instid1(VALU_DEP_3)
	v_mul_f32_e32 v59, 0x3fb8aa3b, v58
	v_cmp_ngt_f32_e64 s3, 0xc2ce8ed0, v58
	v_pack_b32_f16 v65, v62, v63
	s_delay_alu instid0(VALU_DEP_3) | instskip(SKIP_1) | instid1(VALU_DEP_1)
	v_fma_f32 v62, 0x3fb8aa3b, v58, -v59
	v_rndne_f32_e32 v63, v59
	v_dual_fmac_f32 v62, 0x32a5705f, v58 :: v_dual_sub_f32 v59, v59, v63
	s_delay_alu instid0(VALU_DEP_1) | instskip(SKIP_1) | instid1(VALU_DEP_2)
	v_add_f32_e32 v59, v59, v62
	v_cvt_i32_f32_e32 v62, v63
	v_exp_f32_e32 v59, v59
	s_waitcnt_depctr 0xfff
	v_ldexp_f32 v59, v59, v62
	s_delay_alu instid0(VALU_DEP_1) | instskip(SKIP_1) | instid1(VALU_DEP_1)
	v_cndmask_b32_e64 v59, 0, v59, s3
	v_cmp_nlt_f32_e64 s3, 0x42b17218, v58
	v_cndmask_b32_e64 v58, 0x7f800000, v59, s3
	s_delay_alu instid0(VALU_DEP_1) | instskip(SKIP_4) | instid1(VALU_DEP_2)
	v_cndmask_b32_e64 v59, v61, v58, s2
	ds_bpermute_b32 v61, v120, v58
	v_cndmask_b32_e64 v60, v60, v58, s1
	s_waitcnt lgkmcnt(0)
	v_cndmask_b32_e64 v62, v59, v61, s0
	v_cndmask_b32_e32 v60, v60, v61, vcc_lo
	s_delay_alu instid0(VALU_DEP_2) | instskip(NEXT) | instid1(VALU_DEP_2)
	v_cvt_f16_f32_e32 v59, v62
	v_cvt_f16_f32_e32 v61, v60
	s_delay_alu instid0(VALU_DEP_1) | instskip(SKIP_1) | instid1(VALU_DEP_1)
	v_pack_b32_f16 v66, v59, v61
	v_sub_f32_e32 v59, v142, v112
	v_mul_f32_e32 v61, 0x3fb8aa3b, v59
	v_cmp_ngt_f32_e64 s3, 0xc2ce8ed0, v59
	s_delay_alu instid0(VALU_DEP_2) | instskip(SKIP_1) | instid1(VALU_DEP_2)
	v_fma_f32 v63, 0x3fb8aa3b, v59, -v61
	v_rndne_f32_e32 v67, v61
	v_fmac_f32_e32 v63, 0x32a5705f, v59
	s_delay_alu instid0(VALU_DEP_2) | instskip(NEXT) | instid1(VALU_DEP_1)
	v_sub_f32_e32 v61, v61, v67
	v_add_f32_e32 v61, v61, v63
	v_cvt_i32_f32_e32 v63, v67
	s_delay_alu instid0(VALU_DEP_2) | instskip(SKIP_2) | instid1(VALU_DEP_1)
	v_exp_f32_e32 v61, v61
	s_waitcnt_depctr 0xfff
	v_ldexp_f32 v61, v61, v63
	v_cndmask_b32_e64 v61, 0, v61, s3
	v_cmp_nlt_f32_e64 s3, 0x42b17218, v59
	s_delay_alu instid0(VALU_DEP_1) | instskip(NEXT) | instid1(VALU_DEP_1)
	v_cndmask_b32_e64 v59, 0x7f800000, v61, s3
	v_cndmask_b32_e64 v61, v62, v59, s2
	ds_bpermute_b32 v62, v120, v59
	v_cndmask_b32_e64 v60, v60, v59, s1
	s_waitcnt lgkmcnt(0)
	v_cndmask_b32_e64 v61, v61, v62, s0
	s_delay_alu instid0(VALU_DEP_2) | instskip(NEXT) | instid1(VALU_DEP_2)
	v_cndmask_b32_e32 v62, v60, v62, vcc_lo
	v_cvt_f16_f32_e32 v60, v61
	s_delay_alu instid0(VALU_DEP_2) | instskip(NEXT) | instid1(VALU_DEP_1)
	v_cvt_f16_f32_e32 v63, v62
	v_pack_b32_f16 v67, v60, v63
	v_sub_f32_e32 v60, v141, v112
	s_delay_alu instid0(VALU_DEP_1) | instskip(SKIP_1) | instid1(VALU_DEP_2)
	v_mul_f32_e32 v63, 0x3fb8aa3b, v60
	v_cmp_ngt_f32_e64 s3, 0xc2ce8ed0, v60
	v_fma_f32 v68, 0x3fb8aa3b, v60, -v63
	v_rndne_f32_e32 v69, v63
	s_delay_alu instid0(VALU_DEP_1) | instskip(NEXT) | instid1(VALU_DEP_1)
	v_dual_fmac_f32 v68, 0x32a5705f, v60 :: v_dual_sub_f32 v63, v63, v69
	v_add_f32_e32 v63, v63, v68
	v_cvt_i32_f32_e32 v68, v69
	s_delay_alu instid0(VALU_DEP_2) | instskip(SKIP_2) | instid1(VALU_DEP_1)
	v_exp_f32_e32 v63, v63
	s_waitcnt_depctr 0xfff
	v_ldexp_f32 v63, v63, v68
	v_cndmask_b32_e64 v63, 0, v63, s3
	v_cmp_nlt_f32_e64 s3, 0x42b17218, v60
	s_delay_alu instid0(VALU_DEP_1) | instskip(SKIP_4) | instid1(VALU_DEP_2)
	v_cndmask_b32_e64 v60, 0x7f800000, v63, s3
	ds_bpermute_b32 v63, v120, v60
	v_cndmask_b32_e64 v61, v61, v60, s2
	v_cndmask_b32_e64 v62, v62, v60, s1
	s_waitcnt lgkmcnt(0)
	v_cndmask_b32_e64 v69, v61, v63, s0
	s_delay_alu instid0(VALU_DEP_2) | instskip(NEXT) | instid1(VALU_DEP_2)
	v_cndmask_b32_e32 v62, v62, v63, vcc_lo
	v_cvt_f16_f32_e32 v61, v69
	s_delay_alu instid0(VALU_DEP_2) | instskip(NEXT) | instid1(VALU_DEP_1)
	v_cvt_f16_f32_e32 v63, v62
	v_pack_b32_f16 v68, v61, v63
	v_sub_f32_e32 v61, v140, v112
	s_delay_alu instid0(VALU_DEP_1) | instskip(SKIP_1) | instid1(VALU_DEP_2)
	v_mul_f32_e32 v63, 0x3fb8aa3b, v61
	v_cmp_ngt_f32_e64 s3, 0xc2ce8ed0, v61
	v_fma_f32 v70, 0x3fb8aa3b, v61, -v63
	v_rndne_f32_e32 v71, v63
	s_delay_alu instid0(VALU_DEP_1) | instskip(NEXT) | instid1(VALU_DEP_1)
	v_dual_fmac_f32 v70, 0x32a5705f, v61 :: v_dual_sub_f32 v63, v63, v71
	v_add_f32_e32 v63, v63, v70
	v_cvt_i32_f32_e32 v70, v71
	s_delay_alu instid0(VALU_DEP_2) | instskip(SKIP_2) | instid1(VALU_DEP_1)
	v_exp_f32_e32 v63, v63
	s_waitcnt_depctr 0xfff
	v_ldexp_f32 v63, v63, v70
	v_cndmask_b32_e64 v63, 0, v63, s3
	v_cmp_nlt_f32_e64 s3, 0x42b17218, v61
	s_delay_alu instid0(VALU_DEP_1) | instskip(NEXT) | instid1(VALU_DEP_1)
	v_cndmask_b32_e64 v61, 0x7f800000, v63, s3
	v_cndmask_b32_e64 v63, v69, v61, s2
	ds_bpermute_b32 v69, v120, v61
	v_cndmask_b32_e64 v62, v62, v61, s1
	s_waitcnt lgkmcnt(0)
	v_cndmask_b32_e64 v63, v63, v69, s0
	s_delay_alu instid0(VALU_DEP_2) | instskip(NEXT) | instid1(VALU_DEP_2)
	v_cndmask_b32_e32 v70, v62, v69, vcc_lo
	v_cvt_f16_f32_e32 v62, v63
	s_delay_alu instid0(VALU_DEP_2) | instskip(NEXT) | instid1(VALU_DEP_1)
	v_cvt_f16_f32_e32 v69, v70
	v_pack_b32_f16 v69, v62, v69
	v_sub_f32_e32 v62, v139, v112
	s_delay_alu instid0(VALU_DEP_1) | instskip(SKIP_1) | instid1(VALU_DEP_2)
	v_mul_f32_e32 v71, 0x3fb8aa3b, v62
	v_cmp_ngt_f32_e64 s3, 0xc2ce8ed0, v62
	v_fma_f32 v72, 0x3fb8aa3b, v62, -v71
	v_rndne_f32_e32 v73, v71
	s_delay_alu instid0(VALU_DEP_1) | instskip(NEXT) | instid1(VALU_DEP_1)
	v_dual_fmac_f32 v72, 0x32a5705f, v62 :: v_dual_sub_f32 v71, v71, v73
	v_add_f32_e32 v71, v71, v72
	v_cvt_i32_f32_e32 v72, v73
	s_delay_alu instid0(VALU_DEP_2) | instskip(SKIP_2) | instid1(VALU_DEP_1)
	v_exp_f32_e32 v71, v71
	s_waitcnt_depctr 0xfff
	v_ldexp_f32 v71, v71, v72
	v_cndmask_b32_e64 v71, 0, v71, s3
	v_cmp_nlt_f32_e64 s3, 0x42b17218, v62
	s_delay_alu instid0(VALU_DEP_1) | instskip(SKIP_4) | instid1(VALU_DEP_2)
	v_cndmask_b32_e64 v62, 0x7f800000, v71, s3
	ds_bpermute_b32 v71, v120, v62
	v_cndmask_b32_e64 v63, v63, v62, s2
	v_cndmask_b32_e64 v70, v70, v62, s1
	s_waitcnt lgkmcnt(0)
	v_cndmask_b32_e64 v72, v63, v71, s0
	s_delay_alu instid0(VALU_DEP_2) | instskip(NEXT) | instid1(VALU_DEP_2)
	v_cndmask_b32_e32 v71, v70, v71, vcc_lo
	v_cvt_f16_f32_e32 v63, v72
	s_delay_alu instid0(VALU_DEP_2) | instskip(NEXT) | instid1(VALU_DEP_1)
	v_cvt_f16_f32_e32 v70, v71
	v_pack_b32_f16 v70, v63, v70
	v_sub_f32_e32 v63, v138, v112
	s_delay_alu instid0(VALU_DEP_1) | instskip(SKIP_1) | instid1(VALU_DEP_2)
	v_mul_f32_e32 v73, 0x3fb8aa3b, v63
	v_cmp_ngt_f32_e64 s3, 0xc2ce8ed0, v63
	v_fma_f32 v74, 0x3fb8aa3b, v63, -v73
	v_rndne_f32_e32 v75, v73
	s_delay_alu instid0(VALU_DEP_2) | instskip(NEXT) | instid1(VALU_DEP_2)
	v_fmac_f32_e32 v74, 0x32a5705f, v63
	v_sub_f32_e32 v73, v73, v75
	s_delay_alu instid0(VALU_DEP_1) | instskip(SKIP_1) | instid1(VALU_DEP_2)
	v_add_f32_e32 v73, v73, v74
	v_cvt_i32_f32_e32 v74, v75
	v_exp_f32_e32 v73, v73
	s_waitcnt_depctr 0xfff
	v_ldexp_f32 v73, v73, v74
	ds_load_u16 v179, v111 offset:3872
	ds_load_u16 v187, v111 offset:3904
	;; [unrolled: 1-line block ×3, first 2 shown]
	ds_load_u16_d16_hi v171, v116 offset:4560
	ds_load_u16_d16_hi v175, v116 offset:6480
	;; [unrolled: 1-line block ×4, first 2 shown]
	ds_load_u16 v203, v111 offset:3968
	ds_load_u16 v181, v113 offset:3872
	;; [unrolled: 1-line block ×10, first 2 shown]
	s_waitcnt lgkmcnt(16)
	ds_load_u16_d16_hi v179, v116 offset:5072
	s_waitcnt lgkmcnt(16)
	ds_load_u16_d16_hi v187, v116 offset:5104
	;; [unrolled: 2-line block ×3, first 2 shown]
	ds_load_u16 v183, v110 offset:3872
	ds_load_u16 v191, v110 offset:3904
	;; [unrolled: 1-line block ×5, first 2 shown]
	ds_load_u16_d16_hi v180, v116 offset:5552
	ds_load_u16_d16_hi v188, v116 offset:5584
	;; [unrolled: 1-line block ×4, first 2 shown]
	ds_load_u16 v84, v113 offset:4032
	ds_load_u16 v142, v113 offset:7680
	;; [unrolled: 1-line block ×3, first 2 shown]
	ds_load_u16_d16_hi v174, v116 offset:6000
	s_waitcnt lgkmcnt(24)
	ds_load_u16_d16_hi v181, v116 offset:6032
	s_waitcnt lgkmcnt(24)
	;; [unrolled: 2-line block ×5, first 2 shown]
	ds_load_u16_d16_hi v76, v116 offset:6160
	ds_load_u16 v81, v115 offset:4032
	ds_load_u16 v86, v110 offset:4032
	;; [unrolled: 1-line block ×4, first 2 shown]
	ds_load_u16_d16_hi v176, v116 offset:6960
	v_cndmask_b32_e64 v73, 0, v73, s3
	v_cmp_nlt_f32_e64 s3, 0x42b17218, v63
	s_waitcnt lgkmcnt(22)
	ds_load_u16_d16_hi v183, v116 offset:6992
	s_waitcnt lgkmcnt(22)
	ds_load_u16_d16_hi v191, v116 offset:7024
	;; [unrolled: 2-line block ×5, first 2 shown]
	ds_load_u16 v83, v97 offset:4032
	ds_load_u16 v77, v99 offset:4000
	;; [unrolled: 1-line block ×3, first 2 shown]
	ds_load_u16_d16_hi v170, v116 offset:4080
	ds_load_u16 v80, v116 offset:4032
	ds_load_u16 v139, v115 offset:7680
	;; [unrolled: 1-line block ×7, first 2 shown]
	s_waitcnt lgkmcnt(20)
	ds_load_u16_d16_hi v81, v116 offset:4752
	ds_load_u16_d16_hi v173, v116 offset:5520
	ds_load_u16_d16_hi v82, v116 offset:5232
	ds_load_u16 v141, v97 offset:7680
	ds_load_u16 v149, v97 offset:7712
	;; [unrolled: 1-line block ×6, first 2 shown]
	v_cndmask_b32_e64 v63, 0x7f800000, v73, s3
	s_waitcnt lgkmcnt(19)
	ds_load_u16_d16_hi v83, v116 offset:5712
	ds_load_u16 v143, v99 offset:7680
	ds_load_u16 v151, v99 offset:7712
	;; [unrolled: 1-line block ×6, first 2 shown]
	ds_load_u16_d16_hi v182, v116 offset:6512
	ds_load_u16_d16_hi v190, v116 offset:6544
	;; [unrolled: 1-line block ×4, first 2 shown]
	s_waitcnt lgkmcnt(29)
	ds_load_u16_d16_hi v77, v116 offset:6640
	s_waitcnt lgkmcnt(29)
	ds_load_u16_d16_hi v85, v116 offset:6672
	ds_load_u16_d16_hi v84, v116 offset:6192
	;; [unrolled: 1-line block ×3, first 2 shown]
	ds_bpermute_b32 v73, v120, v63
	v_cndmask_b32_e64 v72, v72, v63, s2
	v_cndmask_b32_e64 v71, v71, v63, s1
	s_waitcnt lgkmcnt(0)
	s_delay_alu instid0(VALU_DEP_2) | instskip(NEXT) | instid1(VALU_DEP_2)
	v_cndmask_b32_e64 v72, v72, v73, s0
	v_cndmask_b32_e32 v71, v71, v73, vcc_lo
	s_delay_alu instid0(VALU_DEP_2) | instskip(NEXT) | instid1(VALU_DEP_2)
	v_cvt_f16_f32_e32 v72, v72
	v_cvt_f16_f32_e32 v71, v71
	s_delay_alu instid0(VALU_DEP_1) | instskip(NEXT) | instid1(VALU_DEP_1)
	v_pack_b32_f16 v71, v72, v71
	v_wmma_f32_16x16x16_f16 v[48:55], v[170:177], v[64:71], v[48:55]
	ds_load_u16 v177, v116 offset:3872
	ds_load_u16 v185, v116 offset:3904
	;; [unrolled: 1-line block ×5, first 2 shown]
	ds_load_u16_d16_hi v184, v116 offset:7472
	ds_load_u16_d16_hi v192, v116 offset:7504
	ds_load_u16 v79, v114 offset:4000
	ds_load_u16 v87, v114 offset:4032
	ds_load_u16_d16_hi v178, v116 offset:4592
	ds_load_u16_d16_hi v186, v116 offset:4624
	s_waitcnt lgkmcnt(10)
	ds_load_u16_d16_hi v177, v116 offset:4112
	s_waitcnt lgkmcnt(10)
	;; [unrolled: 2-line block ×5, first 2 shown]
	ds_load_u16_d16_hi v72, v116 offset:4240
	ds_load_u16_d16_hi v80, v116 offset:4272
	ds_load_u16 v145, v114 offset:7680
	ds_load_u16 v153, v114 offset:7712
	;; [unrolled: 1-line block ×6, first 2 shown]
	ds_load_u16_d16_hi v200, v116 offset:7536
	ds_load_u16_d16_hi v208, v116 offset:7568
	s_waitcnt lgkmcnt(17)
	ds_load_u16_d16_hi v79, v116 offset:7600
	s_waitcnt lgkmcnt(17)
	ds_load_u16_d16_hi v87, v116 offset:7632
	ds_load_u16 v138, v116 offset:7680
	ds_load_u16 v146, v116 offset:7712
	;; [unrolled: 1-line block ×3, first 2 shown]
	ds_load_u16_d16_hi v194, v116 offset:4656
	ds_load_u16_d16_hi v202, v116 offset:4688
	s_waitcnt lgkmcnt(20)
	v_wmma_f32_16x16x16_f16 v[40:47], v[177:184], v[64:71], v[40:47]
	s_waitcnt lgkmcnt(19)
	v_wmma_f32_16x16x16_f16 v[32:39], v[185:192], v[64:71], v[32:39]
	;; [unrolled: 2-line block ×3, first 2 shown]
	s_waitcnt lgkmcnt(2)
	ds_load_u16_d16_hi v73, v116 offset:4720
	ds_load_u16_d16_hi v203, v116 offset:5168
	;; [unrolled: 1-line block ×3, first 2 shown]
	ds_load_u16 v75, v97 offset:4000
	s_waitcnt lgkmcnt(5)
	v_wmma_f32_16x16x16_f16 v[24:31], v[193:200], v[64:71], v[24:31]
	s_waitcnt lgkmcnt(2)
	v_wmma_f32_16x16x16_f16 v[16:23], v[201:208], v[64:71], v[16:23]
	s_waitcnt lgkmcnt(0)
	ds_load_u16_d16_hi v75, v116 offset:5680
	s_waitcnt lgkmcnt(0)
	v_wmma_f32_16x16x16_f16 v[8:15], v[72:79], v[64:71], v[8:15]
	v_sub_f32_e32 v64, v137, v112
	s_delay_alu instid0(VALU_DEP_1) | instskip(SKIP_1) | instid1(VALU_DEP_2)
	v_mul_f32_e32 v65, 0x3fb8aa3b, v64
	v_cmp_ngt_f32_e64 s3, 0xc2ce8ed0, v64
	v_fma_f32 v66, 0x3fb8aa3b, v64, -v65
	v_rndne_f32_e32 v67, v65
	s_delay_alu instid0(VALU_DEP_1) | instskip(SKIP_1) | instid1(VALU_DEP_2)
	v_dual_fmac_f32 v66, 0x32a5705f, v64 :: v_dual_sub_f32 v65, v65, v67
	v_cvt_i32_f32_e32 v67, v67
	v_dual_add_f32 v65, v65, v66 :: v_dual_sub_f32 v66, v136, v112
	s_delay_alu instid0(VALU_DEP_1) | instskip(NEXT) | instid1(VALU_DEP_1)
	v_exp_f32_e32 v65, v65
	v_mul_f32_e32 v68, 0x3fb8aa3b, v66
	v_cmp_ngt_f32_e64 s4, 0xc2ce8ed0, v66
	s_delay_alu instid0(VALU_DEP_2)
	v_fma_f32 v69, 0x3fb8aa3b, v66, -v68
	v_rndne_f32_e32 v70, v68
	s_waitcnt_depctr 0xfff
	v_ldexp_f32 v65, v65, v67
	v_fmac_f32_e32 v69, 0x32a5705f, v66
	v_sub_f32_e32 v68, v68, v70
	s_delay_alu instid0(VALU_DEP_3) | instskip(SKIP_1) | instid1(VALU_DEP_3)
	v_cndmask_b32_e64 v65, 0, v65, s3
	v_cmp_nlt_f32_e64 s3, 0x42b17218, v64
	v_add_f32_e32 v68, v68, v69
	s_delay_alu instid0(VALU_DEP_2) | instskip(NEXT) | instid1(VALU_DEP_2)
	v_cndmask_b32_e64 v65, 0x7f800000, v65, s3
	v_exp_f32_e32 v67, v68
	v_cvt_i32_f32_e32 v68, v70
	s_waitcnt_depctr 0xfff
	v_ldexp_f32 v67, v67, v68
	ds_bpermute_b32 v68, v120, v65
	v_cndmask_b32_e64 v64, 0, v67, s4
	v_cmp_nlt_f32_e64 s4, 0x42b17218, v66
	s_delay_alu instid0(VALU_DEP_1) | instskip(SKIP_4) | instid1(VALU_DEP_2)
	v_cndmask_b32_e64 v64, 0x7f800000, v64, s4
	ds_bpermute_b32 v66, v120, v64
	s_waitcnt lgkmcnt(0)
	v_cndmask_b32_e32 v67, v64, v66, vcc_lo
	v_cndmask_b32_e64 v66, v64, v66, s0
	v_cndmask_b32_e64 v70, v67, v65, s1
	s_delay_alu instid0(VALU_DEP_2) | instskip(SKIP_2) | instid1(VALU_DEP_4)
	v_cndmask_b32_e64 v69, v66, v65, s2
	v_cvt_f16_f32_e32 v66, v66
	v_cvt_f16_f32_e32 v67, v67
	v_cndmask_b32_e32 v70, v70, v68, vcc_lo
	s_delay_alu instid0(VALU_DEP_4) | instskip(NEXT) | instid1(VALU_DEP_3)
	v_cndmask_b32_e64 v69, v69, v68, s0
	v_pack_b32_f16 v67, v66, v67
	v_sub_f32_e32 v66, v135, v112
	s_delay_alu instid0(VALU_DEP_4) | instskip(NEXT) | instid1(VALU_DEP_4)
	v_cvt_f16_f32_e32 v71, v70
	v_cvt_f16_f32_e32 v68, v69
	s_delay_alu instid0(VALU_DEP_3) | instskip(NEXT) | instid1(VALU_DEP_2)
	v_cmp_ngt_f32_e64 s3, 0xc2ce8ed0, v66
	v_pack_b32_f16 v68, v68, v71
	v_mul_f32_e32 v71, 0x3fb8aa3b, v66
	s_delay_alu instid0(VALU_DEP_1) | instskip(SKIP_1) | instid1(VALU_DEP_1)
	v_fma_f32 v72, 0x3fb8aa3b, v66, -v71
	v_rndne_f32_e32 v73, v71
	v_dual_fmac_f32 v72, 0x32a5705f, v66 :: v_dual_sub_f32 v71, v71, v73
	s_delay_alu instid0(VALU_DEP_1) | instskip(SKIP_1) | instid1(VALU_DEP_2)
	v_add_f32_e32 v71, v71, v72
	v_cvt_i32_f32_e32 v72, v73
	v_exp_f32_e32 v71, v71
	s_waitcnt_depctr 0xfff
	v_ldexp_f32 v71, v71, v72
	s_delay_alu instid0(VALU_DEP_1) | instskip(SKIP_1) | instid1(VALU_DEP_1)
	v_cndmask_b32_e64 v71, 0, v71, s3
	v_cmp_nlt_f32_e64 s3, 0x42b17218, v66
	v_cndmask_b32_e64 v66, 0x7f800000, v71, s3
	ds_bpermute_b32 v71, v120, v66
	v_cndmask_b32_e64 v69, v69, v66, s2
	v_cndmask_b32_e64 v70, v70, v66, s1
	s_waitcnt lgkmcnt(0)
	s_delay_alu instid0(VALU_DEP_2) | instskip(NEXT) | instid1(VALU_DEP_2)
	v_cndmask_b32_e64 v72, v69, v71, s0
	v_cndmask_b32_e32 v70, v70, v71, vcc_lo
	s_delay_alu instid0(VALU_DEP_2) | instskip(NEXT) | instid1(VALU_DEP_2)
	v_cvt_f16_f32_e32 v69, v72
	v_cvt_f16_f32_e32 v71, v70
	s_delay_alu instid0(VALU_DEP_1) | instskip(SKIP_1) | instid1(VALU_DEP_1)
	v_pack_b32_f16 v69, v69, v71
	v_sub_f32_e32 v71, v134, v112
	v_mul_f32_e32 v73, 0x3fb8aa3b, v71
	v_cmp_ngt_f32_e64 s3, 0xc2ce8ed0, v71
	s_delay_alu instid0(VALU_DEP_2) | instskip(SKIP_1) | instid1(VALU_DEP_2)
	v_fma_f32 v74, 0x3fb8aa3b, v71, -v73
	v_rndne_f32_e32 v75, v73
	v_fmac_f32_e32 v74, 0x32a5705f, v71
	s_delay_alu instid0(VALU_DEP_2) | instskip(NEXT) | instid1(VALU_DEP_1)
	v_sub_f32_e32 v73, v73, v75
	v_add_f32_e32 v73, v73, v74
	v_cvt_i32_f32_e32 v74, v75
	s_delay_alu instid0(VALU_DEP_2) | instskip(SKIP_2) | instid1(VALU_DEP_1)
	v_exp_f32_e32 v73, v73
	s_waitcnt_depctr 0xfff
	v_ldexp_f32 v73, v73, v74
	v_cndmask_b32_e64 v73, 0, v73, s3
	v_cmp_nlt_f32_e64 s3, 0x42b17218, v71
	s_delay_alu instid0(VALU_DEP_1) | instskip(NEXT) | instid1(VALU_DEP_1)
	v_cndmask_b32_e64 v83, 0x7f800000, v73, s3
	v_cndmask_b32_e64 v71, v72, v83, s2
	ds_bpermute_b32 v72, v120, v83
	v_cndmask_b32_e64 v70, v70, v83, s1
	s_waitcnt lgkmcnt(0)
	v_cndmask_b32_e64 v71, v71, v72, s0
	s_delay_alu instid0(VALU_DEP_2) | instskip(NEXT) | instid1(VALU_DEP_2)
	v_cndmask_b32_e32 v72, v70, v72, vcc_lo
	v_cvt_f16_f32_e32 v70, v71
	s_delay_alu instid0(VALU_DEP_2) | instskip(NEXT) | instid1(VALU_DEP_1)
	v_cvt_f16_f32_e32 v73, v72
	v_pack_b32_f16 v70, v70, v73
	v_sub_f32_e32 v73, v133, v112
	s_delay_alu instid0(VALU_DEP_1) | instskip(SKIP_1) | instid1(VALU_DEP_2)
	v_mul_f32_e32 v74, 0x3fb8aa3b, v73
	v_cmp_ngt_f32_e64 s3, 0xc2ce8ed0, v73
	v_fma_f32 v75, 0x3fb8aa3b, v73, -v74
	v_rndne_f32_e32 v76, v74
	s_delay_alu instid0(VALU_DEP_1) | instskip(NEXT) | instid1(VALU_DEP_1)
	v_dual_fmac_f32 v75, 0x32a5705f, v73 :: v_dual_sub_f32 v74, v74, v76
	v_add_f32_e32 v74, v74, v75
	v_cvt_i32_f32_e32 v75, v76
	s_delay_alu instid0(VALU_DEP_2) | instskip(SKIP_2) | instid1(VALU_DEP_1)
	v_exp_f32_e32 v74, v74
	s_waitcnt_depctr 0xfff
	v_ldexp_f32 v74, v74, v75
	v_cndmask_b32_e64 v74, 0, v74, s3
	v_cmp_nlt_f32_e64 s3, 0x42b17218, v73
	s_delay_alu instid0(VALU_DEP_1) | instskip(SKIP_4) | instid1(VALU_DEP_2)
	v_cndmask_b32_e64 v84, 0x7f800000, v74, s3
	ds_bpermute_b32 v73, v120, v84
	v_cndmask_b32_e64 v71, v71, v84, s2
	v_cndmask_b32_e64 v72, v72, v84, s1
	s_waitcnt lgkmcnt(0)
	v_cndmask_b32_e64 v74, v71, v73, s0
	s_delay_alu instid0(VALU_DEP_2) | instskip(NEXT) | instid1(VALU_DEP_2)
	v_cndmask_b32_e32 v72, v72, v73, vcc_lo
	v_cvt_f16_f32_e32 v71, v74
	s_delay_alu instid0(VALU_DEP_2) | instskip(NEXT) | instid1(VALU_DEP_1)
	v_cvt_f16_f32_e32 v73, v72
	v_pack_b32_f16 v71, v71, v73
	v_sub_f32_e32 v73, v132, v112
	s_delay_alu instid0(VALU_DEP_1) | instskip(SKIP_1) | instid1(VALU_DEP_2)
	v_mul_f32_e32 v75, 0x3fb8aa3b, v73
	v_cmp_ngt_f32_e64 s3, 0xc2ce8ed0, v73
	v_fma_f32 v76, 0x3fb8aa3b, v73, -v75
	v_rndne_f32_e32 v77, v75
	s_delay_alu instid0(VALU_DEP_2) | instskip(NEXT) | instid1(VALU_DEP_2)
	v_fmac_f32_e32 v76, 0x32a5705f, v73
	v_sub_f32_e32 v75, v75, v77
	s_delay_alu instid0(VALU_DEP_1) | instskip(SKIP_1) | instid1(VALU_DEP_2)
	v_add_f32_e32 v75, v75, v76
	v_cvt_i32_f32_e32 v76, v77
	v_exp_f32_e32 v75, v75
	s_waitcnt_depctr 0xfff
	v_ldexp_f32 v75, v75, v76
	s_delay_alu instid0(VALU_DEP_1) | instskip(SKIP_1) | instid1(VALU_DEP_1)
	v_cndmask_b32_e64 v75, 0, v75, s3
	v_cmp_nlt_f32_e64 s3, 0x42b17218, v73
	v_cndmask_b32_e64 v85, 0x7f800000, v75, s3
	s_delay_alu instid0(VALU_DEP_1) | instskip(SKIP_4) | instid1(VALU_DEP_2)
	v_cndmask_b32_e64 v73, v74, v85, s2
	ds_bpermute_b32 v74, v120, v85
	v_cndmask_b32_e64 v72, v72, v85, s1
	s_waitcnt lgkmcnt(0)
	v_cndmask_b32_e64 v73, v73, v74, s0
	v_cndmask_b32_e32 v74, v72, v74, vcc_lo
	s_delay_alu instid0(VALU_DEP_2) | instskip(NEXT) | instid1(VALU_DEP_2)
	v_cvt_f16_f32_e32 v72, v73
	v_cvt_f16_f32_e32 v75, v74
	s_delay_alu instid0(VALU_DEP_1) | instskip(SKIP_1) | instid1(VALU_DEP_1)
	v_pack_b32_f16 v72, v72, v75
	v_sub_f32_e32 v75, v131, v112
	v_mul_f32_e32 v76, 0x3fb8aa3b, v75
	v_cmp_ngt_f32_e64 s3, 0xc2ce8ed0, v75
	s_delay_alu instid0(VALU_DEP_2) | instskip(SKIP_1) | instid1(VALU_DEP_1)
	v_fma_f32 v77, 0x3fb8aa3b, v75, -v76
	v_rndne_f32_e32 v78, v76
	v_dual_fmac_f32 v77, 0x32a5705f, v75 :: v_dual_sub_f32 v76, v76, v78
	s_delay_alu instid0(VALU_DEP_1) | instskip(SKIP_1) | instid1(VALU_DEP_2)
	v_add_f32_e32 v76, v76, v77
	v_cvt_i32_f32_e32 v77, v78
	v_exp_f32_e32 v76, v76
	s_waitcnt_depctr 0xfff
	v_ldexp_f32 v76, v76, v77
	s_delay_alu instid0(VALU_DEP_1) | instskip(SKIP_1) | instid1(VALU_DEP_1)
	v_cndmask_b32_e64 v76, 0, v76, s3
	v_cmp_nlt_f32_e64 s3, 0x42b17218, v75
	v_cndmask_b32_e64 v86, 0x7f800000, v76, s3
	ds_bpermute_b32 v75, v120, v86
	v_cndmask_b32_e64 v73, v73, v86, s2
	v_cndmask_b32_e64 v74, v74, v86, s1
	s_waitcnt lgkmcnt(0)
	s_delay_alu instid0(VALU_DEP_2) | instskip(NEXT) | instid1(VALU_DEP_2)
	v_cndmask_b32_e64 v76, v73, v75, s0
	v_cndmask_b32_e32 v74, v74, v75, vcc_lo
	s_delay_alu instid0(VALU_DEP_2) | instskip(NEXT) | instid1(VALU_DEP_2)
	v_cvt_f16_f32_e32 v73, v76
	v_cvt_f16_f32_e32 v75, v74
	s_delay_alu instid0(VALU_DEP_1) | instskip(SKIP_1) | instid1(VALU_DEP_1)
	v_pack_b32_f16 v73, v73, v75
	v_sub_f32_e32 v75, v130, v112
	v_mul_f32_e32 v77, 0x3fb8aa3b, v75
	v_cmp_ngt_f32_e64 s3, 0xc2ce8ed0, v75
	s_delay_alu instid0(VALU_DEP_2) | instskip(SKIP_1) | instid1(VALU_DEP_2)
	v_fma_f32 v78, 0x3fb8aa3b, v75, -v77
	v_rndne_f32_e32 v79, v77
	v_fmac_f32_e32 v78, 0x32a5705f, v75
	s_delay_alu instid0(VALU_DEP_2) | instskip(NEXT) | instid1(VALU_DEP_1)
	v_sub_f32_e32 v77, v77, v79
	v_add_f32_e32 v77, v77, v78
	v_cvt_i32_f32_e32 v78, v79
	s_delay_alu instid0(VALU_DEP_2) | instskip(SKIP_2) | instid1(VALU_DEP_1)
	v_exp_f32_e32 v77, v77
	s_waitcnt_depctr 0xfff
	v_ldexp_f32 v77, v77, v78
	v_cndmask_b32_e64 v77, 0, v77, s3
	v_cmp_nlt_f32_e64 s3, 0x42b17218, v75
	s_delay_alu instid0(VALU_DEP_1) | instskip(NEXT) | instid1(VALU_DEP_1)
	v_cndmask_b32_e64 v117, 0x7f800000, v77, s3
	v_cndmask_b32_e64 v75, v76, v117, s2
	ds_bpermute_b32 v76, v120, v117
	v_cndmask_b32_e64 v74, v74, v117, s1
	s_waitcnt lgkmcnt(0)
	v_cndmask_b32_e64 v75, v75, v76, s0
	s_delay_alu instid0(VALU_DEP_2)
	v_cndmask_b32_e32 v74, v74, v76, vcc_lo
	ds_load_u16 v95, v115 offset:11712
	ds_load_u16 v76, v115 offset:7872
	;; [unrolled: 1-line block ×27, first 2 shown]
	ds_load_u16_d16_hi v138, v116 offset:7920
	ds_load_u16_d16_hi v142, v116 offset:9840
	;; [unrolled: 1-line block ×7, first 2 shown]
	ds_load_u16 v210, v111 offset:7840
	ds_load_u16 v77, v111 offset:7872
	;; [unrolled: 1-line block ×5, first 2 shown]
	ds_load_u16_d16_hi v140, v116 offset:8880
	ds_load_u16_d16_hi v148, v116 offset:8912
	v_cvt_f16_f32_e32 v75, v75
	v_cvt_f16_f32_e32 v74, v74
	s_delay_alu instid0(VALU_DEP_1)
	v_pack_b32_f16 v74, v75, v74
	s_waitcnt lgkmcnt(16)
	ds_load_u16_d16_hi v89, v116 offset:8944
	s_waitcnt lgkmcnt(16)
	ds_load_u16_d16_hi v155, v116 offset:8976
	;; [unrolled: 2-line block ×3, first 2 shown]
	ds_load_u16 v91, v113 offset:7744
	ds_load_u16 v157, v113 offset:7776
	;; [unrolled: 1-line block ×5, first 2 shown]
	ds_load_u16_d16_hi v141, v116 offset:9360
	ds_load_u16_d16_hi v149, v116 offset:9392
	;; [unrolled: 1-line block ×6, first 2 shown]
	ds_load_u16 v81, v110 offset:7872
	ds_load_u16_d16_hi v143, v116 offset:10320
	ds_load_u16_d16_hi v151, v116 offset:10352
	;; [unrolled: 1-line block ×6, first 2 shown]
	ds_load_u16 v75, v116 offset:7872
	ds_load_u16_d16_hi v76, v116 offset:8592
	s_waitcnt lgkmcnt(28)
	ds_load_u16_d16_hi v77, v116 offset:9072
	ds_load_u16 v134, v113 offset:11520
	ds_load_u16 v173, v113 offset:11552
	;; [unrolled: 1-line block ×3, first 2 shown]
	ds_load_u16_d16_hi v150, v116 offset:9872
	s_waitcnt lgkmcnt(24)
	ds_load_u16_d16_hi v91, v116 offset:9904
	s_waitcnt lgkmcnt(24)
	;; [unrolled: 2-line block ×5, first 2 shown]
	ds_load_u16_d16_hi v79, v116 offset:10032
	ds_load_u16_d16_hi v78, v116 offset:9552
	;; [unrolled: 1-line block ×3, first 2 shown]
	ds_load_u16 v136, v110 offset:11520
	ds_load_u16 v175, v110 offset:11552
	;; [unrolled: 1-line block ×3, first 2 shown]
	s_waitcnt lgkmcnt(23)
	ds_load_u16_d16_hi v81, v116 offset:10992
	ds_load_u16 v93, v110 offset:7744
	ds_load_u16 v159, v110 offset:7776
	;; [unrolled: 1-line block ×4, first 2 shown]
	ds_load_u16_d16_hi v147, v116 offset:8432
	ds_load_u16_d16_hi v152, v116 offset:10832
	s_waitcnt lgkmcnt(5)
	ds_load_u16_d16_hi v93, v116 offset:10864
	s_waitcnt lgkmcnt(5)
	ds_load_u16_d16_hi v159, v116 offset:10896
	s_waitcnt lgkmcnt(5)
	ds_load_u16_d16_hi v167, v116 offset:10928
	s_waitcnt lgkmcnt(5)
	ds_load_u16_d16_hi v214, v116 offset:10960
	ds_load_u16_d16_hi v88, v116 offset:8464
	;; [unrolled: 1-line block ×4, first 2 shown]
	v_wmma_f32_16x16x16_f16 v[48:55], v[138:145], v[67:74], v[48:55]
	s_waitcnt lgkmcnt(7)
	v_wmma_f32_16x16x16_f16 v[40:47], v[146:153], v[67:74], v[40:47]
	ds_load_u16 v82, v114 offset:7872
	ds_load_u16 v137, v114 offset:11520
	;; [unrolled: 1-line block ×11, first 2 shown]
	ds_load_u16_d16_hi v94, v116 offset:11344
	ds_load_u16_d16_hi v160, v116 offset:11376
	s_waitcnt lgkmcnt(5)
	ds_load_u16_d16_hi v87, v116 offset:7984
	s_waitcnt lgkmcnt(5)
	;; [unrolled: 2-line block ×4, first 2 shown]
	ds_load_u16_d16_hi v208, v116 offset:8080
	ds_load_u16_d16_hi v168, v116 offset:11408
	;; [unrolled: 1-line block ×4, first 2 shown]
	ds_load_u16 v130, v116 offset:11520
	ds_load_u16 v169, v116 offset:11552
	;; [unrolled: 1-line block ×3, first 2 shown]
	ds_load_u16_d16_hi v162, v116 offset:8528
	ds_load_u16_d16_hi v209, v116 offset:8560
	;; [unrolled: 1-line block ×3, first 2 shown]
	ds_load_u16 v186, v111 offset:11616
	ds_load_u16 v194, v111 offset:11648
	;; [unrolled: 1-line block ×6, first 2 shown]
	ds_load_u16_d16_hi v133, v116 offset:13200
	ds_load_u16_d16_hi v134, v116 offset:13680
	;; [unrolled: 1-line block ×3, first 2 shown]
	s_waitcnt lgkmcnt(14)
	ds_load_u16_d16_hi v130, v116 offset:11760
	s_waitcnt lgkmcnt(14)
	ds_load_u16_d16_hi v169, v116 offset:11792
	ds_load_u16_d16_hi v136, v116 offset:14640
	;; [unrolled: 1-line block ×4, first 2 shown]
	s_waitcnt lgkmcnt(17)
	ds_load_u16_d16_hi v177, v116 offset:11824
	ds_load_u16_d16_hi v137, v116 offset:15120
	;; [unrolled: 1-line block ×7, first 2 shown]
	v_wmma_f32_16x16x16_f16 v[32:39], v[87:94], v[67:74], v[32:39]
	v_wmma_f32_16x16x16_f16 v[24:31], v[153:160], v[67:74], v[24:31]
	s_waitcnt lgkmcnt(23)
	v_wmma_f32_16x16x16_f16 v[16:23], v[161:168], v[67:74], v[16:23]
	s_waitcnt lgkmcnt(21)
	v_wmma_f32_16x16x16_f16 v[8:15], v[208:215], v[67:74], v[8:15]
	v_wmma_f32_16x16x16_f16 v[0:7], v[75:82], v[67:74], v[0:7]
	v_sub_f32_e32 v67, v128, v112
	s_waitcnt lgkmcnt(20)
	ds_load_u16_d16_hi v186, v116 offset:12816
	s_waitcnt lgkmcnt(20)
	ds_load_u16_d16_hi v194, v116 offset:12848
	;; [unrolled: 2-line block ×3, first 2 shown]
	ds_load_u16_d16_hi v173, v116 offset:13712
	ds_load_u16_d16_hi v181, v116 offset:13744
	s_waitcnt lgkmcnt(22)
	ds_load_u16_d16_hi v188, v116 offset:13776
	s_waitcnt lgkmcnt(22)
	;; [unrolled: 2-line block ×3, first 2 shown]
	ds_load_u16_d16_hi v204, v116 offset:13840
	ds_load_u16 v94, v116 offset:11712
	ds_load_u16_d16_hi v95, v116 offset:12432
	ds_load_u16_d16_hi v172, v116 offset:13232
	;; [unrolled: 1-line block ×20, first 2 shown]
	s_waitcnt lgkmcnt(20)
	ds_load_u16_d16_hi v94, v116 offset:11952
	v_mul_f32_e32 v68, 0x3fb8aa3b, v67
	v_cmp_ngt_f32_e64 s3, 0xc2ce8ed0, v67
	ds_load_u16 v190, v110 offset:11616
	ds_load_u16 v198, v110 offset:11648
	;; [unrolled: 1-line block ×3, first 2 shown]
	ds_load_u16_d16_hi v183, v116 offset:14704
	s_waitcnt lgkmcnt(3)
	ds_load_u16_d16_hi v190, v116 offset:14736
	s_waitcnt lgkmcnt(3)
	;; [unrolled: 2-line block ×3, first 2 shown]
	ds_load_u16_d16_hi v206, v116 offset:14800
	v_fma_f32 v69, 0x3fb8aa3b, v67, -v68
	v_rndne_f32_e32 v70, v68
	s_delay_alu instid0(VALU_DEP_1) | instskip(SKIP_1) | instid1(VALU_DEP_2)
	v_dual_fmac_f32 v69, 0x32a5705f, v67 :: v_dual_sub_f32 v68, v68, v70
	v_cvt_i32_f32_e32 v70, v70
	v_dual_add_f32 v68, v68, v69 :: v_dual_sub_f32 v69, v127, v112
	s_delay_alu instid0(VALU_DEP_1) | instskip(NEXT) | instid1(VALU_DEP_1)
	v_exp_f32_e32 v68, v68
	v_mul_f32_e32 v71, 0x3fb8aa3b, v69
	v_cmp_ngt_f32_e64 s4, 0xc2ce8ed0, v69
	s_delay_alu instid0(VALU_DEP_2)
	v_fma_f32 v72, 0x3fb8aa3b, v69, -v71
	v_rndne_f32_e32 v73, v71
	s_waitcnt_depctr 0xfff
	v_ldexp_f32 v68, v68, v70
	v_fmac_f32_e32 v72, 0x32a5705f, v69
	v_sub_f32_e32 v71, v71, v73
	s_delay_alu instid0(VALU_DEP_3) | instskip(SKIP_1) | instid1(VALU_DEP_3)
	v_cndmask_b32_e64 v68, 0, v68, s3
	v_cmp_nlt_f32_e64 s3, 0x42b17218, v67
	v_add_f32_e32 v71, v71, v72
	s_delay_alu instid0(VALU_DEP_2) | instskip(NEXT) | instid1(VALU_DEP_2)
	v_cndmask_b32_e64 v76, 0x7f800000, v68, s3
	v_exp_f32_e32 v70, v71
	v_cvt_i32_f32_e32 v71, v73
	s_waitcnt_depctr 0xfff
	v_ldexp_f32 v70, v70, v71
	s_delay_alu instid0(VALU_DEP_1)
	v_cndmask_b32_e64 v67, 0, v70, s4
	v_cmp_nlt_f32_e64 s4, 0x42b17218, v69
	ds_bpermute_b32 v69, v120, v76
	v_cndmask_b32_e64 v75, 0x7f800000, v67, s4
	ds_bpermute_b32 v67, v120, v75
	s_waitcnt lgkmcnt(0)
	v_cndmask_b32_e32 v68, v75, v67, vcc_lo
	v_cndmask_b32_e64 v67, v75, v67, s0
	s_delay_alu instid0(VALU_DEP_2) | instskip(NEXT) | instid1(VALU_DEP_2)
	v_cndmask_b32_e64 v71, v68, v76, s1
	v_cndmask_b32_e64 v70, v67, v76, s2
	v_cvt_f16_f32_e32 v67, v67
	v_cvt_f16_f32_e32 v68, v68
	s_delay_alu instid0(VALU_DEP_3) | instskip(SKIP_1) | instid1(VALU_DEP_3)
	v_cndmask_b32_e64 v70, v70, v69, s0
	v_cndmask_b32_e32 v69, v71, v69, vcc_lo
	v_pack_b32_f16 v67, v67, v68
	s_delay_alu instid0(VALU_DEP_3) | instskip(NEXT) | instid1(VALU_DEP_3)
	v_cvt_f16_f32_e32 v71, v70
	v_cvt_f16_f32_e32 v72, v69
	s_delay_alu instid0(VALU_DEP_1) | instskip(SKIP_1) | instid1(VALU_DEP_1)
	v_pack_b32_f16 v68, v71, v72
	v_sub_f32_e32 v71, v126, v112
	v_mul_f32_e32 v72, 0x3fb8aa3b, v71
	v_cmp_ngt_f32_e64 s3, 0xc2ce8ed0, v71
	s_delay_alu instid0(VALU_DEP_2) | instskip(SKIP_1) | instid1(VALU_DEP_1)
	v_fma_f32 v73, 0x3fb8aa3b, v71, -v72
	v_rndne_f32_e32 v74, v72
	v_dual_fmac_f32 v73, 0x32a5705f, v71 :: v_dual_sub_f32 v72, v72, v74
	s_delay_alu instid0(VALU_DEP_1) | instskip(SKIP_1) | instid1(VALU_DEP_2)
	v_add_f32_e32 v72, v72, v73
	v_cvt_i32_f32_e32 v73, v74
	v_exp_f32_e32 v72, v72
	s_waitcnt_depctr 0xfff
	v_ldexp_f32 v72, v72, v73
	s_delay_alu instid0(VALU_DEP_1) | instskip(SKIP_1) | instid1(VALU_DEP_1)
	v_cndmask_b32_e64 v72, 0, v72, s3
	v_cmp_nlt_f32_e64 s3, 0x42b17218, v71
	v_cndmask_b32_e64 v77, 0x7f800000, v72, s3
	ds_bpermute_b32 v71, v120, v77
	v_cndmask_b32_e64 v70, v70, v77, s2
	v_cndmask_b32_e64 v69, v69, v77, s1
	s_waitcnt lgkmcnt(0)
	s_delay_alu instid0(VALU_DEP_2) | instskip(NEXT) | instid1(VALU_DEP_2)
	v_cndmask_b32_e64 v70, v70, v71, s0
	v_cndmask_b32_e32 v71, v69, v71, vcc_lo
	s_delay_alu instid0(VALU_DEP_2) | instskip(NEXT) | instid1(VALU_DEP_2)
	v_cvt_f16_f32_e32 v69, v70
	v_cvt_f16_f32_e32 v72, v71
	s_delay_alu instid0(VALU_DEP_1) | instskip(SKIP_1) | instid1(VALU_DEP_1)
	v_pack_b32_f16 v69, v69, v72
	v_sub_f32_e32 v72, v125, v112
	v_mul_f32_e32 v73, 0x3fb8aa3b, v72
	v_cmp_ngt_f32_e64 s3, 0xc2ce8ed0, v72
	s_delay_alu instid0(VALU_DEP_2) | instskip(SKIP_1) | instid1(VALU_DEP_1)
	v_fma_f32 v74, 0x3fb8aa3b, v72, -v73
	v_rndne_f32_e32 v78, v73
	v_dual_fmac_f32 v74, 0x32a5705f, v72 :: v_dual_sub_f32 v73, v73, v78
	s_delay_alu instid0(VALU_DEP_1) | instskip(SKIP_1) | instid1(VALU_DEP_2)
	v_add_f32_e32 v73, v73, v74
	v_cvt_i32_f32_e32 v74, v78
	v_exp_f32_e32 v73, v73
	s_waitcnt_depctr 0xfff
	v_ldexp_f32 v73, v73, v74
	s_delay_alu instid0(VALU_DEP_1) | instskip(SKIP_1) | instid1(VALU_DEP_1)
	v_cndmask_b32_e64 v73, 0, v73, s3
	v_cmp_nlt_f32_e64 s3, 0x42b17218, v72
	v_cndmask_b32_e64 v78, 0x7f800000, v73, s3
	ds_bpermute_b32 v72, v120, v78
	v_cndmask_b32_e64 v70, v70, v78, s2
	v_cndmask_b32_e64 v71, v71, v78, s1
	s_waitcnt lgkmcnt(0)
	s_delay_alu instid0(VALU_DEP_2) | instskip(NEXT) | instid1(VALU_DEP_2)
	v_cndmask_b32_e64 v73, v70, v72, s0
	v_cndmask_b32_e32 v71, v71, v72, vcc_lo
	s_delay_alu instid0(VALU_DEP_2) | instskip(NEXT) | instid1(VALU_DEP_2)
	v_cvt_f16_f32_e32 v70, v73
	v_cvt_f16_f32_e32 v72, v71
	s_delay_alu instid0(VALU_DEP_1) | instskip(SKIP_1) | instid1(VALU_DEP_1)
	v_pack_b32_f16 v70, v70, v72
	v_sub_f32_e32 v72, v124, v112
	v_mul_f32_e32 v74, 0x3fb8aa3b, v72
	v_cmp_ngt_f32_e64 s3, 0xc2ce8ed0, v72
	s_delay_alu instid0(VALU_DEP_2) | instskip(SKIP_1) | instid1(VALU_DEP_2)
	v_fma_f32 v79, 0x3fb8aa3b, v72, -v74
	v_rndne_f32_e32 v80, v74
	v_fmac_f32_e32 v79, 0x32a5705f, v72
	s_delay_alu instid0(VALU_DEP_2) | instskip(NEXT) | instid1(VALU_DEP_1)
	v_sub_f32_e32 v74, v74, v80
	v_add_f32_e32 v74, v74, v79
	v_cvt_i32_f32_e32 v79, v80
	s_delay_alu instid0(VALU_DEP_2) | instskip(SKIP_2) | instid1(VALU_DEP_1)
	v_exp_f32_e32 v74, v74
	s_waitcnt_depctr 0xfff
	v_ldexp_f32 v74, v74, v79
	v_cndmask_b32_e64 v74, 0, v74, s3
	v_cmp_nlt_f32_e64 s3, 0x42b17218, v72
	s_delay_alu instid0(VALU_DEP_1) | instskip(NEXT) | instid1(VALU_DEP_1)
	v_cndmask_b32_e64 v79, 0x7f800000, v74, s3
	v_cndmask_b32_e64 v72, v73, v79, s2
	ds_bpermute_b32 v73, v120, v79
	v_cndmask_b32_e64 v71, v71, v79, s1
	s_waitcnt lgkmcnt(0)
	v_cndmask_b32_e64 v72, v72, v73, s0
	s_delay_alu instid0(VALU_DEP_2) | instskip(NEXT) | instid1(VALU_DEP_2)
	v_cndmask_b32_e32 v73, v71, v73, vcc_lo
	v_cvt_f16_f32_e32 v71, v72
	s_delay_alu instid0(VALU_DEP_2) | instskip(NEXT) | instid1(VALU_DEP_1)
	v_cvt_f16_f32_e32 v74, v73
	v_pack_b32_f16 v71, v71, v74
	v_sub_f32_e32 v74, v123, v112
	s_delay_alu instid0(VALU_DEP_1) | instskip(SKIP_1) | instid1(VALU_DEP_2)
	v_mul_f32_e32 v80, 0x3fb8aa3b, v74
	v_cmp_ngt_f32_e64 s3, 0xc2ce8ed0, v74
	v_fma_f32 v81, 0x3fb8aa3b, v74, -v80
	v_rndne_f32_e32 v82, v80
	s_delay_alu instid0(VALU_DEP_2) | instskip(NEXT) | instid1(VALU_DEP_2)
	v_fmac_f32_e32 v81, 0x32a5705f, v74
	v_sub_f32_e32 v80, v80, v82
	s_delay_alu instid0(VALU_DEP_1) | instskip(SKIP_1) | instid1(VALU_DEP_2)
	v_add_f32_e32 v80, v80, v81
	v_cvt_i32_f32_e32 v81, v82
	v_exp_f32_e32 v80, v80
	s_waitcnt_depctr 0xfff
	v_ldexp_f32 v80, v80, v81
	s_delay_alu instid0(VALU_DEP_1) | instskip(SKIP_1) | instid1(VALU_DEP_1)
	v_cndmask_b32_e64 v80, 0, v80, s3
	v_cmp_nlt_f32_e64 s3, 0x42b17218, v74
	v_cndmask_b32_e64 v80, 0x7f800000, v80, s3
	ds_bpermute_b32 v74, v120, v80
	v_cndmask_b32_e64 v72, v72, v80, s2
	v_cndmask_b32_e64 v73, v73, v80, s1
	s_waitcnt lgkmcnt(0)
	s_delay_alu instid0(VALU_DEP_2) | instskip(NEXT) | instid1(VALU_DEP_2)
	v_cndmask_b32_e64 v81, v72, v74, s0
	v_cndmask_b32_e32 v73, v73, v74, vcc_lo
	s_delay_alu instid0(VALU_DEP_2) | instskip(NEXT) | instid1(VALU_DEP_2)
	v_cvt_f16_f32_e32 v72, v81
	v_cvt_f16_f32_e32 v74, v73
	s_delay_alu instid0(VALU_DEP_1) | instskip(SKIP_1) | instid1(VALU_DEP_1)
	v_pack_b32_f16 v72, v72, v74
	v_sub_f32_e32 v74, v122, v112
	v_mul_f32_e32 v82, 0x3fb8aa3b, v74
	v_cmp_ngt_f32_e64 s3, 0xc2ce8ed0, v74
	s_delay_alu instid0(VALU_DEP_2) | instskip(SKIP_1) | instid1(VALU_DEP_1)
	v_fma_f32 v87, 0x3fb8aa3b, v74, -v82
	v_rndne_f32_e32 v88, v82
	v_dual_fmac_f32 v87, 0x32a5705f, v74 :: v_dual_sub_f32 v82, v82, v88
	s_delay_alu instid0(VALU_DEP_1) | instskip(SKIP_1) | instid1(VALU_DEP_2)
	v_add_f32_e32 v82, v82, v87
	v_cvt_i32_f32_e32 v87, v88
	v_exp_f32_e32 v82, v82
	s_waitcnt_depctr 0xfff
	v_ldexp_f32 v82, v82, v87
	s_delay_alu instid0(VALU_DEP_1) | instskip(SKIP_1) | instid1(VALU_DEP_1)
	v_cndmask_b32_e64 v82, 0, v82, s3
	v_cmp_nlt_f32_e64 s3, 0x42b17218, v74
	v_cndmask_b32_e64 v82, 0x7f800000, v82, s3
	s_delay_alu instid0(VALU_DEP_1) | instskip(SKIP_4) | instid1(VALU_DEP_2)
	v_cndmask_b32_e64 v74, v81, v82, s2
	ds_bpermute_b32 v81, v120, v82
	v_cndmask_b32_e64 v73, v73, v82, s1
	s_waitcnt lgkmcnt(0)
	v_cndmask_b32_e64 v74, v74, v81, s0
	v_cndmask_b32_e32 v81, v73, v81, vcc_lo
	s_delay_alu instid0(VALU_DEP_2) | instskip(NEXT) | instid1(VALU_DEP_2)
	v_cvt_f16_f32_e32 v73, v74
	v_cvt_f16_f32_e32 v87, v81
	s_delay_alu instid0(VALU_DEP_1) | instskip(SKIP_1) | instid1(VALU_DEP_1)
	v_pack_b32_f16 v73, v73, v87
	v_sub_f32_e32 v87, v121, v112
	v_mul_f32_e32 v88, 0x3fb8aa3b, v87
	s_delay_alu instid0(VALU_DEP_1) | instskip(SKIP_1) | instid1(VALU_DEP_1)
	v_fma_f32 v89, 0x3fb8aa3b, v87, -v88
	v_rndne_f32_e32 v90, v88
	v_dual_sub_f32 v88, v88, v90 :: v_dual_fmac_f32 v89, 0x32a5705f, v87
	v_cmp_ngt_f32_e64 s3, 0xc2ce8ed0, v87
	s_delay_alu instid0(VALU_DEP_2) | instskip(SKIP_1) | instid1(VALU_DEP_2)
	v_add_f32_e32 v88, v88, v89
	v_cvt_i32_f32_e32 v89, v90
	v_exp_f32_e32 v88, v88
	s_waitcnt_depctr 0xfff
	v_ldexp_f32 v88, v88, v89
	s_delay_alu instid0(VALU_DEP_1) | instskip(SKIP_1) | instid1(VALU_DEP_1)
	v_cndmask_b32_e64 v88, 0, v88, s3
	v_cmp_nlt_f32_e64 s3, 0x42b17218, v87
	v_cndmask_b32_e64 v87, 0x7f800000, v88, s3
	ds_bpermute_b32 v88, v120, v87
	v_cndmask_b32_e64 v74, v74, v87, s2
	v_cndmask_b32_e64 v81, v81, v87, s1
	s_waitcnt lgkmcnt(0)
	s_delay_alu instid0(VALU_DEP_2) | instskip(NEXT) | instid1(VALU_DEP_2)
	v_cndmask_b32_e64 v74, v74, v88, s0
	v_cndmask_b32_e32 v81, v81, v88, vcc_lo
	v_cmp_gt_u32_e32 vcc_lo, 16, v236
	s_delay_alu instid0(VALU_DEP_3) | instskip(NEXT) | instid1(VALU_DEP_3)
	v_cvt_f16_f32_e32 v74, v74
	v_cvt_f16_f32_e32 v81, v81
	s_delay_alu instid0(VALU_DEP_1) | instskip(NEXT) | instid1(VALU_DEP_1)
	v_pack_b32_f16 v74, v74, v81
	v_wmma_f32_16x16x16_f16 v[32:39], v[177:184], v[67:74], v[32:39]
	ds_load_u16 v184, v116 offset:11616
	ds_load_u16 v192, v116 offset:11648
	;; [unrolled: 1-line block ×3, first 2 shown]
	ds_load_u16_d16_hi v191, v116 offset:15216
	ds_load_u16_d16_hi v199, v116 offset:15248
	s_waitcnt lgkmcnt(4)
	ds_load_u16_d16_hi v184, v116 offset:11856
	s_waitcnt lgkmcnt(4)
	;; [unrolled: 2-line block ×3, first 2 shown]
	ds_load_u16_d16_hi v200, v116 offset:11920
	ds_load_u16_d16_hi v207, v116 offset:15280
	;; [unrolled: 1-line block ×3, first 2 shown]
	v_wmma_f32_16x16x16_f16 v[48:55], v[130:137], v[67:74], v[48:55]
	v_wmma_f32_16x16x16_f16 v[40:47], v[169:176], v[67:74], v[40:47]
	;; [unrolled: 1-line block ×3, first 2 shown]
	s_waitcnt lgkmcnt(0)
	s_barrier
	buffer_gl0_inv
	s_barrier
	buffer_gl0_inv
	v_wmma_f32_16x16x16_f16 v[24:31], v[184:191], v[67:74], v[24:31]
	v_wmma_f32_16x16x16_f16 v[16:23], v[192:199], v[67:74], v[16:23]
	;; [unrolled: 1-line block ×3, first 2 shown]
	v_add_f32_e32 v67, v102, v103
	s_delay_alu instid0(VALU_DEP_1) | instskip(NEXT) | instid1(VALU_DEP_1)
	v_add_f32_e32 v67, v104, v67
	v_add_f32_e32 v67, v105, v67
	s_delay_alu instid0(VALU_DEP_1) | instskip(NEXT) | instid1(VALU_DEP_1)
	v_add_f32_e32 v67, v106, v67
	;; [unrolled: 3-line block ×15, first 2 shown]
	v_add_f32_e32 v56, v87, v56
	s_delay_alu instid0(VALU_DEP_1)
	v_fmac_f32_e32 v56, v253, v129
	ds_bpermute_b32 v57, v120, v56
	s_mov_b32 s0, exec_lo
	s_clause 0x2
	scratch_load_b32 v60, off, off offset:1472
	scratch_load_b32 v61, off, off offset:1476
	;; [unrolled: 1-line block ×3, first 2 shown]
	v_readlane_b32 s5, v254, 8
	s_and_b32 s1, s0, vcc_lo
	s_delay_alu instid0(SALU_CYCLE_1)
	s_mov_b32 exec_lo, s1
	s_cbranch_execz .LBB19_661
; %bb.660:
	v_readlane_b32 s1, v254, 9
	v_or_b32_e32 v58, v228, v236
	v_mov_b32_e32 v59, 0
	s_mov_b32 s3, s16
	s_waitcnt lgkmcnt(0)
	v_add_f32_e32 v113, v56, v57
	s_add_i32 s1, s1, s5
	v_lshlrev_b64 v[58:59], 3, v[58:59]
	s_lshl_b32 s2, s1, 6
	s_delay_alu instid0(SALU_CYCLE_1) | instskip(NEXT) | instid1(SALU_CYCLE_1)
	s_lshl_b64 s[2:3], s[2:3], 3
	s_add_u32 s1, s30, s2
	s_addc_u32 s2, s31, s3
	s_delay_alu instid0(VALU_DEP_1)
	v_add_co_u32 v58, vcc_lo, s1, v58
	v_add_co_ci_u32_e32 v59, vcc_lo, s2, v59, vcc_lo
	global_store_b64 v[58:59], v[112:113], off
.LBB19_661:
	s_or_b32 exec_lo, exec_lo, s0
	v_or_b32_e32 v56, v228, v225
	v_readlane_b32 s2, v254, 4
	v_readlane_b32 s3, v254, 5
	v_cvt_f16_f32_e32 v48, v48
	v_cvt_f16_f32_e32 v40, v40
	v_mul_i32_i24_e32 v56, 0xf0, v56
	v_cvt_f16_f32_e32 v32, v32
	v_cvt_f16_f32_e32 v24, v24
	;; [unrolled: 1-line block ×4, first 2 shown]
	v_add3_u32 v56, 0, v56, v249
	v_cvt_f16_f32_e32 v49, v49
	v_cvt_f16_f32_e32 v41, v41
	;; [unrolled: 1-line block ×24, first 2 shown]
	s_clause 0x1
	s_load_b32 s0, s[2:3], 0x10
	s_load_b32 s1, s[2:3], 0x0
	v_cvt_f16_f32_e32 v53, v53
	v_cvt_f16_f32_e32 v54, v54
	;; [unrolled: 1-line block ×3, first 2 shown]
	ds_store_b16 v56, v48
	ds_store_b16 v56, v49 offset:4
	ds_store_b16 v56, v50 offset:8
	ds_store_b16 v56, v51 offset:12
	ds_store_b16 v56, v52 offset:16
	ds_store_b16 v56, v53 offset:20
	ds_store_b16 v56, v54 offset:24
	ds_store_b16 v56, v55 offset:28
	v_cvt_f16_f32_e32 v45, v45
	v_cvt_f16_f32_e32 v46, v46
	v_cvt_f16_f32_e32 v47, v47
	ds_store_b16 v56, v40 offset:32
	ds_store_b16 v56, v41 offset:36
	ds_store_b16 v56, v42 offset:40
	ds_store_b16 v56, v43 offset:44
	ds_store_b16 v56, v44 offset:48
	ds_store_b16 v56, v45 offset:52
	ds_store_b16 v56, v46 offset:56
	ds_store_b16 v56, v47 offset:60
	v_cvt_f16_f32_e32 v37, v37
	v_cvt_f16_f32_e32 v38, v38
	v_cvt_f16_f32_e32 v39, v39
	ds_store_b16 v56, v32 offset:64
	;; [unrolled: 11-line block ×5, first 2 shown]
	ds_store_b16 v56, v9 offset:164
	ds_store_b16 v56, v10 offset:168
	;; [unrolled: 1-line block ×7, first 2 shown]
	v_cvt_f16_f32_e32 v0, v0
	v_cvt_f16_f32_e32 v8, v2
	v_lshl_add_u32 v2, v221, 2, v119
	v_cvt_f16_f32_e32 v1, v1
	v_cvt_f16_f32_e32 v3, v3
	;; [unrolled: 1-line block ×6, first 2 shown]
	ds_store_b16 v56, v0 offset:192
	ds_store_b16 v56, v1 offset:196
	;; [unrolled: 1-line block ×8, first 2 shown]
	s_waitcnt vmcnt(0) lgkmcnt(0)
	s_waitcnt_vscnt null, 0x0
	s_barrier
	buffer_gl0_inv
	ds_load_2addr_b32 v[3:4], v2 offset1:240
	v_dual_mov_b32 v1, 0 :: v_dual_add_nc_u32 v0, 0x780, v2
	s_lshr_b32 s0, s0, 16
	s_mul_i32 s2, s5, 0xe00
	s_cmp_lg_u32 s0, 0
	ds_load_2addr_b32 v[5:6], v0 offset1:240
	v_sub_nc_u32_e32 v0, v222, v248
	s_cselect_b32 s0, -1, 0
	s_mov_b32 s3, s16
	s_cmp_lg_u32 s0, 0
	v_lshl_add_u32 v18, v226, 2, 0
	v_lshlrev_b64 v[9:10], 3, v[0:1]
	s_addc_u32 s0, s1, 0
	s_mov_b32 s1, s16
	s_lshl_b32 s0, s0, 7
	v_mul_u32_u24_e32 v17, 56, v245
	s_lshl_b64 s[0:1], s[0:1], 3
	s_delay_alu instid0(SALU_CYCLE_1)
	s_add_u32 s4, s30, s0
	s_waitcnt lgkmcnt(1)
	v_lshrrev_b32_e32 v7, 16, v3
	v_cvt_f32_f16_e32 v3, v3
	v_lshlrev_b32_e32 v12, 2, v220
	s_addc_u32 s5, s31, s1
	s_lshl_b64 s[0:1], s[2:3], 3
	v_cvt_f32_f16_e32 v8, v7
	v_add_f32_e32 v7, 0, v3
	v_add_nc_u32_e32 v11, 0xf0, v222
	s_waitcnt lgkmcnt(0)
	v_lshrrev_b32_e32 v14, 16, v5
	v_cvt_f32_f16_e32 v5, v5
	v_add_f32_e32 v8, 0, v8
	v_lshrrev_b32_e32 v3, 16, v4
	v_sub_nc_u32_e32 v0, v11, v12
	s_delay_alu instid0(VALU_DEP_4) | instskip(SKIP_1) | instid1(VALU_DEP_3)
	v_dual_add_f32 v15, 0, v5 :: v_dual_lshlrev_b32 v12, 2, v219
	s_add_u32 s0, s4, s0
	v_cvt_f32_f16_e32 v13, v3
	s_addc_u32 s1, s5, s1
	s_delay_alu instid0(VALU_DEP_2) | instskip(SKIP_3) | instid1(VALU_DEP_3)
	v_sub_nc_u32_e32 v11, v11, v12
	v_cvt_f32_f16_e32 v12, v4
	v_lshlrev_b64 v[3:4], 3, v[0:1]
	v_add_co_u32 v9, vcc_lo, s0, v9
	v_dual_add_f32 v11, 0, v12 :: v_dual_add_nc_u32 v0, 0xf0, v11
	v_add_f32_e32 v12, 0, v13
	v_cvt_f32_f16_e32 v16, v14
	v_add_co_ci_u32_e32 v10, vcc_lo, s1, v10, vcc_lo
	s_delay_alu instid0(VALU_DEP_4) | instskip(SKIP_3) | instid1(VALU_DEP_4)
	v_lshlrev_b64 v[13:14], 3, v[0:1]
	v_add_co_u32 v3, vcc_lo, s0, v3
	v_add_co_ci_u32_e32 v4, vcc_lo, s1, v4, vcc_lo
	v_add_f32_e32 v16, 0, v16
	v_add_co_u32 v13, vcc_lo, s0, v13
	v_add_co_ci_u32_e32 v14, vcc_lo, s1, v14, vcc_lo
	s_clause 0x2
	global_store_b64 v[9:10], v[7:8], off
	global_store_b64 v[3:4], v[11:12], off
	;; [unrolled: 1-line block ×3, first 2 shown]
	v_add_nc_u32_e32 v7, 0x12c0, v2
	v_and_or_b32 v3, 0x7f0, v244, v240
	v_lshrrev_b32_e32 v0, 16, v6
	v_add_nc_u32_e32 v11, 0x2d0, v222
	v_cvt_f32_f16_e32 v5, v6
	v_lshlrev_b32_e32 v4, 2, v242
	v_mul_u32_u24_e32 v3, 60, v3
	v_and_or_b32 v8, 0x7f0, v241, v240
	v_cvt_f32_f16_e32 v6, v0
	v_add_f32_e32 v5, 0, v5
	v_and_b32_e32 v9, 15, v223
	v_lshl_add_u32 v10, v3, 2, v119
	v_sub_nc_u32_e32 v0, v11, v4
	v_add_f32_e32 v6, 0, v6
	ds_load_2addr_b32 v[3:4], v7 offset1:240
	v_mul_u32_u24_e32 v7, 60, v8
	ds_load_b32 v10, v10
	v_and_or_b32 v8, 0x7f0, v239, v240
	v_and_or_b32 v12, 0x1ff0, v230, v9
	;; [unrolled: 1-line block ×4, first 2 shown]
	v_lshl_add_u32 v7, v7, 2, v119
	v_mul_u32_u24_e32 v8, 60, v8
	v_mad_u32_u24 v12, v12, 60, v225
	v_mad_u32_u24 v13, v13, 60, v225
	v_mad_u32_u24 v9, v9, 60, v225
	v_lshl_add_u32 v14, v247, 2, 0
	v_lshl_add_u32 v8, v8, 2, v119
	;; [unrolled: 1-line block ×5, first 2 shown]
	ds_load_b32 v19, v7
	ds_load_b32 v20, v8
	ds_load_b32 v21, v18 offset:128
	ds_load_b32 v22, v12 offset:128
	;; [unrolled: 1-line block ×5, first 2 shown]
	v_lshlrev_b64 v[7:8], 3, v[0:1]
	v_add_lshl_u32 v17, v17, v236, 3
	s_waitcnt lgkmcnt(8)
	v_lshrrev_b32_e32 v13, 16, v3
	v_cvt_f32_f16_e32 v3, v3
	s_waitcnt lgkmcnt(7)
	v_lshrrev_b32_e32 v9, 16, v10
	v_cvt_f32_f16_e32 v0, v10
	v_lshlrev_b32_e32 v12, 2, v238
	v_add_co_u32 v7, vcc_lo, s0, v7
	s_delay_alu instid0(VALU_DEP_4) | instskip(NEXT) | instid1(VALU_DEP_4)
	v_cvt_f32_f16_e32 v10, v9
	v_add_f32_e32 v9, 0, v0
	v_add_co_ci_u32_e32 v8, vcc_lo, s1, v8, vcc_lo
	v_add_nc_u32_e32 v0, 0x1c00, v17
	s_delay_alu instid0(VALU_DEP_4)
	v_add_f32_e32 v10, 0, v10
	v_sub_nc_u32_e32 v11, v11, v12
	global_store_b64 v[7:8], v[5:6], off
	v_add_f32_e32 v5, 0, v3
	v_cvt_f32_f16_e32 v6, v13
	global_store_b64 v0, v[9:10], s[0:1]
	v_add_nc_u32_e32 v0, 0x1e0, v11
	ds_load_b32 v11, v2 offset:6720
	v_add_nc_u32_e32 v9, 0x5a0, v222
	v_dual_add_f32 v6, 0, v6 :: v_dual_lshlrev_b32 v3, 2, v217
	v_lshlrev_b64 v[7:8], 3, v[0:1]
	v_lshrrev_b32_e32 v12, 16, v4
	v_cvt_f32_f16_e32 v10, v4
	s_delay_alu instid0(VALU_DEP_4)
	v_sub_nc_u32_e32 v0, v9, v3
	v_lshlrev_b32_e32 v13, 2, v218
	ds_load_b32 v26, v2 offset:10560
	ds_load_b32 v27, v2 offset:14400
	v_add_co_u32 v3, vcc_lo, s0, v7
	v_add_co_ci_u32_e32 v4, vcc_lo, s1, v8, vcc_lo
	v_cvt_f32_f16_e32 v8, v12
	s_delay_alu instid0(VALU_DEP_1)
	v_dual_add_f32 v7, 0, v10 :: v_dual_add_f32 v8, 0, v8
	v_sub_nc_u32_e32 v12, v9, v13
	v_lshlrev_b64 v[9:10], 3, v[0:1]
	s_waitcnt lgkmcnt(2)
	v_cvt_f32_f16_e32 v15, v11
	v_lshrrev_b32_e32 v13, 16, v11
	s_delay_alu instid0(VALU_DEP_2) | instskip(NEXT) | instid1(VALU_DEP_2)
	v_dual_add_f32 v15, 0, v15 :: v_dual_add_nc_u32 v0, 0xf0, v12
	v_cvt_f32_f16_e32 v16, v13
	v_add_co_u32 v9, vcc_lo, s0, v9
	s_delay_alu instid0(VALU_DEP_3)
	v_lshlrev_b64 v[11:12], 3, v[0:1]
	v_lshrrev_b32_e32 v0, 16, v19
	v_cvt_f32_f16_e32 v19, v19
	v_add_nc_u32_e32 v14, 0x21c0, v2
	v_add_co_ci_u32_e32 v10, vcc_lo, s1, v10, vcc_lo
	v_add_co_u32 v11, vcc_lo, s0, v11
	ds_load_2addr_b32 v[13:14], v14 offset1:240
	v_cvt_f32_f16_e32 v0, v0
	v_add_f32_e32 v16, 0, v16
	v_add_co_ci_u32_e32 v12, vcc_lo, s1, v12, vcc_lo
	s_clause 0x2
	global_store_b64 v[3:4], v[5:6], off
	global_store_b64 v[9:10], v[7:8], off
	global_store_b64 v[11:12], v[15:16], off
	v_dual_add_f32 v3, 0, v19 :: v_dual_add_f32 v4, 0, v0
	v_add_nc_u32_e32 v5, 0x870, v222
	v_add_nc_u32_e32 v0, 0x3800, v17
	v_lshlrev_b32_e32 v6, 2, v216
	v_add_nc_u32_e32 v2, 0x30c0, v2
	global_store_b64 v0, v[3:4], s[0:1]
	v_lshlrev_b32_e32 v4, 2, v62
	v_sub_nc_u32_e32 v0, v5, v6
	ds_load_2addr_b32 v[11:12], v2 offset1:240
	s_waitcnt lgkmcnt(1)
	v_lshrrev_b32_e32 v7, 16, v13
	v_sub_nc_u32_e32 v9, v5, v4
	v_cvt_f32_f16_e32 v8, v13
	v_lshlrev_b64 v[5:6], 3, v[0:1]
	v_add_nc_u32_e32 v13, 0xa50, v222
	v_cvt_f32_f16_e32 v7, v7
	s_delay_alu instid0(VALU_DEP_4) | instskip(SKIP_2) | instid1(VALU_DEP_4)
	v_dual_add_f32 v3, 0, v8 :: v_dual_add_nc_u32 v0, 0xf0, v9
	v_lshrrev_b32_e32 v8, 16, v14
	v_add_co_u32 v5, vcc_lo, s0, v5
	v_add_f32_e32 v4, 0, v7
	s_delay_alu instid0(VALU_DEP_4) | instskip(SKIP_4) | instid1(VALU_DEP_4)
	v_lshlrev_b64 v[9:10], 3, v[0:1]
	v_lshlrev_b32_e32 v0, 2, v61
	v_cvt_f32_f16_e32 v7, v14
	v_cvt_f32_f16_e32 v8, v8
	v_add_co_ci_u32_e32 v6, vcc_lo, s1, v6, vcc_lo
	v_sub_nc_u32_e32 v0, v13, v0
	v_add_co_u32 v9, vcc_lo, s0, v9
	s_delay_alu instid0(VALU_DEP_4)
	v_dual_add_f32 v7, 0, v7 :: v_dual_add_f32 v8, 0, v8
	v_add_co_ci_u32_e32 v10, vcc_lo, s1, v10, vcc_lo
	v_lshrrev_b32_e32 v14, 16, v26
	global_store_b64 v[5:6], v[3:4], off
	v_lshrrev_b32_e32 v6, 16, v20
	v_lshlrev_b64 v[2:3], 3, v[0:1]
	v_cvt_f32_f16_e32 v4, v26
	v_cvt_f32_f16_e32 v5, v14
	global_store_b64 v[9:10], v[7:8], off
	v_lshlrev_b32_e32 v8, 2, v60
	v_cvt_f32_f16_e32 v0, v20
	v_cvt_f32_f16_e32 v7, v6
	v_add_co_u32 v2, vcc_lo, s0, v2
	v_dual_add_f32 v4, 0, v4 :: v_dual_add_f32 v5, 0, v5
	v_add_co_ci_u32_e32 v3, vcc_lo, s1, v3, vcc_lo
	v_sub_nc_u32_e32 v8, v13, v8
	s_waitcnt lgkmcnt(0)
	v_cvt_f32_f16_e32 v10, v11
	v_dual_add_f32 v6, 0, v0 :: v_dual_add_f32 v7, 0, v7
	v_add_nc_u32_e32 v0, 0x5400, v17
	s_clause 0x1
	global_store_b64 v[2:3], v[4:5], off
	global_store_b64 v0, v[6:7], s[0:1]
	v_add_nc_u32_e32 v0, 0x1e0, v8
	v_dual_add_f32 v2, 0, v10 :: v_dual_lshlrev_b32 v7, 2, v224
	v_add_nc_u32_e32 v6, 0xd20, v222
	v_lshrrev_b32_e32 v9, 16, v11
	s_delay_alu instid0(VALU_DEP_4)
	v_lshlrev_b64 v[4:5], 3, v[0:1]
	v_cvt_f32_f16_e32 v8, v12
	v_cvt_f32_f16_e32 v13, v27
	v_sub_nc_u32_e32 v0, v6, v7
	v_lshlrev_b32_e32 v7, 2, v234
	v_cvt_f32_f16_e32 v3, v9
	v_lshrrev_b32_e32 v9, 16, v12
	v_lshrrev_b32_e32 v12, 16, v27
	v_add_co_u32 v4, vcc_lo, s0, v4
	v_sub_nc_u32_e32 v7, v6, v7
	s_delay_alu instid0(VALU_DEP_4)
	v_cvt_f32_f16_e32 v10, v9
	v_add_f32_e32 v6, 0, v8
	v_lshlrev_b64 v[8:9], 3, v[0:1]
	v_cvt_f32_f16_e32 v14, v12
	v_add_nc_u32_e32 v0, 0xf0, v7
	v_add_co_ci_u32_e32 v5, vcc_lo, s1, v5, vcc_lo
	v_add_f32_e32 v7, 0, v10
	ds_load_2addr_stride64_b32 v[10:11], v18 offset0:8 offset1:23
	v_lshlrev_b64 v[0:1], 3, v[0:1]
	v_add_co_u32 v8, vcc_lo, s0, v8
	v_dual_add_f32 v3, 0, v3 :: v_dual_add_f32 v12, 0, v13
	v_add_f32_e32 v13, 0, v14
	v_lshrrev_b32_e32 v14, 16, v21
	v_add_co_ci_u32_e32 v9, vcc_lo, s1, v9, vcc_lo
	v_add_co_u32 v0, vcc_lo, s0, v0
	v_add_co_ci_u32_e32 v1, vcc_lo, s1, v1, vcc_lo
	s_clause 0x1
	global_store_b64 v[4:5], v[2:3], off
	global_store_b64 v[8:9], v[6:7], off
	v_cvt_f32_f16_e32 v2, v21
	v_cvt_f32_f16_e32 v3, v14
	v_mul_u32_u24_e32 v5, 56, v223
	global_store_b64 v[0:1], v[12:13], off
	v_lshrrev_b32_e32 v8, 16, v22
	s_waitcnt lgkmcnt(0)
	v_lshrrev_b32_e32 v4, 16, v10
	v_add_f32_e32 v1, 0, v3
	v_add_lshl_u32 v12, v5, v225, 3
	v_add_f32_e32 v0, 0, v2
	ds_load_2addr_stride64_b32 v[2:3], v18 offset0:38 offset1:53
	v_cvt_f32_f16_e32 v6, v10
	v_cvt_f32_f16_e32 v7, v4
	v_add_nc_u32_e32 v13, 0xe00, v12
	v_cvt_f32_f16_e32 v8, v8
	v_lshrrev_b32_e32 v9, 16, v11
	v_lshrrev_b32_e32 v10, 16, v23
	v_and_b32_e32 v18, 15, v227
	v_add_f32_e32 v4, 0, v6
	v_cvt_f32_f16_e32 v6, v22
	v_add_f32_e32 v5, 0, v7
	v_add_f32_e32 v7, 0, v8
	v_cvt_f32_f16_e32 v8, v11
	v_cvt_f32_f16_e32 v9, v9
	;; [unrolled: 1-line block ×4, first 2 shown]
	v_and_or_b32 v19, 0x3ff0, v233, v18
	v_add_f32_e32 v6, 0, v6
	v_add_nc_u32_e32 v14, 0x1c00, v12
	v_add_f32_e32 v8, 0, v8
	s_waitcnt lgkmcnt(0)
	v_lshrrev_b32_e32 v17, 16, v2
	v_cvt_f32_f16_e32 v2, v2
	v_dual_add_f32 v9, 0, v9 :: v_dual_add_nc_u32 v16, 0x2a00, v12
	v_add_f32_e32 v10, 0, v11
	v_add_f32_e32 v11, 0, v15
	v_add_nc_u32_e32 v15, 0x3800, v12
	s_clause 0x4
	global_store_b64 v12, v[0:1], s[0:1] offset:256
	global_store_b64 v13, v[4:5], s[0:1] offset:256
	;; [unrolled: 1-line block ×5, first 2 shown]
	v_add_f32_e32 v0, 0, v2
	v_mad_u32_u24 v2, v19, 60, v229
	v_and_or_b32 v4, 0x3ff0, v235, v18
	v_and_or_b32 v7, 0x3ff0, v246, v18
	v_lshrrev_b32_e32 v5, 16, v24
	v_cvt_f32_f16_e32 v17, v17
	v_lshl_add_u32 v2, v2, 2, 0
	v_mad_u32_u24 v9, v4, 60, v229
	v_cvt_f32_f16_e32 v8, v24
	v_cvt_f32_f16_e32 v5, v5
	v_add_f32_e32 v1, 0, v17
	ds_load_b32 v10, v2 offset:192
	v_mad_u32_u24 v2, v7, 60, v229
	v_lshl_add_u32 v7, v9, 2, 0
	v_add_nc_u32_e32 v6, 0x4600, v12
	v_add_f32_e32 v4, 0, v8
	v_lshrrev_b32_e32 v8, 16, v3
	v_lshl_add_u32 v2, v2, 2, 0
	ds_load_b32 v7, v7 offset:192
	v_cvt_f32_f16_e32 v3, v3
	v_add_f32_e32 v5, 0, v5
	v_add_nc_u32_e32 v9, 0x5400, v12
	ds_load_b32 v11, v2 offset:192
	v_lshrrev_b32_e32 v2, 16, v25
	v_cvt_f32_f16_e32 v8, v8
	s_clause 0x1
	global_store_b64 v6, v[0:1], s[0:1] offset:256
	global_store_b64 v9, v[4:5], s[0:1] offset:256
	v_add_f32_e32 v0, 0, v3
	v_mul_u32_u24_e32 v3, 56, v227
	v_cvt_f32_f16_e32 v6, v2
	v_add_f32_e32 v1, 0, v8
	v_cvt_f32_f16_e32 v4, v25
	s_waitcnt lgkmcnt(2)
	v_lshrrev_b32_e32 v5, 16, v10
	v_or_b32_e32 v8, v3, v229
	v_dual_add_f32 v3, 0, v6 :: v_dual_add_nc_u32 v12, 0x6200, v12
	v_add_f32_e32 v2, 0, v4
	v_cvt_f32_f16_e32 v4, v10
	s_delay_alu instid0(VALU_DEP_4)
	v_lshlrev_b32_e32 v10, 3, v8
	s_waitcnt lgkmcnt(1)
	v_lshrrev_b32_e32 v6, 16, v7
	v_cvt_f32_f16_e32 v5, v5
	v_cvt_f32_f16_e32 v7, v7
	v_add_f32_e32 v4, 0, v4
	s_waitcnt lgkmcnt(0)
	v_lshrrev_b32_e32 v8, 16, v11
	v_cvt_f32_f16_e32 v9, v6
	v_cvt_f32_f16_e32 v11, v11
	v_add_f32_e32 v5, 0, v5
	v_add_nc_u32_e32 v13, 0x1c00, v10
	v_cvt_f32_f16_e32 v14, v8
	v_dual_add_f32 v6, 0, v7 :: v_dual_add_f32 v7, 0, v9
	v_dual_add_f32 v8, 0, v11 :: v_dual_add_nc_u32 v15, 0x3800, v10
	v_add_nc_u32_e32 v11, 0x5400, v10
	s_delay_alu instid0(VALU_DEP_4)
	v_add_f32_e32 v9, 0, v14
	s_clause 0x4
	global_store_b64 v12, v[0:1], s[0:1] offset:256
	global_store_b64 v10, v[2:3], s[0:1] offset:384
	;; [unrolled: 1-line block ×5, first 2 shown]
	s_nop 0
	s_sendmsg sendmsg(MSG_DEALLOC_VGPRS)
	s_endpgm
	.section	.rodata,"a",@progbits
	.p2align	6, 0x0
	.amdhsa_kernel _ZL18flash_attn_ext_f16ILi112ELi112ELi16ELi4ELb0ELb0EEvPKcS1_S1_S1_S1_PKiPfP15HIP_vector_typeIfLj2EEffffjfiS5_IjLj3EEiiiiiiiiiiiliiliiiiil
		.amdhsa_group_segment_fixed_size 0
		.amdhsa_private_segment_fixed_size 1552
		.amdhsa_kernarg_size 464
		.amdhsa_user_sgpr_count 15
		.amdhsa_user_sgpr_dispatch_ptr 0
		.amdhsa_user_sgpr_queue_ptr 0
		.amdhsa_user_sgpr_kernarg_segment_ptr 1
		.amdhsa_user_sgpr_dispatch_id 0
		.amdhsa_user_sgpr_private_segment_size 0
		.amdhsa_wavefront_size32 1
		.amdhsa_uses_dynamic_stack 0
		.amdhsa_enable_private_segment 1
		.amdhsa_system_sgpr_workgroup_id_x 1
		.amdhsa_system_sgpr_workgroup_id_y 0
		.amdhsa_system_sgpr_workgroup_id_z 0
		.amdhsa_system_sgpr_workgroup_info 0
		.amdhsa_system_vgpr_workitem_id 1
		.amdhsa_next_free_vgpr 256
		.amdhsa_next_free_sgpr 105
		.amdhsa_reserve_vcc 1
		.amdhsa_float_round_mode_32 0
		.amdhsa_float_round_mode_16_64 0
		.amdhsa_float_denorm_mode_32 3
		.amdhsa_float_denorm_mode_16_64 3
		.amdhsa_dx10_clamp 1
		.amdhsa_ieee_mode 1
		.amdhsa_fp16_overflow 0
		.amdhsa_workgroup_processor_mode 1
		.amdhsa_memory_ordered 1
		.amdhsa_forward_progress 0
		.amdhsa_shared_vgpr_count 0
		.amdhsa_exception_fp_ieee_invalid_op 0
		.amdhsa_exception_fp_denorm_src 0
		.amdhsa_exception_fp_ieee_div_zero 0
		.amdhsa_exception_fp_ieee_overflow 0
		.amdhsa_exception_fp_ieee_underflow 0
		.amdhsa_exception_fp_ieee_inexact 0
		.amdhsa_exception_int_div_zero 0
	.end_amdhsa_kernel
	.section	.text._ZL18flash_attn_ext_f16ILi112ELi112ELi16ELi4ELb0ELb0EEvPKcS1_S1_S1_S1_PKiPfP15HIP_vector_typeIfLj2EEffffjfiS5_IjLj3EEiiiiiiiiiiiliiliiiiil,"axG",@progbits,_ZL18flash_attn_ext_f16ILi112ELi112ELi16ELi4ELb0ELb0EEvPKcS1_S1_S1_S1_PKiPfP15HIP_vector_typeIfLj2EEffffjfiS5_IjLj3EEiiiiiiiiiiiliiliiiiil,comdat
.Lfunc_end19:
	.size	_ZL18flash_attn_ext_f16ILi112ELi112ELi16ELi4ELb0ELb0EEvPKcS1_S1_S1_S1_PKiPfP15HIP_vector_typeIfLj2EEffffjfiS5_IjLj3EEiiiiiiiiiiiliiliiiiil, .Lfunc_end19-_ZL18flash_attn_ext_f16ILi112ELi112ELi16ELi4ELb0ELb0EEvPKcS1_S1_S1_S1_PKiPfP15HIP_vector_typeIfLj2EEffffjfiS5_IjLj3EEiiiiiiiiiiiliiliiiiil
                                        ; -- End function
	.section	.AMDGPU.csdata,"",@progbits
; Kernel info:
; codeLenInByte = 138244
; NumSgprs: 107
; NumVgprs: 256
; ScratchSize: 1552
; MemoryBound: 0
; FloatMode: 240
; IeeeMode: 1
; LDSByteSize: 0 bytes/workgroup (compile time only)
; SGPRBlocks: 13
; VGPRBlocks: 31
; NumSGPRsForWavesPerEU: 107
; NumVGPRsForWavesPerEU: 256
; Occupancy: 5
; WaveLimiterHint : 0
; COMPUTE_PGM_RSRC2:SCRATCH_EN: 1
; COMPUTE_PGM_RSRC2:USER_SGPR: 15
; COMPUTE_PGM_RSRC2:TRAP_HANDLER: 0
; COMPUTE_PGM_RSRC2:TGID_X_EN: 1
; COMPUTE_PGM_RSRC2:TGID_Y_EN: 0
; COMPUTE_PGM_RSRC2:TGID_Z_EN: 0
; COMPUTE_PGM_RSRC2:TIDIG_COMP_CNT: 1
	.section	.text._ZL18flash_attn_ext_f16ILi112ELi112ELi16ELi4ELb1ELb0EEvPKcS1_S1_S1_S1_PKiPfP15HIP_vector_typeIfLj2EEffffjfiS5_IjLj3EEiiiiiiiiiiiliiliiiiil,"axG",@progbits,_ZL18flash_attn_ext_f16ILi112ELi112ELi16ELi4ELb1ELb0EEvPKcS1_S1_S1_S1_PKiPfP15HIP_vector_typeIfLj2EEffffjfiS5_IjLj3EEiiiiiiiiiiiliiliiiiil,comdat
	.globl	_ZL18flash_attn_ext_f16ILi112ELi112ELi16ELi4ELb1ELb0EEvPKcS1_S1_S1_S1_PKiPfP15HIP_vector_typeIfLj2EEffffjfiS5_IjLj3EEiiiiiiiiiiiliiliiiiil ; -- Begin function _ZL18flash_attn_ext_f16ILi112ELi112ELi16ELi4ELb1ELb0EEvPKcS1_S1_S1_S1_PKiPfP15HIP_vector_typeIfLj2EEffffjfiS5_IjLj3EEiiiiiiiiiiiliiliiiiil
	.p2align	8
	.type	_ZL18flash_attn_ext_f16ILi112ELi112ELi16ELi4ELb1ELb0EEvPKcS1_S1_S1_S1_PKiPfP15HIP_vector_typeIfLj2EEffffjfiS5_IjLj3EEiiiiiiiiiiiliiliiiiil,@function
_ZL18flash_attn_ext_f16ILi112ELi112ELi16ELi4ELb1ELb0EEvPKcS1_S1_S1_S1_PKiPfP15HIP_vector_typeIfLj2EEffffjfiS5_IjLj3EEiiiiiiiiiiiliiliiiiil: ; @_ZL18flash_attn_ext_f16ILi112ELi112ELi16ELi4ELb1ELb0EEvPKcS1_S1_S1_S1_PKiPfP15HIP_vector_typeIfLj2EEffffjfiS5_IjLj3EEiiiiiiiiiiiliiliiiiil
; %bb.0:
	v_mov_b32_e32 v0, 0x6cc
	s_add_u32 s8, s0, 0xd0
	s_addc_u32 s9, s1, 0
	s_mov_b32 s32, 0
	s_getpc_b64 s[0:1]
	s_add_u32 s0, s0, _ZL14no_device_codePKciS0_iS0_@rel32@lo+4
	s_addc_u32 s1, s1, _ZL14no_device_codePKciS0_iS0_@rel32@hi+12
	s_delay_alu instid0(SALU_CYCLE_1)
	s_swappc_b64 s[30:31], s[0:1]
	.section	.rodata,"a",@progbits
	.p2align	6, 0x0
	.amdhsa_kernel _ZL18flash_attn_ext_f16ILi112ELi112ELi16ELi4ELb1ELb0EEvPKcS1_S1_S1_S1_PKiPfP15HIP_vector_typeIfLj2EEffffjfiS5_IjLj3EEiiiiiiiiiiiliiliiiiil
		.amdhsa_group_segment_fixed_size 0
		.amdhsa_private_segment_fixed_size 16
		.amdhsa_kernarg_size 464
		.amdhsa_user_sgpr_count 15
		.amdhsa_user_sgpr_dispatch_ptr 0
		.amdhsa_user_sgpr_queue_ptr 0
		.amdhsa_user_sgpr_kernarg_segment_ptr 1
		.amdhsa_user_sgpr_dispatch_id 0
		.amdhsa_user_sgpr_private_segment_size 0
		.amdhsa_wavefront_size32 1
		.amdhsa_uses_dynamic_stack 0
		.amdhsa_enable_private_segment 1
		.amdhsa_system_sgpr_workgroup_id_x 1
		.amdhsa_system_sgpr_workgroup_id_y 0
		.amdhsa_system_sgpr_workgroup_id_z 0
		.amdhsa_system_sgpr_workgroup_info 0
		.amdhsa_system_vgpr_workitem_id 0
		.amdhsa_next_free_vgpr 37
		.amdhsa_next_free_sgpr 34
		.amdhsa_reserve_vcc 1
		.amdhsa_float_round_mode_32 0
		.amdhsa_float_round_mode_16_64 0
		.amdhsa_float_denorm_mode_32 3
		.amdhsa_float_denorm_mode_16_64 3
		.amdhsa_dx10_clamp 1
		.amdhsa_ieee_mode 1
		.amdhsa_fp16_overflow 0
		.amdhsa_workgroup_processor_mode 1
		.amdhsa_memory_ordered 1
		.amdhsa_forward_progress 0
		.amdhsa_shared_vgpr_count 0
		.amdhsa_exception_fp_ieee_invalid_op 0
		.amdhsa_exception_fp_denorm_src 0
		.amdhsa_exception_fp_ieee_div_zero 0
		.amdhsa_exception_fp_ieee_overflow 0
		.amdhsa_exception_fp_ieee_underflow 0
		.amdhsa_exception_fp_ieee_inexact 0
		.amdhsa_exception_int_div_zero 0
	.end_amdhsa_kernel
	.section	.text._ZL18flash_attn_ext_f16ILi112ELi112ELi16ELi4ELb1ELb0EEvPKcS1_S1_S1_S1_PKiPfP15HIP_vector_typeIfLj2EEffffjfiS5_IjLj3EEiiiiiiiiiiiliiliiiiil,"axG",@progbits,_ZL18flash_attn_ext_f16ILi112ELi112ELi16ELi4ELb1ELb0EEvPKcS1_S1_S1_S1_PKiPfP15HIP_vector_typeIfLj2EEffffjfiS5_IjLj3EEiiiiiiiiiiiliiliiiiil,comdat
.Lfunc_end20:
	.size	_ZL18flash_attn_ext_f16ILi112ELi112ELi16ELi4ELb1ELb0EEvPKcS1_S1_S1_S1_PKiPfP15HIP_vector_typeIfLj2EEffffjfiS5_IjLj3EEiiiiiiiiiiiliiliiiiil, .Lfunc_end20-_ZL18flash_attn_ext_f16ILi112ELi112ELi16ELi4ELb1ELb0EEvPKcS1_S1_S1_S1_PKiPfP15HIP_vector_typeIfLj2EEffffjfiS5_IjLj3EEiiiiiiiiiiiliiliiiiil
                                        ; -- End function
	.section	.AMDGPU.csdata,"",@progbits
; Kernel info:
; codeLenInByte = 52
; NumSgprs: 36
; NumVgprs: 37
; ScratchSize: 16
; MemoryBound: 0
; FloatMode: 240
; IeeeMode: 1
; LDSByteSize: 0 bytes/workgroup (compile time only)
; SGPRBlocks: 4
; VGPRBlocks: 4
; NumSGPRsForWavesPerEU: 36
; NumVGPRsForWavesPerEU: 37
; Occupancy: 16
; WaveLimiterHint : 1
; COMPUTE_PGM_RSRC2:SCRATCH_EN: 1
; COMPUTE_PGM_RSRC2:USER_SGPR: 15
; COMPUTE_PGM_RSRC2:TRAP_HANDLER: 0
; COMPUTE_PGM_RSRC2:TGID_X_EN: 1
; COMPUTE_PGM_RSRC2:TGID_Y_EN: 0
; COMPUTE_PGM_RSRC2:TGID_Z_EN: 0
; COMPUTE_PGM_RSRC2:TIDIG_COMP_CNT: 0
	.section	.text._ZL33flash_attn_stream_k_fixup_uniformILi112ELi16ELi4EEvPfPK15HIP_vector_typeIfLj2EEiiiiiiS1_IjLj3EES5_S5_,"axG",@progbits,_ZL33flash_attn_stream_k_fixup_uniformILi112ELi16ELi4EEvPfPK15HIP_vector_typeIfLj2EEiiiiiiS1_IjLj3EES5_S5_,comdat
	.globl	_ZL33flash_attn_stream_k_fixup_uniformILi112ELi16ELi4EEvPfPK15HIP_vector_typeIfLj2EEiiiiiiS1_IjLj3EES5_S5_ ; -- Begin function _ZL33flash_attn_stream_k_fixup_uniformILi112ELi16ELi4EEvPfPK15HIP_vector_typeIfLj2EEiiiiiiS1_IjLj3EES5_S5_
	.p2align	8
	.type	_ZL33flash_attn_stream_k_fixup_uniformILi112ELi16ELi4EEvPfPK15HIP_vector_typeIfLj2EEiiiiiiS1_IjLj3EES5_S5_,@function
_ZL33flash_attn_stream_k_fixup_uniformILi112ELi16ELi4EEvPfPK15HIP_vector_typeIfLj2EEiiiiiiS1_IjLj3EES5_S5_: ; @_ZL33flash_attn_stream_k_fixup_uniformILi112ELi16ELi4EEvPfPK15HIP_vector_typeIfLj2EEiiiiiiS1_IjLj3EES5_S5_
; %bb.0:
	s_clause 0x1
	s_load_b256 s[4:11], s[0:1], 0x1c
	s_load_b128 s[16:19], s[0:1], 0x3c
	s_waitcnt lgkmcnt(0)
	s_mul_hi_u32 s2, s7, s13
	s_delay_alu instid0(SALU_CYCLE_1) | instskip(NEXT) | instid1(SALU_CYCLE_1)
	s_add_i32 s2, s13, s2
	s_lshr_b32 s2, s2, s8
	s_delay_alu instid0(SALU_CYCLE_1) | instskip(SKIP_2) | instid1(SALU_CYCLE_1)
	s_mul_i32 s3, s2, s9
	s_load_b64 s[8:9], s[0:1], 0x10
	s_sub_i32 s3, s13, s3
	s_mul_hi_u32 s7, s3, s10
	s_delay_alu instid0(SALU_CYCLE_1) | instskip(NEXT) | instid1(SALU_CYCLE_1)
	s_add_i32 s7, s3, s7
	s_lshr_b32 s7, s7, s11
	s_delay_alu instid0(SALU_CYCLE_1) | instskip(NEXT) | instid1(SALU_CYCLE_1)
	s_mul_i32 s10, s7, s16
	s_sub_i32 s3, s3, s10
	s_delay_alu instid0(SALU_CYCLE_1) | instskip(NEXT) | instid1(SALU_CYCLE_1)
	s_mul_hi_u32 s10, s3, s17
	s_add_i32 s10, s3, s10
	s_delay_alu instid0(SALU_CYCLE_1) | instskip(NEXT) | instid1(SALU_CYCLE_1)
	s_lshr_b32 s11, s10, s18
	s_mul_i32 s10, s11, s19
	s_lshl_b32 s11, s11, 2
	s_sub_i32 s10, s3, s10
	s_delay_alu instid0(SALU_CYCLE_1) | instskip(NEXT) | instid1(SALU_CYCLE_1)
	s_lshl_b32 s3, s10, 4
	s_add_i32 s3, s3, s14
	s_waitcnt lgkmcnt(0)
	s_cmp_lt_i32 s3, s8
	s_cselect_b32 s3, -1, 0
	s_add_i32 s11, s11, s15
	s_delay_alu instid0(SALU_CYCLE_1) | instskip(SKIP_1) | instid1(SALU_CYCLE_1)
	s_cmp_lt_i32 s11, s5
	s_cselect_b32 s12, -1, 0
	s_and_b32 s3, s3, s12
	s_delay_alu instid0(SALU_CYCLE_1)
	s_and_not1_b32 vcc_lo, exec_lo, s3
	s_cbranch_vccnz .LBB21_6
; %bb.1:
	s_mul_i32 s8, s2, s8
	s_mul_i32 s7, s7, s5
	s_add_i32 s8, s8, s14
	s_add_i32 s5, s11, s7
	s_mul_i32 s8, s8, s9
	s_load_b128 s[0:3], s[0:1], 0x0
	s_mul_i32 s7, s9, s10
	s_add_i32 s5, s5, s8
	s_mulk_i32 s7, 0x700
	s_mulk_i32 s5, 0x70
	s_lshl_b32 s9, s14, 2
	v_add3_u32 v1, s5, s7, v0
	s_mul_i32 s5, s13, s6
	s_delay_alu instid0(SALU_CYCLE_1) | instskip(NEXT) | instid1(VALU_DEP_1)
	s_add_i32 s10, s5, s6
	v_ashrrev_i32_e32 v2, 31, v1
	s_delay_alu instid0(VALU_DEP_1) | instskip(SKIP_1) | instid1(VALU_DEP_1)
	v_lshlrev_b64 v[1:2], 2, v[1:2]
	s_waitcnt lgkmcnt(0)
	v_add_co_u32 v1, vcc_lo, s0, v1
	s_delay_alu instid0(VALU_DEP_2) | instskip(SKIP_4) | instid1(SALU_CYCLE_1)
	v_add_co_ci_u32_e32 v2, vcc_lo, s1, v2, vcc_lo
	s_add_i32 s0, s9, s15
	s_lshl_b32 s1, s10, 6
	global_load_b32 v5, v[1:2], off
	s_add_i32 s0, s0, s1
	s_sub_i32 s0, s0, 64
	s_delay_alu instid0(SALU_CYCLE_1) | instskip(NEXT) | instid1(SALU_CYCLE_1)
	s_ashr_i32 s1, s0, 31
	s_lshl_b64 s[0:1], s[0:1], 3
	s_delay_alu instid0(SALU_CYCLE_1)
	s_add_u32 s0, s2, s0
	s_addc_u32 s1, s3, s1
	s_add_i32 s7, s10, -2
	s_load_b32 s11, s[0:1], 0x4
	s_cmp_lt_i32 s7, s5
	s_cbranch_scc1 .LBB21_4
; %bb.2:
	s_load_b32 s12, s[0:1], 0x0
	s_lshl_b32 s16, s4, 8
	s_mulk_i32 s14, 0x1c0
	s_ashr_i32 s17, s16, 31
	s_waitcnt lgkmcnt(0)
	v_mov_b32_e32 v6, s11
	s_lshl_b64 s[0:1], s[16:17], 2
	s_delay_alu instid0(SALU_CYCLE_1)
	s_add_u32 s7, s2, s0
	s_addc_u32 s8, s3, s1
	s_add_i32 s13, s13, 1
	s_lshl_b32 s4, s4, 6
	s_mul_i32 s0, s6, s13
	s_mul_i32 s6, s15, 0x70
	s_lshl_b32 s1, s0, 6
	s_mulk_i32 s0, 0x1c00
	s_add_i32 s6, s6, s14
	s_add_i32 s1, s15, s1
	;; [unrolled: 1-line block ×4, first 2 shown]
	v_add3_u32 v3, s6, v0, 0xffffc800
	v_mov_b32_e32 v0, s12
	s_add_i32 s0, s0, s9
	s_add_i32 s4, s10, -1
	s_addk_i32 s0, 0xff80
.LBB21_3:                               ; =>This Inner Loop Header: Depth=1
	s_delay_alu instid0(VALU_DEP_2) | instskip(SKIP_1) | instid1(SALU_CYCLE_1)
	v_ashrrev_i32_e32 v4, 31, v3
	s_ashr_i32 s1, s0, 31
	s_lshl_b64 s[10:11], s[0:1], 3
	s_delay_alu instid0(SALU_CYCLE_1) | instskip(NEXT) | instid1(VALU_DEP_1)
	s_add_u32 s10, s2, s10
	v_lshlrev_b64 v[7:8], 2, v[3:4]
	s_addc_u32 s11, s3, s11
	s_add_i32 s4, s4, -1
	s_sub_i32 s0, s0, 64
	s_cmp_le_i32 s4, s5
	s_load_b64 s[10:11], s[10:11], 0x0
	v_add_co_u32 v7, vcc_lo, s7, v7
	v_add_co_ci_u32_e32 v8, vcc_lo, s8, v8, vcc_lo
	global_load_b32 v4, v[7:8], off
	v_max_f32_e32 v7, v0, v0
	s_waitcnt lgkmcnt(0)
	v_max_f32_e64 v8, s10, s10
	s_delay_alu instid0(VALU_DEP_1) | instskip(NEXT) | instid1(VALU_DEP_1)
	v_max_f32_e32 v7, v7, v8
	v_sub_f32_e32 v8, s10, v7
	s_delay_alu instid0(VALU_DEP_1) | instskip(NEXT) | instid1(VALU_DEP_1)
	v_dual_sub_f32 v0, v0, v7 :: v_dual_mul_f32 v9, 0x3fb8aa3b, v8
	v_fma_f32 v10, 0x3fb8aa3b, v8, -v9
	v_rndne_f32_e32 v11, v9
	s_delay_alu instid0(VALU_DEP_3) | instskip(NEXT) | instid1(VALU_DEP_2)
	v_mul_f32_e32 v12, 0x3fb8aa3b, v0
	v_dual_fmac_f32 v10, 0x32a5705f, v8 :: v_dual_sub_f32 v9, v9, v11
	v_cvt_i32_f32_e32 v11, v11
	s_delay_alu instid0(VALU_DEP_3) | instskip(SKIP_1) | instid1(VALU_DEP_4)
	v_fma_f32 v13, 0x3fb8aa3b, v0, -v12
	v_rndne_f32_e32 v14, v12
	v_add_f32_e32 v9, v9, v10
	v_cmp_ngt_f32_e32 vcc_lo, 0xc2ce8ed0, v8
	s_delay_alu instid0(VALU_DEP_3) | instskip(NEXT) | instid1(VALU_DEP_3)
	v_sub_f32_e32 v10, v12, v14
	v_exp_f32_e32 v9, v9
	s_waitcnt_depctr 0xfff
	v_ldexp_f32 v9, v9, v11
	v_cvt_i32_f32_e32 v11, v14
	s_delay_alu instid0(VALU_DEP_2) | instskip(SKIP_1) | instid1(VALU_DEP_2)
	v_cndmask_b32_e32 v9, 0, v9, vcc_lo
	v_cmp_nlt_f32_e32 vcc_lo, 0x42b17218, v8
	v_cndmask_b32_e32 v9, 0x7f800000, v9, vcc_lo
	v_cmp_ngt_f32_e32 vcc_lo, 0xc2ce8ed0, v0
	v_fmac_f32_e32 v13, 0x32a5705f, v0
	s_delay_alu instid0(VALU_DEP_1) | instskip(NEXT) | instid1(VALU_DEP_1)
	v_add_f32_e32 v10, v10, v13
	v_exp_f32_e32 v10, v10
	s_waitcnt_depctr 0xfff
	v_ldexp_f32 v10, v10, v11
	s_delay_alu instid0(VALU_DEP_1)
	v_dual_mov_b32 v11, v6 :: v_dual_cndmask_b32 v10, 0, v10
	v_cmp_le_f32_e32 vcc_lo, 0xc1a00000, v8
	s_waitcnt vmcnt(1)
	v_dual_cndmask_b32 v8, 0, v9 :: v_dual_mov_b32 v9, v5
	v_cmp_nlt_f32_e32 vcc_lo, 0x42b17218, v0
	v_cndmask_b32_e32 v5, 0x7f800000, v10, vcc_lo
	s_delay_alu instid0(VALU_DEP_3) | instskip(SKIP_2) | instid1(VALU_DEP_3)
	v_mul_f32_e32 v10, s11, v8
	v_cmp_le_f32_e32 vcc_lo, 0xc1a00000, v0
	v_mov_b32_e32 v0, v7
	v_mov_b32_e32 v6, v10
	s_waitcnt vmcnt(0)
	v_dual_cndmask_b32 v12, 0, v5 :: v_dual_mul_f32 v5, v4, v8
	s_delay_alu instid0(VALU_DEP_1) | instskip(NEXT) | instid1(VALU_DEP_2)
	v_dual_fmac_f32 v6, v11, v12 :: v_dual_add_nc_u32 v3, 0xffffe400, v3
	v_fmac_f32_e32 v5, v9, v12
	s_cbranch_scc0 .LBB21_3
	s_branch .LBB21_5
.LBB21_4:
	s_waitcnt lgkmcnt(0)
	v_mov_b32_e32 v6, s11
.LBB21_5:
	s_waitcnt vmcnt(0)
	s_delay_alu instid0(VALU_DEP_1) | instskip(NEXT) | instid1(VALU_DEP_1)
	v_div_scale_f32 v0, null, v6, v6, v5
	v_rcp_f32_e32 v3, v0
	s_waitcnt_depctr 0xfff
	v_fma_f32 v4, -v0, v3, 1.0
	s_delay_alu instid0(VALU_DEP_1) | instskip(SKIP_1) | instid1(VALU_DEP_1)
	v_fmac_f32_e32 v3, v4, v3
	v_div_scale_f32 v4, vcc_lo, v5, v6, v5
	v_mul_f32_e32 v7, v4, v3
	s_delay_alu instid0(VALU_DEP_1) | instskip(NEXT) | instid1(VALU_DEP_1)
	v_fma_f32 v8, -v0, v7, v4
	v_fmac_f32_e32 v7, v8, v3
	s_delay_alu instid0(VALU_DEP_1) | instskip(NEXT) | instid1(VALU_DEP_1)
	v_fma_f32 v0, -v0, v7, v4
	v_div_fmas_f32 v0, v0, v3, v7
	s_delay_alu instid0(VALU_DEP_1)
	v_div_fixup_f32 v0, v0, v6, v5
	global_store_b32 v[1:2], v0, off
.LBB21_6:
	s_nop 0
	s_sendmsg sendmsg(MSG_DEALLOC_VGPRS)
	s_endpgm
	.section	.rodata,"a",@progbits
	.p2align	6, 0x0
	.amdhsa_kernel _ZL33flash_attn_stream_k_fixup_uniformILi112ELi16ELi4EEvPfPK15HIP_vector_typeIfLj2EEiiiiiiS1_IjLj3EES5_S5_
		.amdhsa_group_segment_fixed_size 0
		.amdhsa_private_segment_fixed_size 0
		.amdhsa_kernarg_size 76
		.amdhsa_user_sgpr_count 13
		.amdhsa_user_sgpr_dispatch_ptr 0
		.amdhsa_user_sgpr_queue_ptr 0
		.amdhsa_user_sgpr_kernarg_segment_ptr 1
		.amdhsa_user_sgpr_dispatch_id 0
		.amdhsa_user_sgpr_private_segment_size 0
		.amdhsa_wavefront_size32 1
		.amdhsa_uses_dynamic_stack 0
		.amdhsa_enable_private_segment 0
		.amdhsa_system_sgpr_workgroup_id_x 1
		.amdhsa_system_sgpr_workgroup_id_y 1
		.amdhsa_system_sgpr_workgroup_id_z 1
		.amdhsa_system_sgpr_workgroup_info 0
		.amdhsa_system_vgpr_workitem_id 0
		.amdhsa_next_free_vgpr 15
		.amdhsa_next_free_sgpr 20
		.amdhsa_reserve_vcc 1
		.amdhsa_float_round_mode_32 0
		.amdhsa_float_round_mode_16_64 0
		.amdhsa_float_denorm_mode_32 3
		.amdhsa_float_denorm_mode_16_64 3
		.amdhsa_dx10_clamp 1
		.amdhsa_ieee_mode 1
		.amdhsa_fp16_overflow 0
		.amdhsa_workgroup_processor_mode 1
		.amdhsa_memory_ordered 1
		.amdhsa_forward_progress 0
		.amdhsa_shared_vgpr_count 0
		.amdhsa_exception_fp_ieee_invalid_op 0
		.amdhsa_exception_fp_denorm_src 0
		.amdhsa_exception_fp_ieee_div_zero 0
		.amdhsa_exception_fp_ieee_overflow 0
		.amdhsa_exception_fp_ieee_underflow 0
		.amdhsa_exception_fp_ieee_inexact 0
		.amdhsa_exception_int_div_zero 0
	.end_amdhsa_kernel
	.section	.text._ZL33flash_attn_stream_k_fixup_uniformILi112ELi16ELi4EEvPfPK15HIP_vector_typeIfLj2EEiiiiiiS1_IjLj3EES5_S5_,"axG",@progbits,_ZL33flash_attn_stream_k_fixup_uniformILi112ELi16ELi4EEvPfPK15HIP_vector_typeIfLj2EEiiiiiiS1_IjLj3EES5_S5_,comdat
.Lfunc_end21:
	.size	_ZL33flash_attn_stream_k_fixup_uniformILi112ELi16ELi4EEvPfPK15HIP_vector_typeIfLj2EEiiiiiiS1_IjLj3EES5_S5_, .Lfunc_end21-_ZL33flash_attn_stream_k_fixup_uniformILi112ELi16ELi4EEvPfPK15HIP_vector_typeIfLj2EEiiiiiiS1_IjLj3EES5_S5_
                                        ; -- End function
	.section	.AMDGPU.csdata,"",@progbits
; Kernel info:
; codeLenInByte = 992
; NumSgprs: 22
; NumVgprs: 15
; ScratchSize: 0
; MemoryBound: 0
; FloatMode: 240
; IeeeMode: 1
; LDSByteSize: 0 bytes/workgroup (compile time only)
; SGPRBlocks: 2
; VGPRBlocks: 1
; NumSGPRsForWavesPerEU: 22
; NumVGPRsForWavesPerEU: 15
; Occupancy: 16
; WaveLimiterHint : 0
; COMPUTE_PGM_RSRC2:SCRATCH_EN: 0
; COMPUTE_PGM_RSRC2:USER_SGPR: 13
; COMPUTE_PGM_RSRC2:TRAP_HANDLER: 0
; COMPUTE_PGM_RSRC2:TGID_X_EN: 1
; COMPUTE_PGM_RSRC2:TGID_Y_EN: 1
; COMPUTE_PGM_RSRC2:TGID_Z_EN: 1
; COMPUTE_PGM_RSRC2:TIDIG_COMP_CNT: 0
	.section	.text._ZL33flash_attn_stream_k_fixup_generalILi112ELi16ELi4EEvPfPK15HIP_vector_typeIfLj2EEiiiiS1_IjLj3EES5_S5_S5_,"axG",@progbits,_ZL33flash_attn_stream_k_fixup_generalILi112ELi16ELi4EEvPfPK15HIP_vector_typeIfLj2EEiiiiS1_IjLj3EES5_S5_S5_,comdat
	.globl	_ZL33flash_attn_stream_k_fixup_generalILi112ELi16ELi4EEvPfPK15HIP_vector_typeIfLj2EEiiiiS1_IjLj3EES5_S5_S5_ ; -- Begin function _ZL33flash_attn_stream_k_fixup_generalILi112ELi16ELi4EEvPfPK15HIP_vector_typeIfLj2EEiiiiS1_IjLj3EES5_S5_S5_
	.p2align	8
	.type	_ZL33flash_attn_stream_k_fixup_generalILi112ELi16ELi4EEvPfPK15HIP_vector_typeIfLj2EEiiiiS1_IjLj3EES5_S5_S5_,@function
_ZL33flash_attn_stream_k_fixup_generalILi112ELi16ELi4EEvPfPK15HIP_vector_typeIfLj2EEiiiiS1_IjLj3EES5_S5_S5_: ; @_ZL33flash_attn_stream_k_fixup_generalILi112ELi16ELi4EEvPfPK15HIP_vector_typeIfLj2EEiiiiS1_IjLj3EES5_S5_S5_
; %bb.0:
	s_clause 0x1
	s_load_b128 s[4:7], s[0:1], 0x10
	s_load_b32 s20, s[0:1], 0x50
	s_mov_b32 s2, 0
	s_waitcnt lgkmcnt(0)
	s_mul_hi_i32 s3, s7, s13
	s_mul_i32 s12, s7, s13
	s_cmp_lg_u64 s[2:3], 0
	s_cbranch_scc0 .LBB22_21
; %bb.1:
	v_cvt_f32_ubyte0_e32 v1, 0
	v_cvt_f32_u32_e32 v2, s20
	s_sub_u32 s10, 0, s20
	s_subb_u32 s11, 0, 0
	s_delay_alu instid0(VALU_DEP_1) | instskip(NEXT) | instid1(VALU_DEP_1)
	v_fmamk_f32 v1, v1, 0x4f800000, v2
	v_rcp_f32_e32 v1, v1
	s_waitcnt_depctr 0xfff
	v_mul_f32_e32 v1, 0x5f7ffffc, v1
	s_delay_alu instid0(VALU_DEP_1) | instskip(NEXT) | instid1(VALU_DEP_1)
	v_mul_f32_e32 v2, 0x2f800000, v1
	v_trunc_f32_e32 v2, v2
	s_delay_alu instid0(VALU_DEP_1) | instskip(SKIP_1) | instid1(VALU_DEP_2)
	v_fmamk_f32 v1, v2, 0xcf800000, v1
	v_cvt_u32_f32_e32 v2, v2
	v_cvt_u32_f32_e32 v1, v1
	s_delay_alu instid0(VALU_DEP_2) | instskip(NEXT) | instid1(VALU_DEP_2)
	v_readfirstlane_b32 s8, v2
	v_readfirstlane_b32 s9, v1
	s_delay_alu instid0(VALU_DEP_2) | instskip(NEXT) | instid1(VALU_DEP_1)
	s_mul_i32 s16, s10, s8
	s_mul_hi_u32 s18, s10, s9
	s_mul_i32 s17, s11, s9
	s_add_i32 s16, s18, s16
	s_mul_i32 s19, s10, s9
	s_add_i32 s16, s16, s17
	s_mul_hi_u32 s18, s9, s19
	s_mul_hi_u32 s21, s8, s19
	s_mul_i32 s17, s8, s19
	s_mul_hi_u32 s19, s9, s16
	s_mul_i32 s9, s9, s16
	s_mul_hi_u32 s22, s8, s16
	s_add_u32 s9, s18, s9
	s_addc_u32 s18, 0, s19
	s_add_u32 s9, s9, s17
	s_mul_i32 s16, s8, s16
	s_addc_u32 s9, s18, s21
	s_addc_u32 s17, s22, 0
	s_add_u32 s9, s9, s16
	s_addc_u32 s16, 0, s17
	v_add_co_u32 v1, s9, v1, s9
	s_delay_alu instid0(VALU_DEP_1) | instskip(SKIP_1) | instid1(VALU_DEP_1)
	s_cmp_lg_u32 s9, 0
	s_addc_u32 s8, s8, s16
	v_readfirstlane_b32 s9, v1
	s_mul_i32 s16, s10, s8
	s_delay_alu instid0(VALU_DEP_1)
	s_mul_hi_u32 s17, s10, s9
	s_mul_i32 s11, s11, s9
	s_add_i32 s16, s17, s16
	s_mul_i32 s10, s10, s9
	s_add_i32 s16, s16, s11
	s_mul_hi_u32 s17, s8, s10
	s_mul_i32 s18, s8, s10
	s_mul_hi_u32 s10, s9, s10
	s_mul_hi_u32 s19, s9, s16
	s_mul_i32 s9, s9, s16
	s_mul_hi_u32 s11, s8, s16
	s_add_u32 s9, s10, s9
	s_addc_u32 s10, 0, s19
	s_add_u32 s9, s9, s18
	s_mul_i32 s16, s8, s16
	s_addc_u32 s9, s10, s17
	s_addc_u32 s10, s11, 0
	s_add_u32 s9, s9, s16
	s_addc_u32 s10, 0, s10
	v_add_co_u32 v1, s9, v1, s9
	s_delay_alu instid0(VALU_DEP_1) | instskip(SKIP_2) | instid1(SALU_CYCLE_1)
	s_cmp_lg_u32 s9, 0
	s_addc_u32 s16, s8, s10
	s_ashr_i32 s8, s3, 31
	s_add_u32 s10, s12, s8
	s_addc_u32 s11, s3, s8
	v_readfirstlane_b32 s3, v1
	s_mov_b32 s9, s8
	s_delay_alu instid0(SALU_CYCLE_1) | instskip(NEXT) | instid1(SALU_CYCLE_1)
	s_xor_b64 s[10:11], s[10:11], s[8:9]
	s_mul_i32 s18, s10, s16
	s_delay_alu instid0(VALU_DEP_1)
	s_mul_hi_u32 s19, s10, s3
	s_mul_hi_u32 s17, s10, s16
	;; [unrolled: 1-line block ×3, first 2 shown]
	s_mul_i32 s3, s11, s3
	s_add_u32 s18, s19, s18
	s_addc_u32 s17, 0, s17
	s_mul_hi_u32 s21, s11, s16
	s_add_u32 s3, s18, s3
	s_mul_i32 s16, s11, s16
	s_addc_u32 s3, s17, s22
	s_addc_u32 s17, s21, 0
	s_add_u32 s3, s3, s16
	s_addc_u32 s16, 0, s17
	s_mul_i32 s18, s20, s3
	s_add_u32 s17, s3, 1
	v_sub_co_u32 v1, s10, s10, s18
	s_mul_hi_u32 s18, s20, s3
	s_addc_u32 s19, s16, 0
	s_mul_i32 s21, s20, s16
	s_delay_alu instid0(VALU_DEP_1)
	v_sub_co_u32 v2, s22, v1, s20
	s_add_u32 s23, s3, 2
	s_addc_u32 s24, s16, 0
	s_add_i32 s18, s18, s21
	s_cmp_lg_u32 s10, 0
	v_readfirstlane_b32 s10, v2
	s_subb_u32 s11, s11, s18
	s_cmp_lg_u32 s22, 0
	s_subb_u32 s18, s11, 0
	s_delay_alu instid0(VALU_DEP_1) | instskip(SKIP_4) | instid1(SALU_CYCLE_1)
	s_cmp_ge_u32 s10, s20
	s_cselect_b32 s10, -1, 0
	s_cmp_eq_u32 s18, 0
	v_readfirstlane_b32 s18, v1
	s_cselect_b32 s10, s10, -1
	s_cmp_lg_u32 s10, 0
	s_cselect_b32 s10, s23, s17
	s_cselect_b32 s17, s24, s19
	s_cmp_ge_u32 s18, s20
	s_cselect_b32 s18, -1, 0
	s_cmp_eq_u32 s11, 0
	s_cselect_b32 s11, s18, -1
	s_delay_alu instid0(SALU_CYCLE_1) | instskip(SKIP_2) | instid1(SALU_CYCLE_1)
	s_cmp_lg_u32 s11, 0
	s_cselect_b32 s11, s17, s16
	s_cselect_b32 s10, s10, s3
	s_xor_b64 s[10:11], s[10:11], s[8:9]
	s_delay_alu instid0(SALU_CYCLE_1)
	s_sub_u32 s16, s10, s8
	s_load_b128 s[8:11], s[0:1], 0x44
	s_and_not1_b32 vcc_lo, exec_lo, s2
	s_cbranch_vccnz .LBB22_3
.LBB22_2:
	v_cvt_f32_u32_e32 v1, s20
	s_sub_i32 s3, 0, s20
	s_delay_alu instid0(VALU_DEP_1) | instskip(SKIP_2) | instid1(VALU_DEP_1)
	v_rcp_iflag_f32_e32 v1, v1
	s_waitcnt_depctr 0xfff
	v_mul_f32_e32 v1, 0x4f7ffffe, v1
	v_cvt_u32_f32_e32 v1, v1
	s_delay_alu instid0(VALU_DEP_1) | instskip(NEXT) | instid1(VALU_DEP_1)
	v_readfirstlane_b32 s2, v1
	s_mul_i32 s3, s3, s2
	s_delay_alu instid0(SALU_CYCLE_1) | instskip(NEXT) | instid1(SALU_CYCLE_1)
	s_mul_hi_u32 s3, s2, s3
	s_add_i32 s2, s2, s3
	s_delay_alu instid0(SALU_CYCLE_1) | instskip(NEXT) | instid1(SALU_CYCLE_1)
	s_mul_hi_u32 s2, s12, s2
	s_mul_i32 s3, s2, s20
	s_waitcnt lgkmcnt(0)
	s_add_i32 s11, s2, 1
	s_sub_i32 s3, s12, s3
	s_delay_alu instid0(SALU_CYCLE_1)
	s_sub_i32 s12, s3, s20
	s_cmp_ge_u32 s3, s20
	s_cselect_b32 s2, s11, s2
	s_cselect_b32 s3, s12, s3
	s_add_i32 s11, s2, 1
	s_cmp_ge_u32 s3, s20
	s_cselect_b32 s16, s11, s2
.LBB22_3:
	s_waitcnt lgkmcnt(0)
	s_add_i32 s11, s13, 1
	s_mov_b32 s2, 0
	s_mul_hi_i32 s3, s7, s11
	s_mul_i32 s11, s7, s11
	s_cmp_lg_u64 s[2:3], 0
	s_cbranch_scc0 .LBB22_22
; %bb.4:
	v_cvt_f32_ubyte0_e32 v1, 0
	v_cvt_f32_u32_e32 v2, s20
	s_sub_u32 s18, 0, s20
	s_subb_u32 s19, 0, 0
	s_delay_alu instid0(VALU_DEP_1) | instskip(NEXT) | instid1(VALU_DEP_1)
	v_fmamk_f32 v1, v1, 0x4f800000, v2
	v_rcp_f32_e32 v1, v1
	s_waitcnt_depctr 0xfff
	v_mul_f32_e32 v1, 0x5f7ffffc, v1
	s_delay_alu instid0(VALU_DEP_1) | instskip(NEXT) | instid1(VALU_DEP_1)
	v_mul_f32_e32 v2, 0x2f800000, v1
	v_trunc_f32_e32 v2, v2
	s_delay_alu instid0(VALU_DEP_1) | instskip(SKIP_1) | instid1(VALU_DEP_2)
	v_fmamk_f32 v1, v2, 0xcf800000, v1
	v_cvt_u32_f32_e32 v2, v2
	v_cvt_u32_f32_e32 v1, v1
	s_delay_alu instid0(VALU_DEP_2) | instskip(NEXT) | instid1(VALU_DEP_2)
	v_readfirstlane_b32 s12, v2
	v_readfirstlane_b32 s17, v1
	s_delay_alu instid0(VALU_DEP_2) | instskip(NEXT) | instid1(VALU_DEP_1)
	s_mul_i32 s21, s18, s12
	s_mul_hi_u32 s23, s18, s17
	s_mul_i32 s22, s19, s17
	s_add_i32 s21, s23, s21
	s_mul_i32 s24, s18, s17
	s_add_i32 s21, s21, s22
	s_mul_hi_u32 s23, s17, s24
	s_mul_hi_u32 s25, s12, s24
	s_mul_i32 s22, s12, s24
	s_mul_hi_u32 s24, s17, s21
	s_mul_i32 s17, s17, s21
	s_mul_hi_u32 s26, s12, s21
	s_add_u32 s17, s23, s17
	s_addc_u32 s23, 0, s24
	s_add_u32 s17, s17, s22
	s_mul_i32 s21, s12, s21
	s_addc_u32 s17, s23, s25
	s_addc_u32 s22, s26, 0
	s_add_u32 s17, s17, s21
	s_addc_u32 s21, 0, s22
	v_add_co_u32 v1, s17, v1, s17
	s_delay_alu instid0(VALU_DEP_1) | instskip(SKIP_1) | instid1(VALU_DEP_1)
	s_cmp_lg_u32 s17, 0
	s_addc_u32 s12, s12, s21
	v_readfirstlane_b32 s17, v1
	s_mul_i32 s21, s18, s12
	s_delay_alu instid0(VALU_DEP_1)
	s_mul_hi_u32 s22, s18, s17
	s_mul_i32 s19, s19, s17
	s_add_i32 s21, s22, s21
	s_mul_i32 s18, s18, s17
	s_add_i32 s21, s21, s19
	s_mul_hi_u32 s22, s12, s18
	s_mul_i32 s23, s12, s18
	s_mul_hi_u32 s18, s17, s18
	s_mul_hi_u32 s24, s17, s21
	s_mul_i32 s17, s17, s21
	s_mul_hi_u32 s19, s12, s21
	s_add_u32 s17, s18, s17
	s_addc_u32 s18, 0, s24
	s_add_u32 s17, s17, s23
	s_mul_i32 s21, s12, s21
	s_addc_u32 s17, s18, s22
	s_addc_u32 s18, s19, 0
	s_add_u32 s17, s17, s21
	s_addc_u32 s18, 0, s18
	v_add_co_u32 v1, s17, v1, s17
	s_delay_alu instid0(VALU_DEP_1) | instskip(SKIP_2) | instid1(SALU_CYCLE_1)
	s_cmp_lg_u32 s17, 0
	s_addc_u32 s12, s12, s18
	s_ashr_i32 s18, s3, 31
	s_add_u32 s22, s11, s18
	s_addc_u32 s23, s3, s18
	v_readfirstlane_b32 s3, v1
	s_mov_b32 s19, s18
	s_delay_alu instid0(SALU_CYCLE_1) | instskip(NEXT) | instid1(SALU_CYCLE_1)
	s_xor_b64 s[22:23], s[22:23], s[18:19]
	s_mul_i32 s21, s22, s12
	s_delay_alu instid0(VALU_DEP_1)
	s_mul_hi_u32 s24, s22, s3
	s_mul_hi_u32 s17, s22, s12
	;; [unrolled: 1-line block ×3, first 2 shown]
	s_mul_i32 s3, s23, s3
	s_add_u32 s21, s24, s21
	s_addc_u32 s17, 0, s17
	s_mul_hi_u32 s25, s23, s12
	s_add_u32 s3, s21, s3
	s_mul_i32 s12, s23, s12
	s_addc_u32 s3, s17, s26
	s_addc_u32 s17, s25, 0
	s_add_u32 s3, s3, s12
	s_addc_u32 s12, 0, s17
	s_mul_i32 s21, s20, s3
	s_add_u32 s17, s3, 1
	v_sub_co_u32 v1, s21, s22, s21
	s_mul_hi_u32 s22, s20, s3
	s_addc_u32 s24, s12, 0
	s_mul_i32 s25, s20, s12
	s_delay_alu instid0(VALU_DEP_1)
	v_sub_co_u32 v2, s26, v1, s20
	s_add_u32 s27, s3, 2
	s_addc_u32 s28, s12, 0
	s_add_i32 s22, s22, s25
	s_cmp_lg_u32 s21, 0
	v_readfirstlane_b32 s21, v2
	s_subb_u32 s22, s23, s22
	s_cmp_lg_u32 s26, 0
	s_subb_u32 s23, s22, 0
	s_delay_alu instid0(VALU_DEP_1) | instskip(SKIP_4) | instid1(SALU_CYCLE_1)
	s_cmp_ge_u32 s21, s20
	s_cselect_b32 s21, -1, 0
	s_cmp_eq_u32 s23, 0
	v_readfirstlane_b32 s23, v1
	s_cselect_b32 s21, s21, -1
	s_cmp_lg_u32 s21, 0
	s_cselect_b32 s17, s27, s17
	s_cselect_b32 s21, s28, s24
	s_cmp_ge_u32 s23, s20
	s_cselect_b32 s23, -1, 0
	s_cmp_eq_u32 s22, 0
	s_cselect_b32 s22, s23, -1
	s_delay_alu instid0(SALU_CYCLE_1) | instskip(SKIP_2) | instid1(SALU_CYCLE_1)
	s_cmp_lg_u32 s22, 0
	s_cselect_b32 s23, s21, s12
	s_cselect_b32 s22, s17, s3
	s_xor_b64 s[22:23], s[22:23], s[18:19]
	s_delay_alu instid0(SALU_CYCLE_1)
	s_sub_u32 s18, s22, s18
	s_and_not1_b32 vcc_lo, exec_lo, s2
	s_cbranch_vccnz .LBB22_6
.LBB22_5:
	v_cvt_f32_u32_e32 v1, s20
	s_sub_i32 s3, 0, s20
	s_delay_alu instid0(VALU_DEP_1) | instskip(SKIP_2) | instid1(VALU_DEP_1)
	v_rcp_iflag_f32_e32 v1, v1
	s_waitcnt_depctr 0xfff
	v_mul_f32_e32 v1, 0x4f7ffffe, v1
	v_cvt_u32_f32_e32 v1, v1
	s_delay_alu instid0(VALU_DEP_1) | instskip(NEXT) | instid1(VALU_DEP_1)
	v_readfirstlane_b32 s2, v1
	s_mul_i32 s3, s3, s2
	s_delay_alu instid0(SALU_CYCLE_1) | instskip(NEXT) | instid1(SALU_CYCLE_1)
	s_mul_hi_u32 s3, s2, s3
	s_add_i32 s2, s2, s3
	s_delay_alu instid0(SALU_CYCLE_1) | instskip(NEXT) | instid1(SALU_CYCLE_1)
	s_mul_hi_u32 s2, s11, s2
	s_mul_i32 s3, s2, s20
	s_delay_alu instid0(SALU_CYCLE_1)
	s_sub_i32 s3, s11, s3
	s_add_i32 s11, s2, 1
	s_sub_i32 s12, s3, s20
	s_cmp_ge_u32 s3, s20
	s_cselect_b32 s2, s11, s2
	s_cselect_b32 s3, s12, s3
	s_add_i32 s11, s2, 1
	s_cmp_ge_u32 s3, s20
	s_cselect_b32 s18, s11, s2
.LBB22_6:
	s_delay_alu instid0(SALU_CYCLE_1) | instskip(SKIP_3) | instid1(SALU_CYCLE_1)
	s_cmp_eq_u32 s16, s18
	s_mul_hi_u32 s2, s16, s8
	s_cselect_b32 s3, -1, 0
	s_add_i32 s2, s2, s16
	s_lshr_b32 s11, s2, s9
	s_delay_alu instid0(SALU_CYCLE_1) | instskip(NEXT) | instid1(SALU_CYCLE_1)
	s_mul_i32 s2, s11, s10
	s_cmp_eq_u32 s2, s16
	s_mul_hi_u32 s2, s18, s8
	s_cselect_b32 s12, -1, 0
	s_add_i32 s2, s2, s18
	s_delay_alu instid0(SALU_CYCLE_1) | instskip(NEXT) | instid1(SALU_CYCLE_1)
	s_lshr_b32 s2, s2, s9
	s_cmp_eq_u32 s11, s2
	s_mul_i32 s2, s2, s10
	s_cselect_b32 s17, -1, 0
	s_cmp_lg_u32 s2, s18
	s_cselect_b32 s2, -1, 0
	s_or_b32 s3, s3, s12
	s_and_b32 s2, s17, s2
	s_delay_alu instid0(SALU_CYCLE_1) | instskip(NEXT) | instid1(SALU_CYCLE_1)
	s_or_b32 s2, s3, s2
	s_and_b32 vcc_lo, exec_lo, s2
	s_cbranch_vccnz .LBB22_24
; %bb.7:
	s_load_b256 s[24:31], s[0:1], 0x20
	s_waitcnt lgkmcnt(0)
	s_mul_hi_u32 s2, s16, s24
	s_delay_alu instid0(SALU_CYCLE_1) | instskip(NEXT) | instid1(SALU_CYCLE_1)
	s_add_i32 s2, s2, s16
	s_lshr_b32 s17, s2, s25
	s_load_b32 s2, s[0:1], 0x40
	s_mul_i32 s3, s17, s26
	s_delay_alu instid0(SALU_CYCLE_1) | instskip(NEXT) | instid1(SALU_CYCLE_1)
	s_sub_i32 s3, s16, s3
	s_mul_hi_u32 s12, s3, s27
	s_delay_alu instid0(SALU_CYCLE_1) | instskip(NEXT) | instid1(SALU_CYCLE_1)
	s_add_i32 s12, s3, s12
	s_lshr_b32 s19, s12, s28
	s_delay_alu instid0(SALU_CYCLE_1) | instskip(NEXT) | instid1(SALU_CYCLE_1)
	s_mul_i32 s12, s19, s29
	s_sub_i32 s3, s3, s12
	s_delay_alu instid0(SALU_CYCLE_1) | instskip(NEXT) | instid1(SALU_CYCLE_1)
	s_mul_hi_u32 s12, s3, s30
	s_add_i32 s12, s3, s12
	s_delay_alu instid0(SALU_CYCLE_1)
	s_lshr_b32 s12, s12, s31
	s_waitcnt lgkmcnt(0)
	s_mul_i32 s2, s12, s2
	s_lshl_b32 s21, s12, 2
	s_sub_i32 s2, s3, s2
	s_mov_b32 s12, 0
	s_mul_hi_u32 s3, s2, s8
	s_delay_alu instid0(SALU_CYCLE_1) | instskip(NEXT) | instid1(SALU_CYCLE_1)
	s_add_i32 s2, s2, s3
	s_lshr_b32 s18, s2, s9
	s_delay_alu instid0(SALU_CYCLE_1) | instskip(NEXT) | instid1(SALU_CYCLE_1)
	s_lshl_b32 s2, s18, 4
	s_add_i32 s2, s2, s14
	s_delay_alu instid0(SALU_CYCLE_1) | instskip(SKIP_2) | instid1(SALU_CYCLE_1)
	s_cmp_lt_i32 s2, s4
	s_cselect_b32 s2, -1, 0
	s_add_i32 s21, s21, s15
	s_cmp_lt_i32 s21, s6
	s_cselect_b32 s3, -1, 0
	s_delay_alu instid0(SALU_CYCLE_1) | instskip(NEXT) | instid1(SALU_CYCLE_1)
	s_and_b32 s2, s2, s3
	s_and_not1_b32 vcc_lo, exec_lo, s2
	s_cbranch_vccnz .LBB22_24
; %bb.8:
	s_load_b128 s[0:3], s[0:1], 0x0
	s_lshl_b32 s22, s20, 8
	s_mov_b32 s23, s12
	s_lshl_b32 s24, s14, 2
	s_lshl_b64 s[22:23], s[22:23], 2
	s_mul_i32 s19, s19, s6
	s_mul_i32 s4, s17, s4
	s_add_i32 s6, s24, s15
	v_cvt_f32_ubyte0_e32 v3, 0
	v_cvt_f32_u32_e32 v4, s20
	s_waitcnt lgkmcnt(0)
	s_add_u32 s15, s2, s22
	s_addc_u32 s17, s3, s23
	s_add_i32 s4, s4, s14
	s_add_i32 s14, s21, s19
	s_mul_i32 s4, s4, s5
	s_mul_i32 s5, s5, s18
	s_add_i32 s4, s14, s4
	s_mulk_i32 s5, 0x700
	s_mulk_i32 s4, 0x70
	s_delay_alu instid0(SALU_CYCLE_1) | instskip(NEXT) | instid1(VALU_DEP_1)
	v_add3_u32 v1, s5, s4, v0
	v_ashrrev_i32_e32 v2, 31, v1
	s_delay_alu instid0(VALU_DEP_1) | instskip(NEXT) | instid1(VALU_DEP_1)
	v_lshlrev_b64 v[1:2], 2, v[1:2]
	v_add_co_u32 v1, vcc_lo, s0, v1
	s_delay_alu instid0(VALU_DEP_2) | instskip(SKIP_1) | instid1(SALU_CYCLE_1)
	v_add_co_ci_u32_e32 v2, vcc_lo, s1, v2, vcc_lo
	s_lshl_b32 s0, s13, 6
	s_add_i32 s0, s6, s0
	global_load_b32 v5, v[1:2], off
	s_ashr_i32 s1, s0, 31
	s_delay_alu instid0(SALU_CYCLE_1) | instskip(NEXT) | instid1(SALU_CYCLE_1)
	s_lshl_b64 s[0:1], s[0:1], 3
	s_add_u32 s0, s2, s0
	s_addc_u32 s1, s3, s1
	s_add_i32 s18, s13, -1
	s_load_b64 s[0:1], s[0:1], 0x0
	v_fmac_f32_e32 v4, 0x4f800000, v3
	s_sub_i32 s14, 0, s20
	s_delay_alu instid0(VALU_DEP_1)
	v_rcp_f32_e32 v3, v4
	s_waitcnt_depctr 0xfff
	v_mul_f32_e32 v6, 0x5f7ffffc, v3
	v_cvt_f32_u32_e32 v3, s20
	s_waitcnt lgkmcnt(0)
	v_mov_b32_e32 v8, s0
	s_delay_alu instid0(VALU_DEP_3) | instskip(NEXT) | instid1(VALU_DEP_3)
	v_mul_f32_e32 v4, 0x2f800000, v6
	v_rcp_iflag_f32_e32 v7, v3
	s_delay_alu instid0(VALU_DEP_1) | instskip(SKIP_1) | instid1(VALU_DEP_2)
	v_trunc_f32_e32 v9, v4
	v_mad_u64_u32 v[3:4], null, 0x70, s6, v[0:1]
	v_fmac_f32_e32 v6, 0xcf800000, v9
	s_waitcnt_depctr 0xfff
	v_dual_mul_f32 v10, 0x4f7ffffe, v7 :: v_dual_mov_b32 v7, s1
	v_cvt_u32_f32_e32 v4, v9
	v_cvt_u32_f32_e32 v0, v6
	s_delay_alu instid0(VALU_DEP_3)
	v_cvt_u32_f32_e32 v6, v10
.LBB22_9:                               ; =>This Inner Loop Header: Depth=1
	s_mul_hi_i32 s13, s18, s7
	s_mul_i32 s4, s18, s7
	s_cmp_lg_u64 s[12:13], 0
	s_mov_b32 s5, -1
                                        ; implicit-def: $sgpr0_sgpr1
	s_cbranch_scc0 .LBB22_11
; %bb.10:                               ;   in Loop: Header=BB22_9 Depth=1
	v_readfirstlane_b32 s0, v0
	v_readfirstlane_b32 s1, v4
	s_sub_u32 s5, 0, s20
	s_subb_u32 s19, 0, 0
	s_delay_alu instid0(VALU_DEP_2) | instskip(NEXT) | instid1(VALU_DEP_1)
	s_mul_hi_u32 s21, s5, s0
	s_mul_i32 s22, s5, s1
	s_mul_i32 s23, s19, s0
	s_add_i32 s21, s21, s22
	s_mul_i32 s22, s5, s0
	s_add_i32 s21, s21, s23
	s_mul_hi_u32 s23, s0, s22
	s_mul_i32 s24, s0, s21
	s_mul_hi_u32 s0, s0, s21
	s_add_u32 s23, s23, s24
	s_mul_i32 s25, s1, s22
	s_addc_u32 s0, 0, s0
	s_mul_hi_u32 s22, s1, s22
	s_mul_hi_u32 s24, s1, s21
	s_add_u32 s23, s23, s25
	s_addc_u32 s0, s0, s22
	s_mul_i32 s21, s1, s21
	s_addc_u32 s22, s24, 0
	s_add_u32 s0, s0, s21
	s_addc_u32 s21, 0, s22
	v_add_co_u32 v9, s0, v0, s0
	s_delay_alu instid0(VALU_DEP_1) | instskip(SKIP_1) | instid1(VALU_DEP_1)
	s_cmp_lg_u32 s0, 0
	s_addc_u32 s1, s1, s21
	v_readfirstlane_b32 s0, v9
	s_mul_i32 s21, s5, s1
	s_delay_alu instid0(VALU_DEP_1)
	s_mul_hi_u32 s22, s5, s0
	s_mul_i32 s19, s19, s0
	s_add_i32 s21, s22, s21
	s_mul_i32 s5, s5, s0
	s_add_i32 s21, s21, s19
	s_mul_hi_u32 s19, s1, s5
	s_mul_i32 s23, s1, s5
	s_mul_i32 s24, s0, s21
	s_mul_hi_u32 s5, s0, s5
	s_mul_hi_u32 s0, s0, s21
	s_add_u32 s5, s5, s24
	s_addc_u32 s0, 0, s0
	s_mul_hi_u32 s22, s1, s21
	s_add_u32 s5, s5, s23
	s_addc_u32 s0, s0, s19
	s_mul_i32 s5, s1, s21
	s_addc_u32 s19, s22, 0
	s_add_u32 s0, s0, s5
	s_addc_u32 s5, 0, s19
	v_add_co_u32 v9, s0, v9, s0
	s_delay_alu instid0(VALU_DEP_1) | instskip(SKIP_2) | instid1(SALU_CYCLE_1)
	s_cmp_lg_u32 s0, 0
	s_addc_u32 s5, s1, s5
	s_ashr_i32 s0, s13, 31
	s_add_u32 s22, s4, s0
	s_addc_u32 s23, s13, s0
	v_readfirstlane_b32 s13, v9
	s_mov_b32 s1, s0
	s_delay_alu instid0(SALU_CYCLE_1) | instskip(NEXT) | instid1(SALU_CYCLE_1)
	s_xor_b64 s[22:23], s[22:23], s[0:1]
	s_mul_i32 s19, s22, s5
	s_delay_alu instid0(VALU_DEP_1)
	s_mul_hi_u32 s21, s22, s13
	s_mul_hi_u32 s24, s22, s5
	s_add_u32 s19, s21, s19
	s_mul_i32 s25, s23, s13
	s_addc_u32 s21, 0, s24
	s_mul_hi_u32 s13, s23, s13
	s_mul_hi_u32 s24, s23, s5
	s_add_u32 s19, s19, s25
	s_addc_u32 s13, s21, s13
	s_mul_i32 s5, s23, s5
	s_addc_u32 s19, s24, 0
	s_add_u32 s5, s13, s5
	s_addc_u32 s13, 0, s19
	s_mul_i32 s21, s20, s5
	s_add_u32 s19, s5, 1
	v_sub_co_u32 v9, s21, s22, s21
	s_addc_u32 s22, s13, 0
	s_mul_i32 s25, s20, s13
	s_mul_hi_u32 s27, s20, s5
	s_delay_alu instid0(VALU_DEP_1)
	v_sub_co_u32 v10, s26, v9, s20
	s_add_u32 s24, s5, 2
	s_addc_u32 s28, s13, 0
	s_add_i32 s27, s27, s25
	s_cmp_lg_u32 s21, 0
	v_readfirstlane_b32 s21, v10
	s_subb_u32 s23, s23, s27
	s_cmp_lg_u32 s26, 0
	s_subb_u32 s25, s23, 0
	s_delay_alu instid0(VALU_DEP_1) | instskip(SKIP_4) | instid1(SALU_CYCLE_1)
	s_cmp_ge_u32 s21, s20
	s_cselect_b32 s21, -1, 0
	s_cmp_eq_u32 s25, 0
	v_readfirstlane_b32 s25, v9
	s_cselect_b32 s21, s21, -1
	s_cmp_lg_u32 s21, 0
	s_cselect_b32 s19, s24, s19
	s_cselect_b32 s21, s28, s22
	s_cmp_ge_u32 s25, s20
	s_cselect_b32 s22, -1, 0
	s_cmp_eq_u32 s23, 0
	s_cselect_b32 s22, s22, -1
	s_delay_alu instid0(SALU_CYCLE_1) | instskip(SKIP_4) | instid1(SALU_CYCLE_1)
	s_cmp_lg_u32 s22, 0
	s_cselect_b32 s23, s21, s13
	s_cselect_b32 s22, s19, s5
	s_mov_b32 s5, 0
	s_xor_b64 s[22:23], s[22:23], s[0:1]
	s_sub_u32 s0, s22, s0
.LBB22_11:                              ;   in Loop: Header=BB22_9 Depth=1
	s_and_not1_b32 vcc_lo, exec_lo, s5
	s_cbranch_vccnz .LBB22_13
; %bb.12:                               ;   in Loop: Header=BB22_9 Depth=1
	v_readfirstlane_b32 s0, v6
	s_delay_alu instid0(VALU_DEP_1) | instskip(NEXT) | instid1(SALU_CYCLE_1)
	s_mul_i32 s1, s14, s0
	s_mul_hi_u32 s1, s0, s1
	s_delay_alu instid0(SALU_CYCLE_1) | instskip(NEXT) | instid1(SALU_CYCLE_1)
	s_add_i32 s0, s0, s1
	s_mul_hi_u32 s0, s4, s0
	s_delay_alu instid0(SALU_CYCLE_1) | instskip(NEXT) | instid1(SALU_CYCLE_1)
	s_mul_i32 s1, s0, s20
	s_sub_i32 s1, s4, s1
	s_add_i32 s4, s0, 1
	s_sub_i32 s5, s1, s20
	s_cmp_ge_u32 s1, s20
	s_cselect_b32 s0, s4, s0
	s_cselect_b32 s1, s5, s1
	s_add_i32 s4, s0, 1
	s_cmp_ge_u32 s1, s20
	s_cselect_b32 s0, s4, s0
.LBB22_13:                              ;   in Loop: Header=BB22_9 Depth=1
	s_delay_alu instid0(SALU_CYCLE_1)
	s_cmp_lg_u32 s16, s0
	s_cbranch_scc0 .LBB22_17
; %bb.14:                               ;   in Loop: Header=BB22_9 Depth=1
	s_add_i32 s1, s18, s20
	s_mov_b32 s5, s12
	s_lshl_b32 s1, s1, 6
	s_mov_b32 s19, s16
	s_add_i32 s4, s1, s6
	s_mul_hi_u32 s1, s0, s8
	s_lshl_b64 s[4:5], s[4:5], 3
	s_delay_alu instid0(SALU_CYCLE_1) | instskip(SKIP_2) | instid1(SALU_CYCLE_1)
	s_add_u32 s4, s2, s4
	s_addc_u32 s5, s3, s5
	s_add_i32 s1, s1, s0
	s_lshr_b32 s1, s1, s9
	s_delay_alu instid0(SALU_CYCLE_1) | instskip(NEXT) | instid1(SALU_CYCLE_1)
	s_mul_i32 s13, s1, s10
	s_cmp_eq_u32 s13, s0
	s_cselect_b32 s13, -1, 0
	s_cmp_lt_u32 s1, s11
	s_cselect_b32 s1, -1, 0
	s_delay_alu instid0(SALU_CYCLE_1)
	s_or_b32 s1, s1, s13
	s_mov_b32 s13, -1
	s_and_b32 vcc_lo, exec_lo, s1
	s_mov_b32 s1, s18
	s_cbranch_vccnz .LBB22_16
; %bb.15:                               ;   in Loop: Header=BB22_9 Depth=1
	s_add_i32 s1, s18, -1
	s_mov_b32 s13, 0
	s_mov_b32 s19, s0
.LBB22_16:                              ;   in Loop: Header=BB22_9 Depth=1
	v_mad_u64_u32 v[9:10], null, 0x1c00, s18, v[3:4]
	s_load_b64 s[4:5], s[4:5], 0x0
	s_delay_alu instid0(VALU_DEP_1) | instskip(NEXT) | instid1(VALU_DEP_1)
	v_ashrrev_i32_e32 v10, 31, v9
	v_lshlrev_b64 v[9:10], 2, v[9:10]
	s_delay_alu instid0(VALU_DEP_1) | instskip(NEXT) | instid1(VALU_DEP_2)
	v_add_co_u32 v9, vcc_lo, s15, v9
	v_add_co_ci_u32_e32 v10, vcc_lo, s17, v10, vcc_lo
	s_waitcnt lgkmcnt(0)
	v_max_f32_e64 v11, s4, s4
	global_load_b32 v10, v[9:10], off
	v_max_f32_e32 v9, v8, v8
	s_delay_alu instid0(VALU_DEP_1) | instskip(NEXT) | instid1(VALU_DEP_1)
	v_max_f32_e32 v9, v9, v11
	v_sub_f32_e32 v12, v8, v9
	s_delay_alu instid0(VALU_DEP_1) | instskip(NEXT) | instid1(VALU_DEP_1)
	v_dual_mul_f32 v14, 0x3fb8aa3b, v12 :: v_dual_sub_f32 v11, s4, v9
	v_rndne_f32_e32 v18, v14
	s_delay_alu instid0(VALU_DEP_2) | instskip(SKIP_2) | instid1(VALU_DEP_4)
	v_mul_f32_e32 v13, 0x3fb8aa3b, v11
	v_fma_f32 v17, 0x3fb8aa3b, v12, -v14
	v_cmp_ngt_f32_e32 vcc_lo, 0xc2ce8ed0, v11
	v_sub_f32_e32 v14, v14, v18
	s_delay_alu instid0(VALU_DEP_4) | instskip(SKIP_2) | instid1(VALU_DEP_3)
	v_fma_f32 v15, 0x3fb8aa3b, v11, -v13
	v_rndne_f32_e32 v16, v13
	v_fmac_f32_e32 v17, 0x32a5705f, v12
	v_fmac_f32_e32 v15, 0x32a5705f, v11
	s_delay_alu instid0(VALU_DEP_2) | instskip(NEXT) | instid1(VALU_DEP_1)
	v_dual_sub_f32 v13, v13, v16 :: v_dual_add_f32 v14, v14, v17
	v_add_f32_e32 v13, v13, v15
	s_delay_alu instid0(VALU_DEP_2) | instskip(SKIP_2) | instid1(VALU_DEP_3)
	v_exp_f32_e32 v14, v14
	v_cvt_i32_f32_e32 v15, v16
	v_cvt_i32_f32_e32 v16, v18
	v_exp_f32_e32 v13, v13
	s_waitcnt_depctr 0xfff
	v_ldexp_f32 v14, v14, v16
	v_ldexp_f32 v13, v13, v15
	s_delay_alu instid0(VALU_DEP_1) | instskip(SKIP_1) | instid1(VALU_DEP_4)
	v_cndmask_b32_e32 v13, 0, v13, vcc_lo
	v_cmp_ngt_f32_e32 vcc_lo, 0xc2ce8ed0, v12
	v_cndmask_b32_e32 v14, 0, v14, vcc_lo
	v_cmp_nlt_f32_e32 vcc_lo, 0x42b17218, v11
	s_delay_alu instid0(VALU_DEP_4) | instskip(SKIP_1) | instid1(VALU_DEP_4)
	v_cndmask_b32_e32 v13, 0x7f800000, v13, vcc_lo
	v_cmp_nlt_f32_e32 vcc_lo, 0x42b17218, v12
	v_cndmask_b32_e32 v14, 0x7f800000, v14, vcc_lo
	v_cmp_le_f32_e32 vcc_lo, 0xc1a00000, v11
	s_delay_alu instid0(VALU_DEP_4) | instskip(SKIP_1) | instid1(VALU_DEP_4)
	v_cndmask_b32_e32 v11, 0, v13, vcc_lo
	v_cmp_le_f32_e32 vcc_lo, 0xc1a00000, v12
	v_cndmask_b32_e32 v12, 0, v14, vcc_lo
	s_waitcnt vmcnt(0)
	s_delay_alu instid0(VALU_DEP_3) | instskip(NEXT) | instid1(VALU_DEP_1)
	v_mul_f32_e32 v10, v10, v11
	v_dual_mul_f32 v11, s5, v11 :: v_dual_fmac_f32 v10, v5, v12
	s_delay_alu instid0(VALU_DEP_1)
	v_fmac_f32_e32 v11, v7, v12
	s_cbranch_execz .LBB22_18
	s_branch .LBB22_19
.LBB22_17:                              ;   in Loop: Header=BB22_9 Depth=1
                                        ; implicit-def: $sgpr13
                                        ; implicit-def: $vgpr10
                                        ; implicit-def: $vgpr9
                                        ; implicit-def: $vgpr11
                                        ; implicit-def: $sgpr1
                                        ; implicit-def: $sgpr19
.LBB22_18:                              ;   in Loop: Header=BB22_9 Depth=1
	s_waitcnt vmcnt(0)
	v_dual_mov_b32 v11, v7 :: v_dual_mov_b32 v10, v5
	v_mov_b32_e32 v9, v8
	s_add_i32 s1, s18, -1
	s_mov_b32 s13, 0
	s_mov_b32 s19, s16
.LBB22_19:                              ;   in Loop: Header=BB22_9 Depth=1
	s_and_not1_b32 vcc_lo, exec_lo, s13
	s_cbranch_vccz .LBB22_23
; %bb.20:                               ;   in Loop: Header=BB22_9 Depth=1
	v_dual_mov_b32 v7, v11 :: v_dual_mov_b32 v8, v9
	s_waitcnt vmcnt(0)
	v_mov_b32_e32 v5, v10
	s_mov_b32 s16, s19
	s_mov_b32 s18, s1
	s_branch .LBB22_9
.LBB22_21:
                                        ; implicit-def: $sgpr16_sgpr17
	s_load_b128 s[8:11], s[0:1], 0x44
	s_branch .LBB22_2
.LBB22_22:
                                        ; implicit-def: $sgpr18_sgpr19
	s_branch .LBB22_5
.LBB22_23:
	v_div_scale_f32 v0, null, v11, v11, v10
	s_delay_alu instid0(VALU_DEP_1) | instskip(SKIP_2) | instid1(VALU_DEP_1)
	v_rcp_f32_e32 v3, v0
	s_waitcnt_depctr 0xfff
	v_fma_f32 v4, -v0, v3, 1.0
	v_fmac_f32_e32 v3, v4, v3
	v_div_scale_f32 v4, vcc_lo, v10, v11, v10
	s_waitcnt vmcnt(0)
	s_delay_alu instid0(VALU_DEP_1) | instskip(NEXT) | instid1(VALU_DEP_1)
	v_mul_f32_e32 v5, v4, v3
	v_fma_f32 v6, -v0, v5, v4
	s_delay_alu instid0(VALU_DEP_1) | instskip(NEXT) | instid1(VALU_DEP_1)
	v_fmac_f32_e32 v5, v6, v3
	v_fma_f32 v0, -v0, v5, v4
	s_delay_alu instid0(VALU_DEP_1) | instskip(NEXT) | instid1(VALU_DEP_1)
	v_div_fmas_f32 v0, v0, v3, v5
	v_div_fixup_f32 v0, v0, v11, v10
	global_store_b32 v[1:2], v0, off
.LBB22_24:
	s_nop 0
	s_sendmsg sendmsg(MSG_DEALLOC_VGPRS)
	s_endpgm
	.section	.rodata,"a",@progbits
	.p2align	6, 0x0
	.amdhsa_kernel _ZL33flash_attn_stream_k_fixup_generalILi112ELi16ELi4EEvPfPK15HIP_vector_typeIfLj2EEiiiiS1_IjLj3EES5_S5_S5_
		.amdhsa_group_segment_fixed_size 0
		.amdhsa_private_segment_fixed_size 0
		.amdhsa_kernarg_size 336
		.amdhsa_user_sgpr_count 13
		.amdhsa_user_sgpr_dispatch_ptr 0
		.amdhsa_user_sgpr_queue_ptr 0
		.amdhsa_user_sgpr_kernarg_segment_ptr 1
		.amdhsa_user_sgpr_dispatch_id 0
		.amdhsa_user_sgpr_private_segment_size 0
		.amdhsa_wavefront_size32 1
		.amdhsa_uses_dynamic_stack 0
		.amdhsa_enable_private_segment 0
		.amdhsa_system_sgpr_workgroup_id_x 1
		.amdhsa_system_sgpr_workgroup_id_y 1
		.amdhsa_system_sgpr_workgroup_id_z 1
		.amdhsa_system_sgpr_workgroup_info 0
		.amdhsa_system_vgpr_workitem_id 0
		.amdhsa_next_free_vgpr 19
		.amdhsa_next_free_sgpr 32
		.amdhsa_reserve_vcc 1
		.amdhsa_float_round_mode_32 0
		.amdhsa_float_round_mode_16_64 0
		.amdhsa_float_denorm_mode_32 3
		.amdhsa_float_denorm_mode_16_64 3
		.amdhsa_dx10_clamp 1
		.amdhsa_ieee_mode 1
		.amdhsa_fp16_overflow 0
		.amdhsa_workgroup_processor_mode 1
		.amdhsa_memory_ordered 1
		.amdhsa_forward_progress 0
		.amdhsa_shared_vgpr_count 0
		.amdhsa_exception_fp_ieee_invalid_op 0
		.amdhsa_exception_fp_denorm_src 0
		.amdhsa_exception_fp_ieee_div_zero 0
		.amdhsa_exception_fp_ieee_overflow 0
		.amdhsa_exception_fp_ieee_underflow 0
		.amdhsa_exception_fp_ieee_inexact 0
		.amdhsa_exception_int_div_zero 0
	.end_amdhsa_kernel
	.section	.text._ZL33flash_attn_stream_k_fixup_generalILi112ELi16ELi4EEvPfPK15HIP_vector_typeIfLj2EEiiiiS1_IjLj3EES5_S5_S5_,"axG",@progbits,_ZL33flash_attn_stream_k_fixup_generalILi112ELi16ELi4EEvPfPK15HIP_vector_typeIfLj2EEiiiiS1_IjLj3EES5_S5_S5_,comdat
.Lfunc_end22:
	.size	_ZL33flash_attn_stream_k_fixup_generalILi112ELi16ELi4EEvPfPK15HIP_vector_typeIfLj2EEiiiiS1_IjLj3EES5_S5_S5_, .Lfunc_end22-_ZL33flash_attn_stream_k_fixup_generalILi112ELi16ELi4EEvPfPK15HIP_vector_typeIfLj2EEiiiiS1_IjLj3EES5_S5_S5_
                                        ; -- End function
	.section	.AMDGPU.csdata,"",@progbits
; Kernel info:
; codeLenInByte = 3224
; NumSgprs: 34
; NumVgprs: 19
; ScratchSize: 0
; MemoryBound: 0
; FloatMode: 240
; IeeeMode: 1
; LDSByteSize: 0 bytes/workgroup (compile time only)
; SGPRBlocks: 4
; VGPRBlocks: 2
; NumSGPRsForWavesPerEU: 34
; NumVGPRsForWavesPerEU: 19
; Occupancy: 16
; WaveLimiterHint : 0
; COMPUTE_PGM_RSRC2:SCRATCH_EN: 0
; COMPUTE_PGM_RSRC2:USER_SGPR: 13
; COMPUTE_PGM_RSRC2:TRAP_HANDLER: 0
; COMPUTE_PGM_RSRC2:TGID_X_EN: 1
; COMPUTE_PGM_RSRC2:TGID_Y_EN: 1
; COMPUTE_PGM_RSRC2:TGID_Z_EN: 1
; COMPUTE_PGM_RSRC2:TIDIG_COMP_CNT: 0
	.section	.text._ZL26flash_attn_combine_resultsILi112EEvPKfPK15HIP_vector_typeIfLj2EEPfi,"axG",@progbits,_ZL26flash_attn_combine_resultsILi112EEvPKfPK15HIP_vector_typeIfLj2EEPfi,comdat
	.globl	_ZL26flash_attn_combine_resultsILi112EEvPKfPK15HIP_vector_typeIfLj2EEPfi ; -- Begin function _ZL26flash_attn_combine_resultsILi112EEvPKfPK15HIP_vector_typeIfLj2EEPfi
	.p2align	8
	.type	_ZL26flash_attn_combine_resultsILi112EEvPKfPK15HIP_vector_typeIfLj2EEPfi,@function
_ZL26flash_attn_combine_resultsILi112EEvPKfPK15HIP_vector_typeIfLj2EEPfi: ; @_ZL26flash_attn_combine_resultsILi112EEvPKfPK15HIP_vector_typeIfLj2EEPfi
; %bb.0:
	s_clause 0x3
	s_load_b64 s[2:3], s[0:1], 0x20
	s_load_b32 s12, s[0:1], 0x18
	s_load_b128 s[8:11], s[0:1], 0x0
	s_load_b64 s[16:17], s[0:1], 0x10
	v_lshlrev_b32_e32 v7, 2, v0
	s_mov_b32 s4, exec_lo
	s_waitcnt lgkmcnt(0)
	s_mul_i32 s0, s2, s15
	s_lshl_b32 s1, s12, 1
	s_add_i32 s0, s0, s13
	s_delay_alu instid0(SALU_CYCLE_1) | instskip(NEXT) | instid1(SALU_CYCLE_1)
	s_mul_i32 s7, s0, s3
	s_add_i32 s7, s7, s14
	s_delay_alu instid0(SALU_CYCLE_1)
	s_mul_i32 s2, s7, s12
	v_cmpx_gt_i32_e64 s1, v0
	s_cbranch_execz .LBB23_3
; %bb.1:
	s_ashr_i32 s3, s2, 31
	v_dual_mov_b32 v4, v0 :: v_dual_add_nc_u32 v3, 0, v7
	s_lshl_b64 s[14:15], s[2:3], 3
	s_delay_alu instid0(SALU_CYCLE_1) | instskip(SKIP_2) | instid1(VALU_DEP_1)
	s_add_u32 s0, s10, s14
	s_addc_u32 s3, s11, s15
	v_add_co_u32 v1, s0, s0, v7
	v_add_co_ci_u32_e64 v2, null, s3, 0, s0
	s_mov_b32 s3, 0
	.p2align	6
.LBB23_2:                               ; =>This Inner Loop Header: Depth=1
	global_load_b32 v5, v[1:2], off
	v_add_nc_u32_e32 v4, 0x70, v4
	v_add_co_u32 v1, vcc_lo, 0x1c0, v1
	v_add_co_ci_u32_e32 v2, vcc_lo, 0, v2, vcc_lo
	s_delay_alu instid0(VALU_DEP_3) | instskip(NEXT) | instid1(VALU_DEP_1)
	v_cmp_le_i32_e64 s0, s1, v4
	s_or_b32 s3, s0, s3
	s_waitcnt vmcnt(0)
	ds_store_b32 v3, v5
	v_add_nc_u32_e32 v3, 0x1c0, v3
	s_and_not1_b32 exec_lo, exec_lo, s3
	s_cbranch_execnz .LBB23_2
.LBB23_3:
	s_or_b32 exec_lo, exec_lo, s4
	v_mov_b32_e32 v1, 0
	s_waitcnt lgkmcnt(0)
	s_barrier
	buffer_gl0_inv
	s_cmp_lt_i32 s12, 2
	ds_load_b32 v8, v1
	s_cbranch_scc1 .LBB23_11
; %bb.4:
	s_add_i32 s1, s12, -2
	s_add_i32 s0, s12, -1
	s_cmp_lt_u32 s1, 7
	s_cbranch_scc1 .LBB23_8
; %bb.5:
	s_mov_b32 s3, 0
	s_add_i32 s1, 0, 8
	s_and_b32 s4, s0, -8
	.p2align	6
.LBB23_6:                               ; =>This Inner Loop Header: Depth=1
	v_mov_b32_e32 v9, s1
	s_mov_b32 s5, s3
	s_add_i32 s3, s3, 8
	s_add_i32 s1, s1, 64
	s_cmp_eq_u32 s4, s3
	ds_load_2addr_b32 v[1:2], v9 offset1:2
	ds_load_2addr_b32 v[3:4], v9 offset0:4 offset1:6
	ds_load_2addr_b32 v[5:6], v9 offset0:8 offset1:10
	;; [unrolled: 1-line block ×3, first 2 shown]
	s_waitcnt lgkmcnt(3)
	v_max3_f32 v1, v8, v1, v2
	s_waitcnt lgkmcnt(2)
	s_delay_alu instid0(VALU_DEP_1) | instskip(SKIP_1) | instid1(VALU_DEP_1)
	v_max3_f32 v1, v1, v3, v4
	s_waitcnt lgkmcnt(1)
	v_max3_f32 v1, v1, v5, v6
	s_waitcnt lgkmcnt(0)
	s_delay_alu instid0(VALU_DEP_1)
	v_max3_f32 v8, v1, v9, v10
	s_cbranch_scc0 .LBB23_6
; %bb.7:
	s_add_i32 s1, s5, 9
	s_and_b32 s0, s0, 7
	s_delay_alu instid0(SALU_CYCLE_1)
	s_cmp_eq_u32 s0, 0
	s_cbranch_scc0 .LBB23_9
	s_branch .LBB23_11
.LBB23_8:
	s_mov_b32 s1, 1
	s_and_b32 s0, s0, 7
	s_delay_alu instid0(SALU_CYCLE_1)
	s_cmp_eq_u32 s0, 0
	s_cbranch_scc1 .LBB23_11
.LBB23_9:
	s_lshl_b32 s1, s1, 3
	s_delay_alu instid0(SALU_CYCLE_1)
	s_add_i32 s1, s1, 0
.LBB23_10:                              ; =>This Inner Loop Header: Depth=1
	s_waitcnt lgkmcnt(0)
	s_delay_alu instid0(VALU_DEP_1)
	v_dual_mov_b32 v1, s1 :: v_dual_max_f32 v2, v8, v8
	s_add_i32 s0, s0, -1
	s_add_i32 s1, s1, 8
	s_cmp_lg_u32 s0, 0
	ds_load_b32 v1, v1
	s_waitcnt lgkmcnt(0)
	v_max_f32_e32 v1, v1, v1
	s_delay_alu instid0(VALU_DEP_1)
	v_max_f32_e32 v8, v2, v1
	s_cbranch_scc1 .LBB23_10
.LBB23_11:
	s_cmp_lt_i32 s12, 1
	s_cbranch_scc1 .LBB23_16
; %bb.12:
	s_mul_i32 s10, s2, 0x70
	v_mov_b32_e32 v9, 0
	s_ashr_i32 s11, s10, 31
	s_cmp_lt_u32 s12, 8
	s_mov_b32 s14, 0
	s_cbranch_scc1 .LBB23_17
; %bb.13:
	s_lshl_b64 s[0:1], s[10:11], 2
	v_dual_mov_b32 v6, 0 :: v_dual_add_nc_u32 v3, 0x1c0, v0
	s_add_u32 s15, s8, s0
	s_addc_u32 s18, s9, s1
	v_add_co_u32 v1, s0, s15, v7
	s_delay_alu instid0(VALU_DEP_1) | instskip(SKIP_1) | instid1(VALU_DEP_3)
	v_add_co_ci_u32_e64 v2, null, s18, 0, s0
	v_dual_mov_b32 v10, 0 :: v_dual_mov_b32 v9, 0
	v_add_co_u32 v1, vcc_lo, 0x1c0, v1
	s_delay_alu instid0(VALU_DEP_3)
	v_add_co_ci_u32_e32 v2, vcc_lo, 0, v2, vcc_lo
	s_and_b32 s13, s12, 0x7ffffff8
	s_mov_b32 s19, 0
.LBB23_14:                              ; =>This Inner Loop Header: Depth=1
	v_dual_mov_b32 v4, v6 :: v_dual_add_nc_u32 v5, 0xfffffe40, v3
	s_clause 0x1
	global_load_b32 v27, v[1:2], off
	global_load_b32 v28, v[1:2], off offset:448
	s_add_i32 s19, s19, 8
	v_lshlrev_b64 v[11:12], 2, v[5:6]
	v_lshlrev_b64 v[13:14], 2, v[3:4]
	v_add_nc_u32_e32 v5, 0xffffff90, v3
	s_delay_alu instid0(VALU_DEP_3) | instskip(NEXT) | instid1(VALU_DEP_4)
	v_add_co_u32 v11, vcc_lo, s15, v11
	v_add_co_ci_u32_e32 v12, vcc_lo, s18, v12, vcc_lo
	s_delay_alu instid0(VALU_DEP_3)
	v_lshlrev_b64 v[15:16], 2, v[5:6]
	v_add_co_u32 v13, vcc_lo, s15, v13
	global_load_b32 v29, v[11:12], off
	v_add_nc_u32_e32 v5, 0x70, v3
	v_add_co_ci_u32_e32 v14, vcc_lo, s18, v14, vcc_lo
	v_add_co_u32 v15, vcc_lo, s15, v15
	v_add_co_ci_u32_e32 v16, vcc_lo, s18, v16, vcc_lo
	global_load_b32 v31, v[13:14], off
	v_lshlrev_b64 v[11:12], 2, v[5:6]
	v_add_nc_u32_e32 v5, 0xe0, v3
	global_load_b32 v30, v[15:16], off
	v_lshlrev_b64 v[17:18], 2, v[5:6]
	v_add_nc_u32_e32 v5, 0x150, v3
	v_add_co_u32 v11, vcc_lo, s15, v11
	v_add_co_ci_u32_e32 v12, vcc_lo, s18, v12, vcc_lo
	s_delay_alu instid0(VALU_DEP_3)
	v_lshlrev_b64 v[4:5], 2, v[5:6]
	v_add_nc_u32_e32 v3, 0x380, v3
	global_load_b32 v32, v[11:12], off
	v_add_co_u32 v11, vcc_lo, s15, v17
	v_add_co_ci_u32_e32 v12, vcc_lo, s18, v18, vcc_lo
	v_add_co_u32 v4, vcc_lo, s15, v4
	v_add_co_ci_u32_e32 v5, vcc_lo, s18, v5, vcc_lo
	s_clause 0x1
	global_load_b32 v33, v[11:12], off
	global_load_b32 v4, v[4:5], off
	v_mov_b32_e32 v5, s14
	ds_load_2addr_b64 v[11:14], v5 offset1:1
	ds_load_2addr_b64 v[15:18], v5 offset0:2 offset1:3
	ds_load_2addr_b64 v[19:22], v5 offset0:4 offset1:5
	;; [unrolled: 1-line block ×3, first 2 shown]
	s_add_i32 s14, s14, 64
	s_cmp_eq_u32 s13, s19
	s_waitcnt lgkmcnt(3)
	v_sub_f32_e32 v5, v11, v8
	v_sub_f32_e32 v11, v13, v8
	s_waitcnt lgkmcnt(2)
	v_sub_f32_e32 v13, v15, v8
	v_sub_f32_e32 v15, v17, v8
	s_waitcnt lgkmcnt(1)
	v_sub_f32_e32 v17, v19, v8
	v_sub_f32_e32 v19, v21, v8
	s_waitcnt lgkmcnt(0)
	s_delay_alu instid0(VALU_DEP_1) | instskip(SKIP_2) | instid1(VALU_DEP_3)
	v_dual_sub_f32 v21, v23, v8 :: v_dual_mul_f32 v38, 0x3fb8aa3b, v19
	v_mul_f32_e32 v34, 0x3fb8aa3b, v11
	v_cmp_ngt_f32_e32 vcc_lo, 0xc2ce8ed0, v11
	v_fma_f32 v51, 0x3fb8aa3b, v19, -v38
	s_delay_alu instid0(VALU_DEP_3) | instskip(SKIP_2) | instid1(VALU_DEP_4)
	v_fma_f32 v43, 0x3fb8aa3b, v11, -v34
	v_rndne_f32_e32 v44, v34
	v_rndne_f32_e32 v52, v38
	v_fmac_f32_e32 v51, 0x32a5705f, v19
	s_delay_alu instid0(VALU_DEP_3) | instskip(SKIP_1) | instid1(VALU_DEP_4)
	v_dual_fmac_f32 v43, 0x32a5705f, v11 :: v_dual_sub_f32 v34, v34, v44
	v_cvt_i32_f32_e32 v44, v44
	v_sub_f32_e32 v38, v38, v52
	v_cvt_i32_f32_e32 v52, v52
	s_delay_alu instid0(VALU_DEP_4)
	v_add_f32_e32 v34, v34, v43
	v_mul_f32_e32 v36, 0x3fb8aa3b, v15
	v_cmp_ngt_f32_e64 s6, 0xc2ce8ed0, v5
	v_cmp_ngt_f32_e64 s1, 0xc2ce8ed0, v15
	v_add_f32_e32 v38, v38, v51
	v_exp_f32_e32 v34, v34
	v_fma_f32 v47, 0x3fb8aa3b, v15, -v36
	v_rndne_f32_e32 v48, v36
	v_cmp_ngt_f32_e64 s3, 0xc2ce8ed0, v19
	v_exp_f32_e32 v38, v38
	s_delay_alu instid0(VALU_DEP_2) | instskip(SKIP_1) | instid1(TRANS32_DEP_2)
	v_dual_fmac_f32 v47, 0x32a5705f, v15 :: v_dual_sub_f32 v36, v36, v48
	v_cvt_i32_f32_e32 v48, v48
	v_ldexp_f32 v34, v34, v44
	v_sub_f32_e32 v23, v25, v8
	s_delay_alu instid0(VALU_DEP_4) | instskip(SKIP_1) | instid1(VALU_DEP_4)
	v_dual_mul_f32 v25, 0x3fb8aa3b, v5 :: v_dual_add_f32 v36, v36, v47
	v_cmp_ngt_f32_e64 s2, 0xc2ce8ed0, v17
	v_cndmask_b32_e32 v34, 0, v34, vcc_lo
	v_cmp_nlt_f32_e32 vcc_lo, 0x42b17218, v5
	s_delay_alu instid0(VALU_DEP_4)
	v_fma_f32 v41, 0x3fb8aa3b, v5, -v25
	v_rndne_f32_e32 v42, v25
	v_mul_f32_e32 v40, 0x3fb8aa3b, v23
	v_exp_f32_e32 v36, v36
	v_cmp_ngt_f32_e64 s0, 0xc2ce8ed0, v13
	v_fmac_f32_e32 v41, 0x32a5705f, v5
	v_sub_f32_e32 v25, v25, v42
	v_cvt_i32_f32_e32 v42, v42
	v_fma_f32 v55, 0x3fb8aa3b, v23, -v40
	v_rndne_f32_e32 v56, v40
	v_ldexp_f32 v38, v38, v52
	v_add_f32_e32 v25, v25, v41
	v_cmp_ngt_f32_e64 s5, 0xc2ce8ed0, v23
	v_ldexp_f32 v36, v36, v48
	v_dual_fmac_f32 v55, 0x32a5705f, v23 :: v_dual_sub_f32 v40, v40, v56
	s_delay_alu instid0(VALU_DEP_4) | instskip(SKIP_1) | instid1(VALU_DEP_3)
	v_exp_f32_e32 v25, v25
	v_cvt_i32_f32_e32 v56, v56
	v_cndmask_b32_e64 v36, 0, v36, s1
	v_cndmask_b32_e64 v38, 0, v38, s3
	v_add_f32_e32 v40, v40, v55
	v_cmp_ngt_f32_e64 s4, 0xc2ce8ed0, v21
	s_delay_alu instid0(VALU_DEP_2) | instskip(NEXT) | instid1(TRANS32_DEP_2)
	v_exp_f32_e32 v40, v40
	v_ldexp_f32 v25, v25, v42
	s_delay_alu instid0(VALU_DEP_1) | instskip(SKIP_4) | instid1(VALU_DEP_3)
	v_cndmask_b32_e64 v25, 0, v25, s6
	s_waitcnt_depctr 0xfff
	v_ldexp_f32 v40, v40, v56
	v_cndmask_b32_e32 v5, 0x7f800000, v25, vcc_lo
	v_cmp_nlt_f32_e32 vcc_lo, 0x42b17218, v11
	v_cndmask_b32_e64 v40, 0, v40, s5
	s_delay_alu instid0(VALU_DEP_3) | instskip(SKIP_2) | instid1(VALU_DEP_3)
	v_dual_fmac_f32 v10, v5, v12 :: v_dual_cndmask_b32 v11, 0x7f800000, v34
	v_mul_f32_e32 v35, 0x3fb8aa3b, v13
	v_cmp_nlt_f32_e32 vcc_lo, 0x42b17218, v13
	v_fmac_f32_e32 v10, v11, v14
	s_delay_alu instid0(VALU_DEP_3) | instskip(SKIP_1) | instid1(VALU_DEP_2)
	v_fma_f32 v45, 0x3fb8aa3b, v13, -v35
	v_rndne_f32_e32 v46, v35
	v_fmac_f32_e32 v45, 0x32a5705f, v13
	s_delay_alu instid0(VALU_DEP_2) | instskip(SKIP_1) | instid1(VALU_DEP_2)
	v_sub_f32_e32 v35, v35, v46
	v_cvt_i32_f32_e32 v46, v46
	v_add_f32_e32 v35, v35, v45
	s_delay_alu instid0(VALU_DEP_1) | instskip(SKIP_2) | instid1(VALU_DEP_1)
	v_exp_f32_e32 v35, v35
	s_waitcnt_depctr 0xfff
	v_ldexp_f32 v35, v35, v46
	v_cndmask_b32_e64 v35, 0, v35, s0
	v_cmp_nlt_f32_e64 s0, 0x42b17218, v23
	s_waitcnt vmcnt(5)
	v_fmac_f32_e32 v9, v29, v5
	s_delay_alu instid0(VALU_DEP_3) | instskip(SKIP_2) | instid1(VALU_DEP_3)
	v_cndmask_b32_e32 v5, 0x7f800000, v35, vcc_lo
	v_mul_f32_e32 v37, 0x3fb8aa3b, v17
	v_cmp_nlt_f32_e32 vcc_lo, 0x42b17218, v15
	v_dual_fmac_f32 v9, v27, v11 :: v_dual_fmac_f32 v10, v5, v16
	s_delay_alu instid0(VALU_DEP_3)
	v_fma_f32 v49, 0x3fb8aa3b, v17, -v37
	v_rndne_f32_e32 v50, v37
	v_cndmask_b32_e32 v11, 0x7f800000, v36, vcc_lo
	v_mul_f32_e32 v39, 0x3fb8aa3b, v21
	v_fmac_f32_e32 v9, v28, v5
	v_fmac_f32_e32 v49, 0x32a5705f, v17
	v_sub_f32_e32 v37, v37, v50
	v_fmac_f32_e32 v10, v11, v18
	v_fma_f32 v53, 0x3fb8aa3b, v21, -v39
	v_rndne_f32_e32 v54, v39
	v_cvt_i32_f32_e32 v50, v50
	v_add_f32_e32 v37, v37, v49
	v_cmp_nlt_f32_e32 vcc_lo, 0x42b17218, v17
	v_fmac_f32_e32 v53, 0x32a5705f, v21
	v_sub_f32_e32 v39, v39, v54
	v_cvt_i32_f32_e32 v54, v54
	v_exp_f32_e32 v37, v37
	s_waitcnt vmcnt(3)
	v_fmac_f32_e32 v9, v30, v11
	v_add_f32_e32 v39, v39, v53
	s_delay_alu instid0(VALU_DEP_1) | instskip(SKIP_2) | instid1(VALU_DEP_1)
	v_exp_f32_e32 v39, v39
	s_waitcnt_depctr 0xfff
	v_ldexp_f32 v37, v37, v50
	v_cndmask_b32_e64 v37, 0, v37, s2
	v_ldexp_f32 v39, v39, v54
	s_delay_alu instid0(VALU_DEP_2) | instskip(SKIP_1) | instid1(VALU_DEP_3)
	v_cndmask_b32_e32 v5, 0x7f800000, v37, vcc_lo
	v_cmp_nlt_f32_e32 vcc_lo, 0x42b17218, v19
	v_cndmask_b32_e64 v39, 0, v39, s4
	s_delay_alu instid0(VALU_DEP_3) | instskip(SKIP_3) | instid1(VALU_DEP_2)
	v_dual_fmac_f32 v10, v5, v20 :: v_dual_cndmask_b32 v11, 0x7f800000, v38
	v_fmac_f32_e32 v9, v31, v5
	v_cmp_nlt_f32_e32 vcc_lo, 0x42b17218, v21
	s_waitcnt vmcnt(2)
	v_dual_fmac_f32 v10, v11, v22 :: v_dual_fmac_f32 v9, v32, v11
	v_cndmask_b32_e32 v5, 0x7f800000, v39, vcc_lo
	v_cndmask_b32_e64 v11, 0x7f800000, v40, s0
	v_add_co_u32 v1, vcc_lo, 0xe00, v1
	v_add_co_ci_u32_e32 v2, vcc_lo, 0, v2, vcc_lo
	s_delay_alu instid0(VALU_DEP_4) | instskip(SKIP_1) | instid1(VALU_DEP_1)
	v_fmac_f32_e32 v10, v5, v24
	s_waitcnt vmcnt(1)
	v_dual_fmac_f32 v9, v33, v5 :: v_dual_fmac_f32 v10, v11, v26
	s_waitcnt vmcnt(0)
	s_delay_alu instid0(VALU_DEP_1)
	v_fmac_f32_e32 v9, v4, v11
	s_cbranch_scc0 .LBB23_14
; %bb.15:
	s_and_b32 s1, s12, 7
	s_delay_alu instid0(SALU_CYCLE_1)
	s_cmp_eq_u32 s1, 0
	s_cbranch_scc0 .LBB23_18
	s_branch .LBB23_20
.LBB23_16:
	v_mov_b32_e32 v0, 0x7fc00000
	s_branch .LBB23_21
.LBB23_17:
	v_mov_b32_e32 v10, 0
	s_mov_b32 s13, 0
	s_and_b32 s1, s12, 7
	s_delay_alu instid0(SALU_CYCLE_1)
	s_cmp_eq_u32 s1, 0
	s_cbranch_scc1 .LBB23_20
.LBB23_18:
	v_mad_u64_u32 v[1:2], null, 0x70, s13, v[0:1]
	v_mov_b32_e32 v2, 0
	s_lshl_b64 s[2:3], s[10:11], 2
	s_delay_alu instid0(SALU_CYCLE_1) | instskip(SKIP_1) | instid1(VALU_DEP_1)
	s_add_u32 s0, s8, s2
	s_addc_u32 s2, s9, s3
	v_lshlrev_b64 v[0:1], 2, v[1:2]
	s_delay_alu instid0(VALU_DEP_1) | instskip(NEXT) | instid1(VALU_DEP_2)
	v_add_co_u32 v0, vcc_lo, s0, v0
	v_add_co_ci_u32_e32 v1, vcc_lo, s2, v1, vcc_lo
	s_lshl_b32 s0, s13, 3
	s_delay_alu instid0(SALU_CYCLE_1)
	s_add_i32 s2, s0, 0
	s_set_inst_prefetch_distance 0x1
	.p2align	6
.LBB23_19:                              ; =>This Inner Loop Header: Depth=1
	global_load_b32 v4, v[0:1], off
	v_mov_b32_e32 v2, s2
	s_add_i32 s1, s1, -1
	s_add_i32 s2, s2, 8
	s_cmp_lg_u32 s1, 0
	ds_load_b64 v[2:3], v2
	s_waitcnt lgkmcnt(0)
	v_sub_f32_e32 v2, v2, v8
	s_delay_alu instid0(VALU_DEP_1) | instskip(NEXT) | instid1(VALU_DEP_1)
	v_mul_f32_e32 v5, 0x3fb8aa3b, v2
	v_fma_f32 v6, 0x3fb8aa3b, v2, -v5
	v_rndne_f32_e32 v11, v5
	s_delay_alu instid0(VALU_DEP_1) | instskip(NEXT) | instid1(VALU_DEP_1)
	v_dual_fmac_f32 v6, 0x32a5705f, v2 :: v_dual_sub_f32 v5, v5, v11
	v_add_f32_e32 v5, v5, v6
	v_cvt_i32_f32_e32 v6, v11
	v_cmp_ngt_f32_e32 vcc_lo, 0xc2ce8ed0, v2
	v_cmp_nlt_f32_e64 s0, 0x42b17218, v2
	s_delay_alu instid0(VALU_DEP_4) | instskip(SKIP_2) | instid1(VALU_DEP_1)
	v_exp_f32_e32 v5, v5
	s_waitcnt_depctr 0xfff
	v_ldexp_f32 v5, v5, v6
	v_cndmask_b32_e32 v5, 0, v5, vcc_lo
	v_add_co_u32 v0, vcc_lo, 0x1c0, v0
	v_add_co_ci_u32_e32 v1, vcc_lo, 0, v1, vcc_lo
	s_delay_alu instid0(VALU_DEP_3) | instskip(SKIP_1) | instid1(VALU_DEP_1)
	v_cndmask_b32_e64 v2, 0x7f800000, v5, s0
	s_waitcnt vmcnt(0)
	v_dual_fmac_f32 v10, v2, v3 :: v_dual_fmac_f32 v9, v4, v2
	s_cbranch_scc1 .LBB23_19
.LBB23_20:
	s_set_inst_prefetch_distance 0x2
	s_delay_alu instid0(VALU_DEP_1) | instskip(NEXT) | instid1(VALU_DEP_1)
	v_div_scale_f32 v0, null, v10, v10, v9
	v_rcp_f32_e32 v1, v0
	s_waitcnt_depctr 0xfff
	v_fma_f32 v2, -v0, v1, 1.0
	s_delay_alu instid0(VALU_DEP_1) | instskip(SKIP_1) | instid1(VALU_DEP_1)
	v_fmac_f32_e32 v1, v2, v1
	v_div_scale_f32 v2, vcc_lo, v9, v10, v9
	v_mul_f32_e32 v3, v2, v1
	s_delay_alu instid0(VALU_DEP_1) | instskip(NEXT) | instid1(VALU_DEP_1)
	v_fma_f32 v4, -v0, v3, v2
	v_fmac_f32_e32 v3, v4, v1
	s_delay_alu instid0(VALU_DEP_1) | instskip(NEXT) | instid1(VALU_DEP_1)
	v_fma_f32 v0, -v0, v3, v2
	v_div_fmas_f32 v0, v0, v1, v3
	s_delay_alu instid0(VALU_DEP_1)
	v_div_fixup_f32 v0, v0, v10, v9
.LBB23_21:
	s_mul_i32 s0, s7, 0x70
	s_delay_alu instid0(SALU_CYCLE_1) | instskip(NEXT) | instid1(SALU_CYCLE_1)
	s_ashr_i32 s1, s0, 31
	s_lshl_b64 s[0:1], s[0:1], 2
	s_delay_alu instid0(SALU_CYCLE_1)
	s_add_u32 s0, s16, s0
	s_addc_u32 s1, s17, s1
	global_store_b32 v7, v0, s[0:1]
	s_nop 0
	s_sendmsg sendmsg(MSG_DEALLOC_VGPRS)
	s_endpgm
	.section	.rodata,"a",@progbits
	.p2align	6, 0x0
	.amdhsa_kernel _ZL26flash_attn_combine_resultsILi112EEvPKfPK15HIP_vector_typeIfLj2EEPfi
		.amdhsa_group_segment_fixed_size 0
		.amdhsa_private_segment_fixed_size 0
		.amdhsa_kernarg_size 288
		.amdhsa_user_sgpr_count 13
		.amdhsa_user_sgpr_dispatch_ptr 0
		.amdhsa_user_sgpr_queue_ptr 0
		.amdhsa_user_sgpr_kernarg_segment_ptr 1
		.amdhsa_user_sgpr_dispatch_id 0
		.amdhsa_user_sgpr_private_segment_size 0
		.amdhsa_wavefront_size32 1
		.amdhsa_uses_dynamic_stack 0
		.amdhsa_enable_private_segment 0
		.amdhsa_system_sgpr_workgroup_id_x 1
		.amdhsa_system_sgpr_workgroup_id_y 1
		.amdhsa_system_sgpr_workgroup_id_z 1
		.amdhsa_system_sgpr_workgroup_info 0
		.amdhsa_system_vgpr_workitem_id 0
		.amdhsa_next_free_vgpr 57
		.amdhsa_next_free_sgpr 20
		.amdhsa_reserve_vcc 1
		.amdhsa_float_round_mode_32 0
		.amdhsa_float_round_mode_16_64 0
		.amdhsa_float_denorm_mode_32 3
		.amdhsa_float_denorm_mode_16_64 3
		.amdhsa_dx10_clamp 1
		.amdhsa_ieee_mode 1
		.amdhsa_fp16_overflow 0
		.amdhsa_workgroup_processor_mode 1
		.amdhsa_memory_ordered 1
		.amdhsa_forward_progress 0
		.amdhsa_shared_vgpr_count 0
		.amdhsa_exception_fp_ieee_invalid_op 0
		.amdhsa_exception_fp_denorm_src 0
		.amdhsa_exception_fp_ieee_div_zero 0
		.amdhsa_exception_fp_ieee_overflow 0
		.amdhsa_exception_fp_ieee_underflow 0
		.amdhsa_exception_fp_ieee_inexact 0
		.amdhsa_exception_int_div_zero 0
	.end_amdhsa_kernel
	.section	.text._ZL26flash_attn_combine_resultsILi112EEvPKfPK15HIP_vector_typeIfLj2EEPfi,"axG",@progbits,_ZL26flash_attn_combine_resultsILi112EEvPKfPK15HIP_vector_typeIfLj2EEPfi,comdat
.Lfunc_end23:
	.size	_ZL26flash_attn_combine_resultsILi112EEvPKfPK15HIP_vector_typeIfLj2EEPfi, .Lfunc_end23-_ZL26flash_attn_combine_resultsILi112EEvPKfPK15HIP_vector_typeIfLj2EEPfi
                                        ; -- End function
	.section	.AMDGPU.csdata,"",@progbits
; Kernel info:
; codeLenInByte = 2380
; NumSgprs: 22
; NumVgprs: 57
; ScratchSize: 0
; MemoryBound: 0
; FloatMode: 240
; IeeeMode: 1
; LDSByteSize: 0 bytes/workgroup (compile time only)
; SGPRBlocks: 2
; VGPRBlocks: 7
; NumSGPRsForWavesPerEU: 22
; NumVGPRsForWavesPerEU: 57
; Occupancy: 16
; WaveLimiterHint : 1
; COMPUTE_PGM_RSRC2:SCRATCH_EN: 0
; COMPUTE_PGM_RSRC2:USER_SGPR: 13
; COMPUTE_PGM_RSRC2:TRAP_HANDLER: 0
; COMPUTE_PGM_RSRC2:TGID_X_EN: 1
; COMPUTE_PGM_RSRC2:TGID_Y_EN: 1
; COMPUTE_PGM_RSRC2:TGID_Z_EN: 1
; COMPUTE_PGM_RSRC2:TIDIG_COMP_CNT: 0
	.section	.text._ZL18flash_attn_ext_f16ILi128ELi128ELi16ELi4ELb0ELb0EEvPKcS1_S1_S1_S1_PKiPfP15HIP_vector_typeIfLj2EEffffjfiS5_IjLj3EEiiiiiiiiiiiliiliiiiil,"axG",@progbits,_ZL18flash_attn_ext_f16ILi128ELi128ELi16ELi4ELb0ELb0EEvPKcS1_S1_S1_S1_PKiPfP15HIP_vector_typeIfLj2EEffffjfiS5_IjLj3EEiiiiiiiiiiiliiliiiiil,comdat
	.globl	_ZL18flash_attn_ext_f16ILi128ELi128ELi16ELi4ELb0ELb0EEvPKcS1_S1_S1_S1_PKiPfP15HIP_vector_typeIfLj2EEffffjfiS5_IjLj3EEiiiiiiiiiiiliiliiiiil ; -- Begin function _ZL18flash_attn_ext_f16ILi128ELi128ELi16ELi4ELb0ELb0EEvPKcS1_S1_S1_S1_PKiPfP15HIP_vector_typeIfLj2EEffffjfiS5_IjLj3EEiiiiiiiiiiiliiliiiiil
	.p2align	8
	.type	_ZL18flash_attn_ext_f16ILi128ELi128ELi16ELi4ELb0ELb0EEvPKcS1_S1_S1_S1_PKiPfP15HIP_vector_typeIfLj2EEffffjfiS5_IjLj3EEiiiiiiiiiiiliiliiiiil,@function
_ZL18flash_attn_ext_f16ILi128ELi128ELi16ELi4ELb0ELb0EEvPKcS1_S1_S1_S1_PKiPfP15HIP_vector_typeIfLj2EEffffjfiS5_IjLj3EEiiiiiiiiiiiliiliiiiil: ; @_ZL18flash_attn_ext_f16ILi128ELi128ELi16ELi4ELb0ELb0EEvPKcS1_S1_S1_S1_PKiPfP15HIP_vector_typeIfLj2EEffffjfiS5_IjLj3EEiiiiiiiiiiiliiliiiiil
; %bb.0:
	s_clause 0x2
	s_load_b64 s[2:3], s[0:1], 0x80
	s_load_b128 s[8:11], s[0:1], 0x64
	; meta instruction
	s_load_b32 s23, s[0:1], 0xd0
	s_mov_b32 s22, s15
	s_waitcnt lgkmcnt(0)
	s_abs_i32 s4, s3
	s_abs_i32 s7, s9
	v_cvt_f32_u32_e32 v1, s4
	s_sub_i32 s6, 0, s4
	v_cvt_f32_u32_e32 v2, s23
	s_delay_alu instid0(VALU_DEP_2) | instskip(SKIP_2) | instid1(VALU_DEP_1)
	v_rcp_iflag_f32_e32 v1, v1
	s_waitcnt_depctr 0xfff
	v_mul_f32_e32 v1, 0x4f7ffffe, v1
	v_cvt_u32_f32_e32 v1, v1
	s_delay_alu instid0(VALU_DEP_1) | instskip(SKIP_1) | instid1(VALU_DEP_2)
	v_readfirstlane_b32 s5, v1
	v_cvt_f32_ubyte0_e32 v1, 0
	s_mul_i32 s6, s6, s5
	s_delay_alu instid0(SALU_CYCLE_1) | instskip(NEXT) | instid1(SALU_CYCLE_1)
	s_mul_hi_u32 s6, s5, s6
	s_add_i32 s5, s5, s6
	s_xor_b32 s6, s9, s3
	s_mul_hi_u32 s5, s7, s5
	s_ashr_i32 s6, s6, 31
	s_mul_i32 s12, s5, s4
	s_delay_alu instid0(SALU_CYCLE_1)
	s_sub_i32 s7, s7, s12
	s_add_i32 s12, s5, 1
	s_sub_i32 s13, s7, s4
	s_cmp_ge_u32 s7, s4
	s_cselect_b32 s5, s12, s5
	s_cselect_b32 s7, s13, s7
	s_add_i32 s12, s5, 1
	s_cmp_ge_u32 s7, s4
	s_cselect_b32 s4, s12, s5
	s_add_i32 s2, s2, 63
	s_xor_b32 s4, s4, s6
	s_add_i32 s5, s8, 15
	s_ashr_i32 s7, s2, 31
	s_sub_i32 s76, s4, s6
	s_lshr_b32 s12, s5, 4
	s_add_i32 s4, s76, 3
	s_lshr_b32 s5, s7, 26
	s_ashr_i32 s6, s4, 31
	s_add_i32 s2, s2, s5
	v_writelane_b32 v255, s12, 0
	s_lshr_b32 s5, s6, 30
	s_ashr_i32 s81, s2, 6
	s_add_i32 s4, s4, s5
	s_mul_i32 s5, s12, s81
	s_ashr_i32 s2, s4, 2
	v_writelane_b32 v255, s5, 1
	s_mul_i32 s2, s5, s2
	s_delay_alu instid0(SALU_CYCLE_1) | instskip(SKIP_1) | instid1(SALU_CYCLE_1)
	v_writelane_b32 v255, s2, 2
	s_mul_i32 s2, s2, s3
	s_mul_i32 s4, s2, s10
	s_delay_alu instid0(SALU_CYCLE_1)
	s_ashr_i32 s5, s4, 31
	v_writelane_b32 v255, s2, 3
	s_mul_hi_u32 s3, s4, s15
	s_mul_i32 s6, s5, s15
	s_mov_b32 s2, 0
	s_add_i32 s3, s3, s6
	s_add_u32 s6, s0, 0xd0
	s_addc_u32 s7, s1, 0
	v_writelane_b32 v255, s6, 4
	s_cmp_lg_u64 s[2:3], 0
	v_writelane_b32 v255, s7, 5
	s_mul_i32 s6, s4, s15
	s_cbranch_scc0 .LBB24_5
; %bb.1:
	v_fmamk_f32 v3, v1, 0x4f800000, v2
	s_sub_u32 s12, 0, s23
	s_subb_u32 s13, 0, 0
	s_delay_alu instid0(VALU_DEP_1) | instskip(SKIP_2) | instid1(VALU_DEP_1)
	v_rcp_f32_e32 v3, v3
	s_waitcnt_depctr 0xfff
	v_mul_f32_e32 v3, 0x5f7ffffc, v3
	v_mul_f32_e32 v4, 0x2f800000, v3
	s_delay_alu instid0(VALU_DEP_1) | instskip(NEXT) | instid1(VALU_DEP_1)
	v_trunc_f32_e32 v4, v4
	v_fmamk_f32 v3, v4, 0xcf800000, v3
	v_cvt_u32_f32_e32 v4, v4
	s_delay_alu instid0(VALU_DEP_2) | instskip(NEXT) | instid1(VALU_DEP_2)
	v_cvt_u32_f32_e32 v3, v3
	v_readfirstlane_b32 s7, v4
	s_delay_alu instid0(VALU_DEP_2) | instskip(NEXT) | instid1(VALU_DEP_2)
	v_readfirstlane_b32 s10, v3
	s_mul_i32 s14, s12, s7
	s_delay_alu instid0(VALU_DEP_1)
	s_mul_hi_u32 s16, s12, s10
	s_mul_i32 s15, s13, s10
	s_add_i32 s14, s16, s14
	s_mul_i32 s17, s12, s10
	s_add_i32 s14, s14, s15
	s_mul_hi_u32 s16, s10, s17
	s_mul_hi_u32 s18, s7, s17
	s_mul_i32 s15, s7, s17
	s_mul_hi_u32 s17, s10, s14
	s_mul_i32 s10, s10, s14
	s_mul_hi_u32 s19, s7, s14
	s_add_u32 s10, s16, s10
	s_addc_u32 s16, 0, s17
	s_add_u32 s10, s10, s15
	s_mul_i32 s14, s7, s14
	s_addc_u32 s10, s16, s18
	s_addc_u32 s15, s19, 0
	s_add_u32 s10, s10, s14
	s_addc_u32 s14, 0, s15
	v_add_co_u32 v3, s10, v3, s10
	s_delay_alu instid0(VALU_DEP_1) | instskip(SKIP_1) | instid1(VALU_DEP_1)
	s_cmp_lg_u32 s10, 0
	s_addc_u32 s7, s7, s14
	v_readfirstlane_b32 s10, v3
	s_mul_i32 s14, s12, s7
	s_delay_alu instid0(VALU_DEP_1)
	s_mul_hi_u32 s15, s12, s10
	s_mul_i32 s13, s13, s10
	s_add_i32 s14, s15, s14
	s_mul_i32 s12, s12, s10
	s_add_i32 s14, s14, s13
	s_mul_hi_u32 s15, s7, s12
	s_mul_i32 s16, s7, s12
	s_mul_hi_u32 s12, s10, s12
	s_mul_hi_u32 s17, s10, s14
	s_mul_i32 s10, s10, s14
	s_mul_hi_u32 s13, s7, s14
	s_add_u32 s10, s12, s10
	s_addc_u32 s12, 0, s17
	s_add_u32 s10, s10, s16
	s_mul_i32 s14, s7, s14
	s_addc_u32 s10, s12, s15
	s_addc_u32 s12, s13, 0
	s_add_u32 s10, s10, s14
	s_addc_u32 s12, 0, s12
	v_add_co_u32 v3, s10, v3, s10
	s_delay_alu instid0(VALU_DEP_1) | instskip(SKIP_2) | instid1(SALU_CYCLE_1)
	s_cmp_lg_u32 s10, 0
	s_addc_u32 s7, s7, s12
	s_ashr_i32 s12, s3, 31
	s_add_u32 s14, s6, s12
	s_addc_u32 s15, s3, s12
	v_readfirstlane_b32 s3, v3
	s_mov_b32 s13, s12
	s_delay_alu instid0(SALU_CYCLE_1) | instskip(NEXT) | instid1(SALU_CYCLE_1)
	s_xor_b64 s[14:15], s[14:15], s[12:13]
	s_mul_i32 s16, s14, s7
	s_delay_alu instid0(VALU_DEP_1)
	s_mul_hi_u32 s17, s14, s3
	s_mul_hi_u32 s10, s14, s7
	;; [unrolled: 1-line block ×3, first 2 shown]
	s_mul_i32 s3, s15, s3
	s_add_u32 s16, s17, s16
	s_addc_u32 s10, 0, s10
	s_mul_hi_u32 s18, s15, s7
	s_add_u32 s3, s16, s3
	s_mul_i32 s7, s15, s7
	s_addc_u32 s3, s10, s19
	s_addc_u32 s10, s18, 0
	s_add_u32 s3, s3, s7
	s_addc_u32 s7, 0, s10
	s_mul_i32 s16, s23, s3
	s_add_u32 s10, s3, 1
	v_sub_co_u32 v3, s14, s14, s16
	s_mul_hi_u32 s16, s23, s3
	s_addc_u32 s17, s7, 0
	s_mul_i32 s18, s23, s7
	s_delay_alu instid0(VALU_DEP_1)
	v_sub_co_u32 v4, s19, v3, s23
	s_add_u32 s20, s3, 2
	s_addc_u32 s21, s7, 0
	s_add_i32 s16, s16, s18
	s_cmp_lg_u32 s14, 0
	v_readfirstlane_b32 s14, v4
	s_subb_u32 s15, s15, s16
	s_cmp_lg_u32 s19, 0
	s_subb_u32 s16, s15, 0
	s_delay_alu instid0(VALU_DEP_1) | instskip(SKIP_4) | instid1(SALU_CYCLE_1)
	s_cmp_ge_u32 s14, s23
	s_cselect_b32 s14, -1, 0
	s_cmp_eq_u32 s16, 0
	v_readfirstlane_b32 s16, v3
	s_cselect_b32 s14, s14, -1
	s_cmp_lg_u32 s14, 0
	s_cselect_b32 s10, s20, s10
	s_cselect_b32 s14, s21, s17
	s_cmp_ge_u32 s16, s23
	s_cselect_b32 s16, -1, 0
	s_cmp_eq_u32 s15, 0
	s_cselect_b32 s15, s16, -1
	s_delay_alu instid0(SALU_CYCLE_1) | instskip(SKIP_2) | instid1(SALU_CYCLE_1)
	s_cmp_lg_u32 s15, 0
	s_cselect_b32 s15, s14, s7
	s_cselect_b32 s14, s10, s3
	s_xor_b64 s[14:15], s[14:15], s[12:13]
	s_delay_alu instid0(SALU_CYCLE_1)
	s_sub_u32 s58, s14, s12
	s_load_b64 s[56:57], s[0:1], 0x74
	v_cvt_f32_u32_e32 v3, s23
	s_and_not1_b32 vcc_lo, exec_lo, s2
	s_cbranch_vccnz .LBB24_3
.LBB24_2:
	s_delay_alu instid0(VALU_DEP_1) | instskip(SKIP_3) | instid1(VALU_DEP_1)
	v_rcp_iflag_f32_e32 v4, v3
	s_sub_i32 s3, 0, s23
	s_waitcnt_depctr 0xfff
	v_mul_f32_e32 v4, 0x4f7ffffe, v4
	v_cvt_u32_f32_e32 v4, v4
	s_delay_alu instid0(VALU_DEP_1) | instskip(NEXT) | instid1(VALU_DEP_1)
	v_readfirstlane_b32 s2, v4
	s_mul_i32 s3, s3, s2
	s_delay_alu instid0(SALU_CYCLE_1) | instskip(NEXT) | instid1(SALU_CYCLE_1)
	s_mul_hi_u32 s3, s2, s3
	s_add_i32 s2, s2, s3
	s_delay_alu instid0(SALU_CYCLE_1) | instskip(NEXT) | instid1(SALU_CYCLE_1)
	s_mul_hi_u32 s2, s6, s2
	s_mul_i32 s3, s2, s23
	s_delay_alu instid0(SALU_CYCLE_1)
	s_sub_i32 s3, s6, s3
	s_add_i32 s6, s2, 1
	s_sub_i32 s7, s3, s23
	s_cmp_ge_u32 s3, s23
	s_cselect_b32 s2, s6, s2
	s_cselect_b32 s3, s7, s3
	s_add_i32 s6, s2, 1
	s_cmp_ge_u32 s3, s23
	s_cselect_b32 s58, s6, s2
.LBB24_3:
	s_add_i32 s6, s22, 1
	s_delay_alu instid0(SALU_CYCLE_1) | instskip(SKIP_4) | instid1(SALU_CYCLE_1)
	s_mul_i32 s2, s5, s6
	s_mul_hi_u32 s3, s4, s6
	s_mul_i32 s4, s4, s6
	s_add_i32 s3, s3, s2
	s_mov_b32 s2, 0
	s_cmp_lg_u64 s[2:3], 0
	s_cbranch_scc0 .LBB24_6
; %bb.4:
	v_fmamk_f32 v1, v1, 0x4f800000, v2
	s_sub_u32 s7, 0, s23
	s_subb_u32 s10, 0, 0
	s_delay_alu instid0(VALU_DEP_1) | instskip(SKIP_2) | instid1(VALU_DEP_1)
	v_rcp_f32_e32 v1, v1
	s_waitcnt_depctr 0xfff
	v_mul_f32_e32 v1, 0x5f7ffffc, v1
	v_mul_f32_e32 v2, 0x2f800000, v1
	s_delay_alu instid0(VALU_DEP_1) | instskip(NEXT) | instid1(VALU_DEP_1)
	v_trunc_f32_e32 v2, v2
	v_fmamk_f32 v1, v2, 0xcf800000, v1
	v_cvt_u32_f32_e32 v2, v2
	s_delay_alu instid0(VALU_DEP_2) | instskip(NEXT) | instid1(VALU_DEP_2)
	v_cvt_u32_f32_e32 v1, v1
	v_readfirstlane_b32 s5, v2
	s_delay_alu instid0(VALU_DEP_2) | instskip(NEXT) | instid1(VALU_DEP_2)
	v_readfirstlane_b32 s6, v1
	s_mul_i32 s12, s7, s5
	s_delay_alu instid0(VALU_DEP_1)
	s_mul_hi_u32 s14, s7, s6
	s_mul_i32 s13, s10, s6
	s_add_i32 s12, s14, s12
	s_mul_i32 s15, s7, s6
	s_add_i32 s12, s12, s13
	s_mul_hi_u32 s14, s6, s15
	s_mul_hi_u32 s16, s5, s15
	s_mul_i32 s13, s5, s15
	s_mul_hi_u32 s15, s6, s12
	s_mul_i32 s6, s6, s12
	s_mul_hi_u32 s17, s5, s12
	s_add_u32 s6, s14, s6
	s_addc_u32 s14, 0, s15
	s_add_u32 s6, s6, s13
	s_mul_i32 s12, s5, s12
	s_addc_u32 s6, s14, s16
	s_addc_u32 s13, s17, 0
	s_add_u32 s6, s6, s12
	s_addc_u32 s12, 0, s13
	v_add_co_u32 v1, s6, v1, s6
	s_delay_alu instid0(VALU_DEP_1) | instskip(SKIP_1) | instid1(VALU_DEP_1)
	s_cmp_lg_u32 s6, 0
	s_addc_u32 s5, s5, s12
	v_readfirstlane_b32 s6, v1
	s_mul_i32 s12, s7, s5
	s_delay_alu instid0(VALU_DEP_1)
	s_mul_hi_u32 s13, s7, s6
	s_mul_i32 s10, s10, s6
	s_add_i32 s12, s13, s12
	s_mul_i32 s7, s7, s6
	s_add_i32 s12, s12, s10
	s_mul_hi_u32 s13, s5, s7
	s_mul_i32 s14, s5, s7
	s_mul_hi_u32 s7, s6, s7
	s_mul_hi_u32 s15, s6, s12
	s_mul_i32 s6, s6, s12
	s_mul_hi_u32 s10, s5, s12
	s_add_u32 s6, s7, s6
	s_addc_u32 s7, 0, s15
	s_add_u32 s6, s6, s14
	s_mul_i32 s12, s5, s12
	s_addc_u32 s6, s7, s13
	s_addc_u32 s7, s10, 0
	s_add_u32 s6, s6, s12
	s_addc_u32 s7, 0, s7
	v_add_co_u32 v1, s6, v1, s6
	s_delay_alu instid0(VALU_DEP_1) | instskip(SKIP_2) | instid1(SALU_CYCLE_1)
	s_cmp_lg_u32 s6, 0
	s_addc_u32 s5, s5, s7
	s_ashr_i32 s6, s3, 31
	s_add_u32 s12, s4, s6
	s_addc_u32 s13, s3, s6
	v_readfirstlane_b32 s3, v1
	s_mov_b32 s7, s6
	s_delay_alu instid0(SALU_CYCLE_1) | instskip(NEXT) | instid1(SALU_CYCLE_1)
	s_xor_b64 s[12:13], s[12:13], s[6:7]
	s_mul_i32 s14, s12, s5
	s_delay_alu instid0(VALU_DEP_1)
	s_mul_hi_u32 s15, s12, s3
	s_mul_hi_u32 s10, s12, s5
	;; [unrolled: 1-line block ×3, first 2 shown]
	s_mul_i32 s3, s13, s3
	s_add_u32 s14, s15, s14
	s_addc_u32 s10, 0, s10
	s_mul_hi_u32 s16, s13, s5
	s_add_u32 s3, s14, s3
	s_mul_i32 s5, s13, s5
	s_addc_u32 s3, s10, s17
	s_addc_u32 s10, s16, 0
	s_add_u32 s3, s3, s5
	s_addc_u32 s5, 0, s10
	s_mul_i32 s14, s23, s3
	s_add_u32 s10, s3, 1
	v_sub_co_u32 v1, s12, s12, s14
	s_mul_hi_u32 s14, s23, s3
	s_addc_u32 s15, s5, 0
	s_mul_i32 s16, s23, s5
	s_delay_alu instid0(VALU_DEP_1)
	v_sub_co_u32 v2, s17, v1, s23
	s_add_u32 s18, s3, 2
	s_addc_u32 s19, s5, 0
	s_add_i32 s14, s14, s16
	s_cmp_lg_u32 s12, 0
	v_readfirstlane_b32 s12, v2
	s_subb_u32 s13, s13, s14
	s_cmp_lg_u32 s17, 0
	s_subb_u32 s14, s13, 0
	s_delay_alu instid0(VALU_DEP_1) | instskip(SKIP_4) | instid1(SALU_CYCLE_1)
	s_cmp_ge_u32 s12, s23
	s_cselect_b32 s12, -1, 0
	s_cmp_eq_u32 s14, 0
	v_readfirstlane_b32 s14, v1
	s_cselect_b32 s12, s12, -1
	s_cmp_lg_u32 s12, 0
	s_cselect_b32 s10, s18, s10
	s_cselect_b32 s12, s19, s15
	s_cmp_ge_u32 s14, s23
	s_cselect_b32 s14, -1, 0
	s_cmp_eq_u32 s13, 0
	s_cselect_b32 s13, s14, -1
	s_delay_alu instid0(SALU_CYCLE_1) | instskip(SKIP_2) | instid1(SALU_CYCLE_1)
	s_cmp_lg_u32 s13, 0
	s_cselect_b32 s13, s12, s5
	s_cselect_b32 s12, s10, s3
	s_xor_b64 s[12:13], s[12:13], s[6:7]
	s_delay_alu instid0(SALU_CYCLE_1)
	s_sub_u32 s62, s12, s6
	s_branch .LBB24_7
.LBB24_5:
                                        ; implicit-def: $sgpr58_sgpr59
	s_load_b64 s[56:57], s[0:1], 0x74
	v_cvt_f32_u32_e32 v3, s23
	s_branch .LBB24_2
.LBB24_6:
	s_mov_b32 s2, -1
                                        ; implicit-def: $sgpr62_sgpr63
.LBB24_7:
	s_load_b64 s[34:35], s[0:1], 0x5c
	v_writelane_b32 v255, s22, 6
	s_and_not1_b32 vcc_lo, exec_lo, s2
	s_cbranch_vccnz .LBB24_9
; %bb.8:
	v_rcp_iflag_f32_e32 v1, v3
	s_sub_i32 s3, 0, s23
	s_waitcnt_depctr 0xfff
	v_mul_f32_e32 v1, 0x4f7ffffe, v1
	s_delay_alu instid0(VALU_DEP_1) | instskip(NEXT) | instid1(VALU_DEP_1)
	v_cvt_u32_f32_e32 v1, v1
	v_readfirstlane_b32 s2, v1
	s_delay_alu instid0(VALU_DEP_1) | instskip(NEXT) | instid1(SALU_CYCLE_1)
	s_mul_i32 s3, s3, s2
	s_mul_hi_u32 s3, s2, s3
	s_delay_alu instid0(SALU_CYCLE_1) | instskip(NEXT) | instid1(SALU_CYCLE_1)
	s_add_i32 s2, s2, s3
	s_mul_hi_u32 s2, s4, s2
	s_delay_alu instid0(SALU_CYCLE_1) | instskip(NEXT) | instid1(SALU_CYCLE_1)
	s_mul_i32 s3, s2, s23
	s_sub_i32 s3, s4, s3
	s_add_i32 s4, s2, 1
	s_sub_i32 s5, s3, s23
	s_cmp_ge_u32 s3, s23
	s_cselect_b32 s2, s4, s2
	s_cselect_b32 s3, s5, s3
	s_add_i32 s4, s2, 1
	s_cmp_ge_u32 s3, s23
	s_cselect_b32 s62, s4, s2
.LBB24_9:
	s_abs_i32 s63, s81
	v_writelane_b32 v255, s23, 7
	v_cvt_f32_u32_e32 v1, s63
	s_clause 0x6
	s_load_b512 s[16:31], s[0:1], 0x0
	s_load_b32 s2, s[0:1], 0x40
	s_load_b64 s[4:5], s[0:1], 0x8c
	s_load_b128 s[44:47], s[0:1], 0x98
	s_load_b64 s[50:51], s[0:1], 0xa8
	s_load_b64 s[54:55], s[0:1], 0xb8
	;; [unrolled: 1-line block ×3, first 2 shown]
	s_sub_i32 s3, 0, s63
	s_abs_i32 s1, s58
	s_ashr_i32 s33, s11, 3
	v_rcp_iflag_f32_e32 v1, v1
	s_waitcnt lgkmcnt(0)
	s_ashr_i32 s7, s56, 3
	s_ashr_i32 s0, s58, 31
	;; [unrolled: 1-line block ×3, first 2 shown]
	v_bfe_u32 v193, v0, 10, 10
	v_and_b32_e32 v169, 0x3ff, v0
	s_mov_b32 s65, 0
	s_delay_alu instid0(VALU_DEP_2)
	v_add_nc_u32_e32 v189, 4, v193
	s_waitcnt_depctr 0xfff
	v_mul_f32_e32 v1, 0x4f7ffffe, v1
	v_cvt_f16_f32_e32 v0, s2
	v_writelane_b32 v255, s4, 8
	s_ashr_i32 s12, s4, 2
	s_ashr_i32 s10, s46, 2
	v_cvt_u32_f32_e32 v1, v1
	s_ashr_i32 s48, s55, 1
	v_writelane_b32 v255, s5, 9
	v_add_nc_u32_e32 v187, 8, v193
	v_add_nc_u32_e32 v183, 12, v193
	v_readfirstlane_b32 s83, v1
	v_and_b32_e32 v162, 3, v193
	v_lshrrev_b32_e32 v164, 2, v193
	v_mul_u32_u24_e32 v195, 0x44, v193
	v_add_nc_u32_e32 v182, 16, v193
	s_mul_i32 s3, s3, s83
	v_add_nc_u32_e32 v181, 20, v193
	s_mul_hi_u32 s3, s83, s3
	v_add_nc_u32_e32 v180, 24, v193
	s_add_i32 s83, s83, s3
	v_add_nc_u32_e32 v179, 28, v193
	s_mul_hi_u32 s3, s1, s83
	v_add_nc_u32_e32 v178, 32, v193
	s_mul_i32 s3, s3, s63
	v_add_nc_u32_e32 v177, 36, v193
	s_sub_i32 s1, s1, s3
	v_add_nc_u32_e32 v176, 40, v193
	s_sub_i32 s3, s1, s63
	s_cmp_ge_u32 s1, s63
	v_add_nc_u32_e32 v174, 44, v193
	s_cselect_b32 s1, s3, s1
	v_add_nc_u32_e32 v173, 48, v193
	s_sub_i32 s3, s1, s63
	s_cmp_ge_u32 s1, s63
	v_add_nc_u32_e32 v172, 52, v193
	s_cselect_b32 s1, s3, s1
	s_sub_i32 s3, s62, s58
	s_xor_b32 s1, s1, s0
	v_add_nc_u32_e32 v171, 56, v193
	s_sub_i32 s14, s1, s0
	v_add_nc_u32_e32 v170, 60, v193
	s_add_i32 s3, s3, s14
	v_pack_b32_f16 v163, v0, v0
	s_min_i32 s101, s81, s3
	s_cmp_gt_i32 s62, s58
	v_and_b32_e32 v175, 15, v193
	s_cselect_b32 s1, -1, 0
	s_cmp_le_i32 s62, s58
	v_writelane_b32 v255, s7, 10
	s_cselect_b32 s0, -1, 0
	s_cmp_gt_i32 s81, s3
	s_clause 0x2
	scratch_store_b32 off, v169, off offset:660
	scratch_store_b32 off, v193, off offset:664
	;; [unrolled: 1-line block ×3, first 2 shown]
	s_cselect_b32 s2, -1, 0
	s_delay_alu instid0(SALU_CYCLE_1) | instskip(NEXT) | instid1(SALU_CYCLE_1)
	s_or_b32 s0, s2, s0
	s_and_b32 vcc_lo, exec_lo, s0
	s_cbranch_vccz .LBB24_12
; %bb.10:
	s_and_not1_b32 vcc_lo, exec_lo, s1
	s_cbranch_vccz .LBB24_357
.LBB24_11:
	s_endpgm
.LBB24_12:
	v_lshrrev_b32_e32 v202, 4, v169
	s_cmp_eq_u64 s[24:25], 0
	v_lshlrev_b32_e32 v168, 2, v169
	s_cselect_b32 s0, -1, 0
	s_cmp_lg_u64 s[26:27], 0
	v_lshl_add_u32 v1, v193, 1, v202
	v_writelane_b32 v255, s0, 11
	s_cselect_b32 s0, -1, 0
	s_lshl_b32 s1, s10, 3
	v_and_b32_e32 v34, 60, v168
	v_mul_lo_u32 v0, s12, v1
	v_writelane_b32 v255, s0, 12
	s_lshl_b32 s0, s12, 3
	v_mul_lo_u32 v2, s10, v1
	v_mul_u32_u24_e32 v35, 0x110, v1
	v_lshlrev_b32_e32 v36, 2, v34
	v_readlane_b32 s6, v255, 3
	v_readlane_b32 s15, v255, 1
	v_add_nc_u32_e32 v4, s0, v0
	s_ashr_i32 s49, s48, 31
	s_ashr_i32 s13, s12, 31
	v_add_nc_u32_e32 v6, s1, v2
	s_ashr_i32 s11, s10, 31
	v_add_nc_u32_e32 v8, s0, v4
	v_add3_u32 v208, 0, v35, v36
	v_readlane_b32 s36, v255, 2
	v_add_nc_u32_e32 v10, s1, v6
	v_lshlrev_b32_e32 v38, 1, v202
	v_add_nc_u32_e32 v12, s0, v8
	v_ashrrev_i32_e32 v1, 31, v0
	v_lshlrev_b32_e32 v36, 2, v195
	v_add_nc_u32_e32 v14, s1, v10
	v_ashrrev_i32_e32 v7, 31, v6
	v_add_nc_u32_e32 v16, s0, v12
	v_lshlrev_b64 v[228:229], 2, v[0:1]
	v_ashrrev_i32_e32 v11, 31, v10
	v_add_nc_u32_e32 v18, s1, v14
	v_lshlrev_b64 v[206:207], 2, v[6:7]
	v_add_nc_u32_e32 v20, s0, v16
	v_ashrrev_i32_e32 v15, 31, v14
	v_lshlrev_b64 v[210:211], 2, v[10:11]
	v_add_nc_u32_e32 v22, s1, v18
	v_ashrrev_i32_e32 v19, 31, v18
	v_add_nc_u32_e32 v24, s0, v20
	v_lshlrev_b64 v[217:218], 2, v[14:15]
	v_ashrrev_i32_e32 v9, 31, v8
	v_add_nc_u32_e32 v26, s1, v22
	v_lshlrev_b64 v[219:220], 2, v[18:19]
	v_add_nc_u32_e32 v28, s0, v24
	v_readlane_b32 s0, v255, 6
	v_ashrrev_i32_e32 v23, 31, v22
	v_add_nc_u32_e32 v30, s1, v26
	v_ashrrev_i32_e32 v27, 31, v26
	v_lshlrev_b64 v[236:237], 2, v[8:9]
	s_lshl_b32 s64, s0, 6
	v_lshlrev_b64 v[221:222], 2, v[22:23]
	s_lshl_b64 s[0:1], s[64:65], 3
	v_lshlrev_b64 v[223:224], 2, v[26:27]
	s_add_u32 s2, s30, s0
	s_addc_u32 s1, s31, s1
	s_abs_i32 s84, s6
	s_abs_i32 s86, s15
	v_cvt_f32_u32_e32 v35, s84
	v_cvt_f32_u32_e32 v40, s86
	s_abs_i32 s85, s36
	s_abs_i32 s87, s54
	v_ashrrev_i32_e32 v13, 31, v12
	v_rcp_iflag_f32_e32 v35, v35
	v_rcp_iflag_f32_e32 v40, v40
	v_and_b32_e32 v32, 15, v169
	v_lshlrev_b32_e32 v33, 4, v193
	v_cvt_f32_u32_e32 v41, s87
	v_lshlrev_b64 v[238:239], 2, v[12:13]
	v_ashrrev_i32_e32 v17, 31, v16
	s_sub_i32 s5, 0, s84
	s_ashr_i32 s6, s6, 31
	v_rcp_iflag_f32_e32 v41, v41
	s_delay_alu instid0(TRANS32_DEP_2) | instskip(SKIP_3) | instid1(VALU_DEP_4)
	v_dual_mul_f32 v35, 0x4f7ffffe, v35 :: v_dual_mul_f32 v40, 0x4f7ffffe, v40
	v_and_or_b32 v3, v169, 12, v33
	v_lshlrev_b32_e32 v39, 2, v32
	v_or_b32_e32 v33, v33, v169
	v_cvt_u32_f32_e32 v35, v35
	v_mad_u32_u24 v209, 0x110, v32, 0
	v_lshrrev_b32_e32 v31, 2, v3
	v_add_nc_u32_e32 v214, 0, v39
	v_add3_u32 v248, 0, 0x1100, v39
	v_add3_u32 v252, 0, 0x2200, v39
	;; [unrolled: 1-line block ×15, first 2 shown]
	v_cvt_f32_u32_e32 v39, s85
	v_mad_u32_u24 v37, 0x90, v31, 0
	v_ashrrev_i32_e32 v3, 31, v2
	v_mad_u32_u24 v192, 0x1100, v193, v209
	v_ashrrev_i32_e32 v31, 31, v30
	v_rcp_iflag_f32_e32 v39, v39
	v_add3_u32 v213, v37, v38, 0x4400
	v_lshlrev_b32_e32 v37, 3, v33
	v_mul_u32_u24_e32 v33, 0x110, v33
	v_and_or_b32 v38, 0xf0, v182, v175
	v_lshlrev_b64 v[197:198], 2, v[2:3]
	v_lshlrev_b64 v[225:226], 2, v[30:31]
	v_add_co_u32 v42, s2, s2, v37
	s_delay_alu instid0(TRANS32_DEP_1)
	v_dual_mul_f32 v39, 0x4f7ffffe, v39 :: v_dual_add_nc_u32 v0, 0, v33
	v_add_nc_u32_e32 v204, 0, v168
	v_mul_u32_u24_e32 v38, 0x44, v38
	v_and_or_b32 v37, 0xf0, v178, v175
	scratch_store_b32 off, v0, off offset:760 ; 4-byte Folded Spill
	v_add_nc_u32_e32 v0, 0x3b80, v208
	v_add_nc_u32_e32 v196, v204, v36
	v_add_nc_u32_e32 v36, 0, v36
	v_lshlrev_b32_e32 v38, 2, v38
	v_mul_u32_u24_e32 v37, 0x44, v37
	scratch_store_b32 off, v0, off offset:8 ; 4-byte Folded Spill
	v_and_b32_e32 v0, 3, v169
	scratch_store_b32 off, v36, off offset:716 ; 4-byte Folded Spill
	v_cvt_u32_f32_e32 v39, v39
	v_add_co_ci_u32_e64 v43, null, s1, 0, s2
	scratch_store_b32 off, v0, off offset:656 ; 4-byte Folded Spill
	v_lshrrev_b32_e32 v0, 2, v187
	v_lshlrev_b32_e32 v37, 2, v37
	v_readfirstlane_b32 s2, v39
	v_add_nc_u32_e32 v39, v204, v38
	v_readfirstlane_b32 s1, v35
	scratch_store_b32 off, v0, off offset:572 ; 4-byte Folded Spill
	v_add_nc_u32_e32 v0, 0x880, v196
	v_and_or_b32 v35, 0xf0, v173, v175
	scratch_store_b32 off, v39, off offset:892 ; 4-byte Folded Spill
	v_add_nc_u32_e32 v39, v204, v37
	v_add_nc_u32_e32 v36, 0, v38
	scratch_store_b32 off, v0, off offset:452 ; 4-byte Folded Spill
	v_lshrrev_b32_e32 v0, 2, v183
	v_mul_u32_u24_e32 v35, 0x44, v35
	scratch_store_b32 off, v39, off offset:900 ; 4-byte Folded Spill
	v_mul_f32_e32 v41, 0x4f7ffffe, v41
	v_ashrrev_i32_e32 v5, 31, v4
	scratch_store_b32 off, v0, off offset:576 ; 4-byte Folded Spill
	v_add_nc_u32_e32 v0, 0xcc0, v196
	v_lshlrev_b32_e32 v35, 2, v35
	scratch_store_b32 off, v36, off offset:896 ; 4-byte Folded Spill
	v_add_nc_u32_e32 v36, 0, v37
	v_lshlrev_b64 v[233:234], 2, v[4:5]
	scratch_store_b32 off, v0, off offset:456 ; 4-byte Folded Spill
	v_lshrrev_b32_e32 v0, 2, v182
	v_add_nc_u32_e32 v39, v204, v35
	scratch_store_b32 off, v36, off offset:904 ; 4-byte Folded Spill
	v_add_nc_u32_e32 v35, 0, v35
	s_mul_i32 s5, s5, s1
	scratch_store_b32 off, v0, off offset:580 ; 4-byte Folded Spill
	v_add_nc_u32_e32 v0, 0x1100, v196
	scratch_store_b32 off, v39, off offset:908 ; 4-byte Folded Spill
	v_writelane_b32 v255, s6, 13
	s_mul_hi_u32 s5, s1, s5
	v_lshlrev_b64 v[240:241], 2, v[16:17]
	scratch_store_b32 off, v0, off offset:584 ; 4-byte Folded Spill
	v_lshrrev_b32_e32 v0, 2, v181
	scratch_store_b32 off, v35, off offset:912 ; 4-byte Folded Spill
	s_add_i32 s1, s1, s5
	v_ashrrev_i32_e32 v21, 31, v20
	v_writelane_b32 v255, s1, 14
	scratch_store_b32 off, v0, off offset:588 ; 4-byte Folded Spill
	v_add_nc_u32_e32 v0, 0x1540, v196
	s_sub_i32 s6, 0, s85
	s_ashr_i32 s5, s36, 31
	s_mul_i32 s6, s6, s2
	v_writelane_b32 v255, s5, 15
	scratch_store_b32 off, v0, off offset:592 ; 4-byte Folded Spill
	v_lshrrev_b32_e32 v0, 2, v180
	s_mul_hi_u32 s1, s2, s6
	v_cvt_u32_f32_e32 v40, v40
	v_lshlrev_b64 v[242:243], 2, v[20:21]
	s_add_i32 s1, s2, s1
	scratch_store_b32 off, v0, off offset:596 ; 4-byte Folded Spill
	v_add_nc_u32_e32 v0, 0x1980, v196
	v_writelane_b32 v255, s1, 16
	v_ashrrev_i32_e32 v25, 31, v24
	v_cvt_u32_f32_e32 v41, v41
	v_readfirstlane_b32 s3, v40
	scratch_store_b32 off, v0, off offset:600 ; 4-byte Folded Spill
	v_lshrrev_b32_e32 v0, 2, v179
	s_ashr_i32 s1, s15, 31
	v_readfirstlane_b32 s4, v41
	v_writelane_b32 v255, s1, 17
	s_sub_i32 s1, 0, s86
	scratch_store_b32 off, v0, off offset:604 ; 4-byte Folded Spill
	v_add_nc_u32_e32 v0, 0x1dc0, v196
	s_mul_i32 s1, s1, s3
	v_lshlrev_b64 v[244:245], 2, v[24:25]
	s_mul_hi_u32 s1, s3, s1
	s_sub_i32 s2, 0, s87
	scratch_store_b32 off, v0, off offset:608 ; 4-byte Folded Spill
	v_lshrrev_b32_e32 v0, 2, v178
	s_add_i32 s1, s3, s1
	v_ashrrev_i32_e32 v29, 31, v28
	s_mul_i32 s2, s2, s4
	v_writelane_b32 v255, s1, 18
	scratch_store_b32 off, v0, off offset:612 ; 4-byte Folded Spill
	v_add_nc_u32_e32 v0, 0x2200, v196
	s_mul_hi_u32 s2, s4, s2
	v_lshlrev_b64 v[253:254], 2, v[28:29]
	s_add_i32 s1, s4, s2
	s_lshl_b64 s[2:3], s[48:49], 1
	scratch_store_b32 off, v0, off offset:616 ; 4-byte Folded Spill
	v_lshrrev_b32_e32 v0, 2, v177
	v_writelane_b32 v255, s1, 19
	v_mul_lo_u32 v200, v162, s7
	v_dual_mov_b32 v166, 0 :: v_dual_lshlrev_b32 v165, 1, v169
	scratch_store_b32 off, v0, off offset:620 ; 4-byte Folded Spill
	v_lshrrev_b32_e32 v0, 2, v176
	v_writelane_b32 v255, s2, 20
	v_mul_u32_u24_e32 v167, 0x90, v193
	v_cmp_gt_u32_e64 s0, 16, v169
	v_lshlrev_b32_e32 v216, 4, v32
	scratch_store_b32 off, v0, off offset:624 ; 4-byte Folded Spill
	v_lshrrev_b32_e32 v0, 2, v174
	v_writelane_b32 v255, s3, 21
	v_lshlrev_b32_e32 v246, 2, v34
	v_xor_b32_e32 v249, 1, v202
	v_add_nc_u32_e32 v194, 0x880, v208
	scratch_store_b32 off, v0, off offset:628 ; 4-byte Folded Spill
	v_lshrrev_b32_e32 v0, 2, v173
	v_writelane_b32 v255, s54, 22
	v_add_nc_u32_e32 v191, 0x1100, v208
	v_add_nc_u32_e32 v251, 0x1980, v208
	v_add_nc_u32_e32 v113, 0x2200, v208
	scratch_store_b32 off, v0, off offset:632 ; 4-byte Folded Spill
	v_lshrrev_b32_e32 v0, 2, v172
	v_add_nc_u32_e32 v186, 0x2a80, v208
	v_add_nc_u32_e32 v114, 0x3300, v208
	v_lshrrev_b32_e32 v203, 2, v189
	v_add_nc_u32_e32 v205, 0x440, v196
	scratch_store_b32 off, v0, off offset:636 ; 4-byte Folded Spill
	v_lshrrev_b32_e32 v0, 2, v171
	v_add_nc_u32_e32 v159, 0x2640, v196
	v_writelane_b32 v255, s55, 23
	s_lshl_b64 s[68:69], s[10:11], 8
	s_lshl_b64 s[70:71], s[12:13], 8
	scratch_store_b32 off, v0, off offset:640 ; 4-byte Folded Spill
	v_lshrrev_b32_e32 v0, 2, v170
	s_mov_b32 s36, s65
	s_mov_b32 s37, s65
	;; [unrolled: 1-line block ×4, first 2 shown]
	scratch_store_b32 off, v0, off offset:644 ; 4-byte Folded Spill
	v_lshl_add_u32 v0, v202, 2, v192
	s_mov_b32 s40, s65
	s_mov_b32 s41, s65
	;; [unrolled: 1-line block ×4, first 2 shown]
	scratch_store_b32 off, v0, off offset:648 ; 4-byte Folded Spill
	v_add_co_u32 v0, vcc_lo, s20, v197
	scratch_store_b32 off, v0, off offset:764 ; 4-byte Folded Spill
	v_add_co_ci_u32_e32 v0, vcc_lo, s21, v198, vcc_lo
	scratch_store_b32 off, v0, off offset:768 ; 4-byte Folded Spill
	v_add_co_u32 v0, vcc_lo, s20, v206
	scratch_store_b32 off, v0, off offset:772 ; 4-byte Folded Spill
	v_add_co_ci_u32_e32 v0, vcc_lo, s21, v207, vcc_lo
	;; [unrolled: 4-line block ×16, first 2 shown]
	scratch_store_b32 off, v0, off offset:888 ; 4-byte Folded Spill
	v_mbcnt_lo_u32_b32 v0, -1, 0
	s_clause 0x1
	scratch_store_b64 off, v[42:43], off offset:752
	scratch_store_b32 off, v0, off offset:448
	v_mov_b32_e32 v0, v162
	s_clause 0x1f
	scratch_store_b64 off, v[0:1], off offset:676
	scratch_store_b32 off, v163, off offset:684
	scratch_store_b32 off, v164, off offset:688
	;; [unrolled: 1-line block ×10, first 2 shown]
	scratch_store_b32 off, v227, off
	scratch_store_b32 off, v212, off offset:100
	scratch_store_b32 off, v215, off offset:108
	;; [unrolled: 1-line block ×5, first 2 shown]
	scratch_store_b64 off, v[197:198], off offset:152
	scratch_store_b64 off, v[206:207], off offset:160
	;; [unrolled: 1-line block ×15, first 2 shown]
	s_clause 0x16
	scratch_store_b64 off, v[253:254], off offset:272
	scratch_store_b32 off, v246, off offset:280
	scratch_store_b32 off, v113, off offset:16
	;; [unrolled: 1-line block ×22, first 2 shown]
	s_branch .LBB24_14
.LBB24_13:                              ;   in Loop: Header=BB24_14 Depth=1
	s_or_b32 exec_lo, exec_lo, s1
	s_add_i32 s1, s58, s81
	s_mov_b32 s14, 0
	s_abs_i32 s2, s1
	s_delay_alu instid0(SALU_CYCLE_1) | instskip(NEXT) | instid1(SALU_CYCLE_1)
	s_mul_hi_u32 s3, s2, s83
	s_mul_i32 s3, s3, s63
	s_delay_alu instid0(SALU_CYCLE_1) | instskip(SKIP_4) | instid1(SALU_CYCLE_1)
	s_sub_i32 s2, s2, s3
	s_ashr_i32 s3, s1, 31
	s_sub_i32 s4, s2, s63
	s_cmp_ge_u32 s2, s63
	s_cselect_b32 s2, s4, s2
	s_sub_i32 s4, s2, s63
	s_cmp_ge_u32 s2, s63
	s_cselect_b32 s2, s4, s2
	s_delay_alu instid0(SALU_CYCLE_1) | instskip(NEXT) | instid1(SALU_CYCLE_1)
	s_xor_b32 s2, s2, s3
	s_sub_i32 s2, s3, s2
	s_delay_alu instid0(SALU_CYCLE_1) | instskip(NEXT) | instid1(SALU_CYCLE_1)
	s_add_i32 s58, s1, s2
	s_sub_i32 s2, s62, s58
	s_delay_alu instid0(SALU_CYCLE_1) | instskip(SKIP_4) | instid1(SALU_CYCLE_1)
	s_min_i32 s101, s81, s2
	s_cmp_gt_i32 s62, s58
	s_cselect_b32 s1, -1, 0
	s_cmp_le_i32 s81, s2
	s_cselect_b32 s2, -1, 0
	s_and_b32 s2, s2, s1
	s_delay_alu instid0(SALU_CYCLE_1)
	s_and_b32 vcc_lo, exec_lo, s2
	s_cbranch_vccz .LBB24_356
.LBB24_14:                              ; =>This Loop Header: Depth=1
                                        ;     Child Loop BB24_87 Depth 2
                                        ;     Child Loop BB24_255 Depth 2
	v_readlane_b32 s2, v255, 14
	s_abs_i32 s1, s58
	v_readlane_b32 s5, v255, 13
	s_ashr_i32 s3, s58, 31
	v_readlane_b32 s7, v255, 15
	s_mul_hi_u32 s2, s1, s2
	v_readlane_b32 s15, v255, 17
	s_mul_i32 s4, s2, s84
	s_xor_b32 s3, s3, s5
	s_sub_i32 s1, s1, s4
	s_add_i32 s4, s2, 1
	s_sub_i32 s5, s1, s84
	s_cmp_ge_u32 s1, s84
	s_cselect_b32 s2, s4, s2
	s_cselect_b32 s1, s5, s1
	s_add_i32 s4, s2, 1
	s_cmp_ge_u32 s1, s84
	s_cselect_b32 s1, s4, s2
	v_readlane_b32 s2, v255, 3
	s_xor_b32 s1, s1, s3
	v_readlane_b32 s4, v255, 16
	s_sub_i32 s1, s1, s3
	s_delay_alu instid0(VALU_DEP_2) | instid1(SALU_CYCLE_1)
	s_mul_i32 s2, s1, s2
	s_delay_alu instid0(SALU_CYCLE_1) | instskip(NEXT) | instid1(SALU_CYCLE_1)
	s_sub_i32 s3, s58, s2
	s_abs_i32 s2, s3
	s_ashr_i32 s5, s3, 31
	s_mul_hi_u32 s4, s2, s4
	s_xor_b32 s5, s5, s7
	s_mul_i32 s6, s4, s85
	s_delay_alu instid0(SALU_CYCLE_1)
	s_sub_i32 s2, s2, s6
	s_add_i32 s6, s4, 1
	s_sub_i32 s7, s2, s85
	s_cmp_ge_u32 s2, s85
	s_cselect_b32 s4, s6, s4
	s_cselect_b32 s2, s7, s2
	s_add_i32 s6, s4, 1
	s_cmp_ge_u32 s2, s85
	s_cselect_b32 s2, s6, s4
	v_readlane_b32 s4, v255, 2
	s_xor_b32 s2, s2, s5
	s_delay_alu instid0(SALU_CYCLE_1) | instskip(SKIP_1) | instid1(VALU_DEP_2)
	s_sub_i32 s2, s2, s5
	v_readlane_b32 s5, v255, 18
	s_mul_i32 s4, s2, s4
	s_delay_alu instid0(SALU_CYCLE_1) | instskip(NEXT) | instid1(SALU_CYCLE_1)
	s_sub_i32 s4, s3, s4
	s_abs_i32 s3, s4
	s_ashr_i32 s6, s4, 31
	s_mul_hi_u32 s5, s3, s5
	s_xor_b32 s6, s6, s15
	s_mul_i32 s7, s5, s86
	s_delay_alu instid0(SALU_CYCLE_1)
	s_sub_i32 s3, s3, s7
	s_add_i32 s7, s5, 1
	s_sub_i32 s15, s3, s86
	s_cmp_ge_u32 s3, s86
	s_cselect_b32 s5, s7, s5
	s_cselect_b32 s3, s15, s3
	s_add_i32 s7, s5, 1
	s_cmp_ge_u32 s3, s86
	s_cselect_b32 s3, s7, s5
	v_readlane_b32 s5, v255, 1
	s_xor_b32 s3, s3, s6
	s_delay_alu instid0(SALU_CYCLE_1)
	s_sub_i32 s3, s3, s6
	s_delay_alu instid0(VALU_DEP_1) | instid1(SALU_CYCLE_1)
	s_mul_i32 s5, s3, s5
	s_delay_alu instid0(SALU_CYCLE_1) | instskip(NEXT) | instid1(SALU_CYCLE_1)
	s_sub_i32 s4, s4, s5
	s_abs_i32 s5, s4
	s_ashr_i32 s4, s4, 31
	s_mul_hi_u32 s6, s5, s83
	s_xor_b32 s4, s4, s82
	s_mul_i32 s7, s6, s63
	s_delay_alu instid0(SALU_CYCLE_1)
	s_sub_i32 s5, s5, s7
	s_add_i32 s7, s6, 1
	s_sub_i32 s15, s5, s63
	s_cmp_ge_u32 s5, s63
	s_cselect_b32 s6, s7, s6
	s_cselect_b32 s5, s15, s5
	s_add_i32 s7, s6, 1
	s_cmp_ge_u32 s5, s63
	s_cselect_b32 s5, s7, s6
	v_readlane_b32 s6, v255, 12
	s_xor_b32 s5, s5, s4
	s_delay_alu instid0(SALU_CYCLE_1) | instskip(NEXT) | instid1(VALU_DEP_1)
	s_sub_i32 s78, s5, s4
	s_and_not1_b32 vcc_lo, exec_lo, s6
	s_cbranch_vccnz .LBB24_16
; %bb.15:                               ;   in Loop: Header=BB24_14 Depth=1
	v_readlane_b32 s4, v255, 0
	s_delay_alu instid0(VALU_DEP_1) | instskip(NEXT) | instid1(SALU_CYCLE_1)
	s_mul_i32 s4, s1, s4
	s_add_i32 s4, s78, s4
	s_delay_alu instid0(SALU_CYCLE_1) | instskip(NEXT) | instid1(SALU_CYCLE_1)
	s_ashr_i32 s5, s4, 31
	s_lshl_b64 s[4:5], s[4:5], 2
	s_delay_alu instid0(SALU_CYCLE_1) | instskip(SKIP_4) | instid1(VALU_DEP_1)
	s_add_u32 s4, s26, s4
	s_addc_u32 s5, s27, s5
	global_load_b32 v0, v166, s[4:5]
	s_waitcnt vmcnt(0)
	v_readfirstlane_b32 s4, v0
	s_ashr_i32 s5, s4, 31
	s_delay_alu instid0(SALU_CYCLE_1) | instskip(NEXT) | instid1(SALU_CYCLE_1)
	s_lshr_b32 s5, s5, 26
	s_add_i32 s4, s4, s5
	s_delay_alu instid0(SALU_CYCLE_1) | instskip(NEXT) | instid1(SALU_CYCLE_1)
	s_ashr_i32 s4, s4, 6
	s_min_i32 s101, s101, s4
.LBB24_16:                              ;   in Loop: Header=BB24_14 Depth=1
	s_mul_i32 s4, s2, s76
	s_lshl_b32 s54, s3, 2
	s_mul_i32 s3, s1, s57
	s_add_i32 s4, s54, s4
	s_ashr_i32 s5, s3, 31
	s_mul_i32 s6, s4, s56
	s_add_u32 s3, s16, s3
	s_addc_u32 s5, s17, s5
	s_ashr_i32 s7, s6, 31
	s_add_u32 s46, s3, s6
	s_addc_u32 s55, s5, s7
	v_readlane_b32 s6, v255, 8
	v_readlane_b32 s7, v255, 9
	s_mul_i32 s3, s1, s45
	s_mul_hi_u32 s5, s1, s44
	s_ashr_i32 s15, s1, 31
	s_add_i32 s3, s5, s3
	s_mul_i32 s5, s15, s44
	s_mul_i32 s64, s1, s44
	s_add_i32 s102, s3, s5
	s_mul_i32 s103, s2, s7
	s_add_u32 s3, s18, s64
	s_addc_u32 s5, s19, s102
	s_ashr_i32 s104, s103, 31
	s_add_u32 s97, s3, s103
	s_addc_u32 s98, s5, s104
	v_readlane_b32 s5, v255, 19
	s_abs_i32 s3, s1
	s_mov_b32 s75, 0
	v_or_b32_e32 v9, s54, v162
	s_delay_alu instid0(VALU_DEP_2) | instskip(NEXT) | instid1(SALU_CYCLE_1)
	s_mul_hi_u32 s5, s3, s5
	s_mul_i32 s5, s5, s87
	s_delay_alu instid0(SALU_CYCLE_1) | instskip(NEXT) | instid1(SALU_CYCLE_1)
	s_sub_i32 s3, s3, s5
	s_sub_i32 s5, s3, s87
	s_cmp_ge_u32 s3, s87
	s_cselect_b32 s3, s5, s3
	s_delay_alu instid0(SALU_CYCLE_1) | instskip(SKIP_2) | instid1(SALU_CYCLE_1)
	s_sub_i32 s5, s3, s87
	s_cmp_ge_u32 s3, s87
	s_cselect_b32 s3, s5, s3
	s_xor_b32 s3, s3, s15
	s_delay_alu instid0(SALU_CYCLE_1)
	s_sub_i32 s3, s3, s15
	s_mul_i32 s15, s15, s50
	s_mul_i32 s5, s3, s53
	s_mul_hi_u32 s6, s3, s52
	s_ashr_i32 s7, s3, 31
	s_add_i32 s5, s6, s5
	s_mul_i32 s7, s7, s52
	s_mul_i32 s60, s3, s52
	;; [unrolled: 1-line block ×3, first 2 shown]
	s_add_i32 vcc_hi, s5, s7
	s_mul_i32 s3, s3, s1
	s_add_u32 s99, s22, s60
	s_addc_u32 s100, s23, vcc_hi
	s_add_i32 s3, s4, s3
	s_mul_hi_u32 s5, s1, s50
	s_lshl_b32 s74, s3, 6
	s_mul_i32 s3, s1, s51
	s_lshl_b64 s[6:7], s[74:75], 3
	v_cmp_gt_i32_e32 vcc_lo, s76, v9
	s_add_u32 s49, s28, s6
	s_addc_u32 s67, s29, s7
	s_add_i32 s3, s5, s3
	s_mul_i32 s7, s1, s50
	s_add_i32 s6, s3, s15
	s_mul_i32 s15, s2, s47
	s_add_u32 s1, s20, s7
	s_addc_u32 s2, s21, s6
	s_ashr_i32 s59, s15, 31
	s_add_u32 s95, s1, s15
	s_addc_u32 s96, s2, s59
	s_ashr_i32 s5, s4, 31
	s_delay_alu instid0(SALU_CYCLE_1) | instskip(NEXT) | instid1(SALU_CYCLE_1)
	s_lshl_b64 s[2:3], s[4:5], 2
	s_add_u32 s1, s24, s2
	s_addc_u32 s2, s25, s3
	v_readlane_b32 s3, v255, 11
	s_delay_alu instid0(VALU_DEP_1)
	s_and_b32 s3, s3, exec_lo
	s_cselect_b32 s73, 0, s2
	s_cselect_b32 s72, 0, s1
	s_cmp_lg_u32 s14, 0
	s_cbranch_scc0 .LBB24_83
; %bb.17:                               ;   in Loop: Header=BB24_14 Depth=1
	s_lshl_b32 s2, s78, 4
	s_xor_b32 s3, vcc_lo, -1
	v_add_nc_u32_e32 v20, s2, v164
	s_delay_alu instid0(VALU_DEP_1) | instskip(NEXT) | instid1(VALU_DEP_1)
	v_cmp_le_i32_e64 s1, s8, v20
	s_or_b32 s1, s1, s3
	s_delay_alu instid0(SALU_CYCLE_1) | instskip(NEXT) | instid1(SALU_CYCLE_1)
	s_and_saveexec_b32 s4, s1
	s_xor_b32 s1, exec_lo, s4
	s_cbranch_execz .LBB24_19
; %bb.18:                               ;   in Loop: Header=BB24_14 Depth=1
	ds_store_2addr_b32 v196, v166, v166 offset1:32
.LBB24_19:                              ;   in Loop: Header=BB24_14 Depth=1
	s_and_not1_saveexec_b32 s1, s1
	s_cbranch_execz .LBB24_21
; %bb.20:                               ;   in Loop: Header=BB24_14 Depth=1
	v_mul_lo_u32 v0, v20, s33
	s_delay_alu instid0(VALU_DEP_1) | instskip(NEXT) | instid1(VALU_DEP_1)
	v_add3_u32 v0, v0, v200, v169
	v_ashrrev_i32_e32 v1, 31, v0
	s_delay_alu instid0(VALU_DEP_1) | instskip(NEXT) | instid1(VALU_DEP_1)
	v_lshlrev_b64 v[0:1], 3, v[0:1]
	v_add_co_u32 v0, vcc_lo, s46, v0
	s_delay_alu instid0(VALU_DEP_2)
	v_add_co_ci_u32_e32 v1, vcc_lo, s55, v1, vcc_lo
	s_clause 0x1
	global_load_b64 v[2:3], v[0:1], off
	global_load_b64 v[0:1], v[0:1], off offset:256
	s_waitcnt vmcnt(1)
	v_cvt_f16_f32_e32 v2, v2
	v_cvt_f16_f32_e32 v3, v3
	s_waitcnt vmcnt(0)
	v_cvt_f16_f32_e32 v0, v0
	v_cvt_f16_f32_e32 v1, v1
	s_delay_alu instid0(VALU_DEP_3) | instskip(NEXT) | instid1(VALU_DEP_2)
	v_pack_b32_f16 v2, v2, v3
	v_pack_b32_f16 v0, v0, v1
	s_delay_alu instid0(VALU_DEP_2) | instskip(NEXT) | instid1(VALU_DEP_2)
	v_pk_mul_f16 v1, v163, v2
	v_pk_mul_f16 v0, v163, v0
	ds_store_2addr_b32 v196, v1, v0 offset1:32
.LBB24_21:                              ;   in Loop: Header=BB24_14 Depth=1
	s_or_b32 exec_lo, exec_lo, s1
	v_add_nc_u32_e32 v19, s2, v203
	s_delay_alu instid0(VALU_DEP_1) | instskip(SKIP_1) | instid1(SALU_CYCLE_1)
	v_cmp_le_i32_e32 vcc_lo, s8, v19
	s_or_b32 s1, vcc_lo, s3
	s_and_saveexec_b32 s4, s1
	s_delay_alu instid0(SALU_CYCLE_1)
	s_xor_b32 s1, exec_lo, s4
	s_cbranch_execz .LBB24_23
; %bb.22:                               ;   in Loop: Header=BB24_14 Depth=1
	ds_store_2addr_b32 v205, v166, v166 offset1:32
.LBB24_23:                              ;   in Loop: Header=BB24_14 Depth=1
	s_and_not1_saveexec_b32 s1, s1
	s_cbranch_execz .LBB24_25
; %bb.24:                               ;   in Loop: Header=BB24_14 Depth=1
	v_mul_lo_u32 v0, v19, s33
	s_delay_alu instid0(VALU_DEP_1) | instskip(NEXT) | instid1(VALU_DEP_1)
	v_add3_u32 v0, v0, v200, v169
	v_ashrrev_i32_e32 v1, 31, v0
	s_delay_alu instid0(VALU_DEP_1) | instskip(NEXT) | instid1(VALU_DEP_1)
	v_lshlrev_b64 v[0:1], 3, v[0:1]
	v_add_co_u32 v0, vcc_lo, s46, v0
	s_delay_alu instid0(VALU_DEP_2)
	v_add_co_ci_u32_e32 v1, vcc_lo, s55, v1, vcc_lo
	s_clause 0x1
	global_load_b64 v[2:3], v[0:1], off
	global_load_b64 v[0:1], v[0:1], off offset:256
	s_waitcnt vmcnt(1)
	v_cvt_f16_f32_e32 v2, v2
	v_cvt_f16_f32_e32 v3, v3
	s_waitcnt vmcnt(0)
	v_cvt_f16_f32_e32 v0, v0
	v_cvt_f16_f32_e32 v1, v1
	s_delay_alu instid0(VALU_DEP_3) | instskip(NEXT) | instid1(VALU_DEP_2)
	v_pack_b32_f16 v2, v2, v3
	v_pack_b32_f16 v0, v0, v1
	s_delay_alu instid0(VALU_DEP_2) | instskip(NEXT) | instid1(VALU_DEP_2)
	v_pk_mul_f16 v1, v163, v2
	v_pk_mul_f16 v0, v163, v0
	ds_store_2addr_b32 v205, v1, v0 offset1:32
.LBB24_25:                              ;   in Loop: Header=BB24_14 Depth=1
	s_or_b32 exec_lo, exec_lo, s1
	scratch_load_b32 v0, off, off offset:572 ; 4-byte Folded Reload
	s_waitcnt vmcnt(0)
	v_add_nc_u32_e32 v18, s2, v0
	s_delay_alu instid0(VALU_DEP_1) | instskip(SKIP_1) | instid1(SALU_CYCLE_1)
	v_cmp_le_i32_e32 vcc_lo, s8, v18
	s_or_b32 s1, vcc_lo, s3
	s_and_saveexec_b32 s4, s1
	s_delay_alu instid0(SALU_CYCLE_1)
	s_xor_b32 s1, exec_lo, s4
	s_cbranch_execz .LBB24_27
; %bb.26:                               ;   in Loop: Header=BB24_14 Depth=1
	scratch_load_b32 v0, off, off offset:452 ; 4-byte Folded Reload
	s_waitcnt vmcnt(0)
	ds_store_2addr_b32 v0, v166, v166 offset1:32
.LBB24_27:                              ;   in Loop: Header=BB24_14 Depth=1
	s_and_not1_saveexec_b32 s1, s1
	s_cbranch_execz .LBB24_29
; %bb.28:                               ;   in Loop: Header=BB24_14 Depth=1
	v_mul_lo_u32 v0, v18, s33
	s_delay_alu instid0(VALU_DEP_1) | instskip(NEXT) | instid1(VALU_DEP_1)
	v_add3_u32 v0, v0, v200, v169
	v_ashrrev_i32_e32 v1, 31, v0
	s_delay_alu instid0(VALU_DEP_1) | instskip(NEXT) | instid1(VALU_DEP_1)
	v_lshlrev_b64 v[0:1], 3, v[0:1]
	v_add_co_u32 v0, vcc_lo, s46, v0
	s_delay_alu instid0(VALU_DEP_2)
	v_add_co_ci_u32_e32 v1, vcc_lo, s55, v1, vcc_lo
	s_clause 0x1
	global_load_b64 v[2:3], v[0:1], off
	global_load_b64 v[0:1], v[0:1], off offset:256
	s_waitcnt vmcnt(1)
	v_cvt_f16_f32_e32 v2, v2
	v_cvt_f16_f32_e32 v3, v3
	s_waitcnt vmcnt(0)
	v_cvt_f16_f32_e32 v0, v0
	v_cvt_f16_f32_e32 v1, v1
	s_delay_alu instid0(VALU_DEP_3) | instskip(NEXT) | instid1(VALU_DEP_2)
	v_pack_b32_f16 v2, v2, v3
	v_pack_b32_f16 v0, v0, v1
	s_delay_alu instid0(VALU_DEP_2)
	v_pk_mul_f16 v1, v163, v2
	scratch_load_b32 v2, off, off offset:452 ; 4-byte Folded Reload
	v_pk_mul_f16 v0, v163, v0
	s_waitcnt vmcnt(0)
	ds_store_2addr_b32 v2, v1, v0 offset1:32
.LBB24_29:                              ;   in Loop: Header=BB24_14 Depth=1
	s_or_b32 exec_lo, exec_lo, s1
	scratch_load_b32 v0, off, off offset:576 ; 4-byte Folded Reload
	s_waitcnt vmcnt(0)
	v_add_nc_u32_e32 v17, s2, v0
	s_delay_alu instid0(VALU_DEP_1) | instskip(SKIP_1) | instid1(SALU_CYCLE_1)
	v_cmp_le_i32_e32 vcc_lo, s8, v17
	s_or_b32 s1, vcc_lo, s3
	s_and_saveexec_b32 s4, s1
	s_delay_alu instid0(SALU_CYCLE_1)
	s_xor_b32 s1, exec_lo, s4
	s_cbranch_execz .LBB24_31
; %bb.30:                               ;   in Loop: Header=BB24_14 Depth=1
	scratch_load_b32 v0, off, off offset:456 ; 4-byte Folded Reload
	s_waitcnt vmcnt(0)
	ds_store_2addr_b32 v0, v166, v166 offset1:32
.LBB24_31:                              ;   in Loop: Header=BB24_14 Depth=1
	s_and_not1_saveexec_b32 s1, s1
	s_cbranch_execz .LBB24_33
; %bb.32:                               ;   in Loop: Header=BB24_14 Depth=1
	v_mul_lo_u32 v0, v17, s33
	s_delay_alu instid0(VALU_DEP_1) | instskip(NEXT) | instid1(VALU_DEP_1)
	v_add3_u32 v0, v0, v200, v169
	v_ashrrev_i32_e32 v1, 31, v0
	s_delay_alu instid0(VALU_DEP_1) | instskip(NEXT) | instid1(VALU_DEP_1)
	v_lshlrev_b64 v[0:1], 3, v[0:1]
	v_add_co_u32 v0, vcc_lo, s46, v0
	s_delay_alu instid0(VALU_DEP_2)
	v_add_co_ci_u32_e32 v1, vcc_lo, s55, v1, vcc_lo
	s_clause 0x1
	global_load_b64 v[2:3], v[0:1], off
	global_load_b64 v[0:1], v[0:1], off offset:256
	s_waitcnt vmcnt(1)
	v_cvt_f16_f32_e32 v2, v2
	v_cvt_f16_f32_e32 v3, v3
	s_waitcnt vmcnt(0)
	v_cvt_f16_f32_e32 v0, v0
	v_cvt_f16_f32_e32 v1, v1
	s_delay_alu instid0(VALU_DEP_3) | instskip(NEXT) | instid1(VALU_DEP_2)
	v_pack_b32_f16 v2, v2, v3
	v_pack_b32_f16 v0, v0, v1
	s_delay_alu instid0(VALU_DEP_2)
	v_pk_mul_f16 v1, v163, v2
	scratch_load_b32 v2, off, off offset:456 ; 4-byte Folded Reload
	v_pk_mul_f16 v0, v163, v0
	s_waitcnt vmcnt(0)
	ds_store_2addr_b32 v2, v1, v0 offset1:32
.LBB24_33:                              ;   in Loop: Header=BB24_14 Depth=1
	;; [unrolled: 47-line block ×7, first 2 shown]
	s_or_b32 exec_lo, exec_lo, s1
	scratch_load_b32 v0, off, off offset:620 ; 4-byte Folded Reload
	s_waitcnt vmcnt(0)
	v_add_nc_u32_e32 v11, s2, v0
	s_delay_alu instid0(VALU_DEP_1) | instskip(SKIP_1) | instid1(SALU_CYCLE_1)
	v_cmp_le_i32_e32 vcc_lo, s8, v11
	s_or_b32 s1, vcc_lo, s3
	s_and_saveexec_b32 s4, s1
	s_delay_alu instid0(SALU_CYCLE_1)
	s_xor_b32 s1, exec_lo, s4
	s_cbranch_execz .LBB24_55
; %bb.54:                               ;   in Loop: Header=BB24_14 Depth=1
	ds_store_2addr_b32 v159, v166, v166 offset1:32
.LBB24_55:                              ;   in Loop: Header=BB24_14 Depth=1
	s_and_not1_saveexec_b32 s1, s1
	s_cbranch_execz .LBB24_57
; %bb.56:                               ;   in Loop: Header=BB24_14 Depth=1
	v_mul_lo_u32 v0, v11, s33
	s_delay_alu instid0(VALU_DEP_1) | instskip(NEXT) | instid1(VALU_DEP_1)
	v_add3_u32 v0, v0, v200, v169
	v_ashrrev_i32_e32 v1, 31, v0
	s_delay_alu instid0(VALU_DEP_1) | instskip(NEXT) | instid1(VALU_DEP_1)
	v_lshlrev_b64 v[0:1], 3, v[0:1]
	v_add_co_u32 v0, vcc_lo, s46, v0
	s_delay_alu instid0(VALU_DEP_2)
	v_add_co_ci_u32_e32 v1, vcc_lo, s55, v1, vcc_lo
	s_clause 0x1
	global_load_b64 v[2:3], v[0:1], off
	global_load_b64 v[0:1], v[0:1], off offset:256
	s_waitcnt vmcnt(1)
	v_cvt_f16_f32_e32 v2, v2
	v_cvt_f16_f32_e32 v3, v3
	s_waitcnt vmcnt(0)
	v_cvt_f16_f32_e32 v0, v0
	v_cvt_f16_f32_e32 v1, v1
	s_delay_alu instid0(VALU_DEP_3) | instskip(NEXT) | instid1(VALU_DEP_2)
	v_pack_b32_f16 v2, v2, v3
	v_pack_b32_f16 v0, v0, v1
	s_delay_alu instid0(VALU_DEP_2) | instskip(NEXT) | instid1(VALU_DEP_2)
	v_pk_mul_f16 v1, v163, v2
	v_pk_mul_f16 v0, v163, v0
	ds_store_2addr_b32 v159, v1, v0 offset1:32
.LBB24_57:                              ;   in Loop: Header=BB24_14 Depth=1
	s_or_b32 exec_lo, exec_lo, s1
	scratch_load_b32 v0, off, off offset:624 ; 4-byte Folded Reload
	s_waitcnt vmcnt(0)
	v_add_nc_u32_e32 v10, s2, v0
	s_delay_alu instid0(VALU_DEP_1) | instskip(SKIP_1) | instid1(SALU_CYCLE_1)
	v_cmp_le_i32_e32 vcc_lo, s8, v10
	s_or_b32 s1, vcc_lo, s3
	s_and_saveexec_b32 s4, s1
	s_delay_alu instid0(SALU_CYCLE_1)
	s_xor_b32 s1, exec_lo, s4
	s_cbranch_execz .LBB24_59
; %bb.58:                               ;   in Loop: Header=BB24_14 Depth=1
	v_add_nc_u32_e32 v0, 0x400, v159
	ds_store_2addr_b32 v0, v166, v166 offset0:16 offset1:48
.LBB24_59:                              ;   in Loop: Header=BB24_14 Depth=1
	s_and_not1_saveexec_b32 s1, s1
	s_cbranch_execz .LBB24_61
; %bb.60:                               ;   in Loop: Header=BB24_14 Depth=1
	v_mul_lo_u32 v0, v10, s33
	s_delay_alu instid0(VALU_DEP_1) | instskip(NEXT) | instid1(VALU_DEP_1)
	v_add3_u32 v0, v0, v200, v169
	v_ashrrev_i32_e32 v1, 31, v0
	s_delay_alu instid0(VALU_DEP_1) | instskip(NEXT) | instid1(VALU_DEP_1)
	v_lshlrev_b64 v[0:1], 3, v[0:1]
	v_add_co_u32 v0, vcc_lo, s46, v0
	s_delay_alu instid0(VALU_DEP_2)
	v_add_co_ci_u32_e32 v1, vcc_lo, s55, v1, vcc_lo
	s_clause 0x1
	global_load_b64 v[2:3], v[0:1], off
	global_load_b64 v[0:1], v[0:1], off offset:256
	s_waitcnt vmcnt(1)
	v_cvt_f16_f32_e32 v2, v2
	v_cvt_f16_f32_e32 v3, v3
	s_waitcnt vmcnt(0)
	v_cvt_f16_f32_e32 v0, v0
	v_cvt_f16_f32_e32 v1, v1
	s_delay_alu instid0(VALU_DEP_3) | instskip(NEXT) | instid1(VALU_DEP_2)
	v_pack_b32_f16 v2, v2, v3
	v_pack_b32_f16 v0, v0, v1
	s_delay_alu instid0(VALU_DEP_2) | instskip(SKIP_1) | instid1(VALU_DEP_3)
	v_pk_mul_f16 v1, v163, v2
	v_add_nc_u32_e32 v2, 0x400, v159
	v_pk_mul_f16 v0, v163, v0
	ds_store_2addr_b32 v2, v1, v0 offset0:16 offset1:48
.LBB24_61:                              ;   in Loop: Header=BB24_14 Depth=1
	s_or_b32 exec_lo, exec_lo, s1
	scratch_load_b32 v0, off, off offset:628 ; 4-byte Folded Reload
	s_waitcnt vmcnt(0)
	v_add_nc_u32_e32 v8, s2, v0
	s_delay_alu instid0(VALU_DEP_1) | instskip(SKIP_1) | instid1(SALU_CYCLE_1)
	v_cmp_le_i32_e32 vcc_lo, s8, v8
	s_or_b32 s1, vcc_lo, s3
	s_and_saveexec_b32 s4, s1
	s_delay_alu instid0(SALU_CYCLE_1)
	s_xor_b32 s1, exec_lo, s4
	s_cbranch_execz .LBB24_63
; %bb.62:                               ;   in Loop: Header=BB24_14 Depth=1
	v_add_nc_u32_e32 v0, 0x800, v159
	ds_store_2addr_b32 v0, v166, v166 offset0:32 offset1:64
.LBB24_63:                              ;   in Loop: Header=BB24_14 Depth=1
	s_and_not1_saveexec_b32 s1, s1
	s_cbranch_execz .LBB24_65
; %bb.64:                               ;   in Loop: Header=BB24_14 Depth=1
	v_mul_lo_u32 v0, v8, s33
	s_delay_alu instid0(VALU_DEP_1) | instskip(NEXT) | instid1(VALU_DEP_1)
	v_add3_u32 v0, v0, v200, v169
	v_ashrrev_i32_e32 v1, 31, v0
	s_delay_alu instid0(VALU_DEP_1) | instskip(NEXT) | instid1(VALU_DEP_1)
	v_lshlrev_b64 v[0:1], 3, v[0:1]
	v_add_co_u32 v0, vcc_lo, s46, v0
	s_delay_alu instid0(VALU_DEP_2)
	v_add_co_ci_u32_e32 v1, vcc_lo, s55, v1, vcc_lo
	s_clause 0x1
	global_load_b64 v[2:3], v[0:1], off
	global_load_b64 v[0:1], v[0:1], off offset:256
	s_waitcnt vmcnt(1)
	v_cvt_f16_f32_e32 v2, v2
	v_cvt_f16_f32_e32 v3, v3
	s_waitcnt vmcnt(0)
	v_cvt_f16_f32_e32 v0, v0
	v_cvt_f16_f32_e32 v1, v1
	s_delay_alu instid0(VALU_DEP_3) | instskip(NEXT) | instid1(VALU_DEP_2)
	v_pack_b32_f16 v2, v2, v3
	v_pack_b32_f16 v0, v0, v1
	s_delay_alu instid0(VALU_DEP_2) | instskip(SKIP_1) | instid1(VALU_DEP_3)
	v_pk_mul_f16 v1, v163, v2
	v_add_nc_u32_e32 v2, 0x800, v159
	v_pk_mul_f16 v0, v163, v0
	ds_store_2addr_b32 v2, v1, v0 offset0:32 offset1:64
.LBB24_65:                              ;   in Loop: Header=BB24_14 Depth=1
	;; [unrolled: 45-line block ×6, first 2 shown]
	s_or_b32 exec_lo, exec_lo, s1
	s_waitcnt lgkmcnt(0)
	s_waitcnt_vscnt null, 0x0
	s_barrier
	buffer_gl0_inv
	ds_load_b128 v[88:91], v192
	ds_load_b128 v[92:95], v192 offset:16
	ds_load_b128 v[80:83], v192 offset:32
	;; [unrolled: 1-line block ×15, first 2 shown]
	v_add_nc_u32_e32 v99, s2, v193
	v_add_nc_u32_e32 v97, s2, v189
	;; [unrolled: 1-line block ×4, first 2 shown]
	s_add_i32 s54, s101, -1
	v_mul_hi_u32 v103, s34, v99
	v_mul_hi_u32 v102, s34, v97
	;; [unrolled: 1-line block ×4, first 2 shown]
	s_cmp_gt_i32 s54, s14
	s_waitcnt lgkmcnt(0)
	s_barrier
	buffer_gl0_inv
	s_clause 0x1
	scratch_store_b32 off, v9, off offset:284
	scratch_store_b32 off, v20, off offset:568
	s_cbranch_scc1 .LBB24_84
; %bb.82:                               ;   in Loop: Header=BB24_14 Depth=1
	v_dual_mov_b32 v157, 32 :: v_dual_add_nc_u32 v0, v99, v103
	v_add_nc_u32_e32 v1, v97, v102
	v_add_nc_u32_e32 v2, v98, v100
	;; [unrolled: 1-line block ×3, first 2 shown]
	s_delay_alu instid0(VALU_DEP_4)
	v_lshrrev_b32_e32 v0, s35, v0
	s_mov_b32 s1, 0
	v_lshrrev_b32_e32 v1, s35, v1
	v_lshrrev_b32_e32 v2, s35, v2
	;; [unrolled: 1-line block ×3, first 2 shown]
	v_mul_lo_u32 v0, v0, s8
	s_mov_b32 s2, 0xfeffffff
	v_mul_lo_u32 v1, v1, s8
	v_mul_lo_u32 v2, v2, s8
	;; [unrolled: 1-line block ×3, first 2 shown]
	s_delay_alu instid0(VALU_DEP_4) | instskip(NEXT) | instid1(VALU_DEP_4)
	v_sub_nc_u32_e32 v0, v99, v0
	v_sub_nc_u32_e32 v1, v97, v1
	s_delay_alu instid0(VALU_DEP_4) | instskip(NEXT) | instid1(VALU_DEP_4)
	v_sub_nc_u32_e32 v2, v98, v2
	v_sub_nc_u32_e32 v3, v96, v3
	s_delay_alu instid0(VALU_DEP_4)
	v_mad_i64_i32 v[153:154], null, v0, s48, 0
	scratch_load_b32 v0, off, off offset:448 ; 4-byte Folded Reload
	v_mad_i64_i32 v[151:152], null, v1, s48, 0
	v_mad_i64_i32 v[149:150], null, v2, s48, 0
	;; [unrolled: 1-line block ×3, first 2 shown]
	s_waitcnt vmcnt(0)
	v_xor_b32_e32 v156, 16, v0
	s_branch .LBB24_85
.LBB24_83:                              ;   in Loop: Header=BB24_14 Depth=1
                                        ; implicit-def: $vgpr1
                                        ; implicit-def: $vgpr2
	s_cbranch_execnz .LBB24_186
	s_branch .LBB24_354
.LBB24_84:                              ;   in Loop: Header=BB24_14 Depth=1
	s_mov_b32 s1, -1
                                        ; implicit-def: $sgpr2
                                        ; implicit-def: $vgpr153_vgpr154
                                        ; implicit-def: $vgpr151_vgpr152
                                        ; implicit-def: $vgpr149_vgpr150
                                        ; implicit-def: $vgpr147_vgpr148
                                        ; implicit-def: $vgpr156
                                        ; implicit-def: $vgpr157
.LBB24_85:                              ;   in Loop: Header=BB24_14 Depth=1
	s_delay_alu instid0(SALU_CYCLE_1)
	v_cndmask_b32_e64 v0, 0, 1, s1
	s_clause 0xe
	scratch_store_b32 off, v19, off offset:564
	scratch_store_b32 off, v18, off offset:560
	;; [unrolled: 1-line block ×15, first 2 shown]
	v_dual_mov_b32 v31, s1 :: v_dual_mov_b32 v188, s1
	v_dual_mov_b32 v190, s2 :: v_dual_mov_b32 v29, s1
	v_cmp_ne_u32_e32 vcc_lo, 1, v0
	v_dual_mov_b32 v30, s1 :: v_dual_mov_b32 v27, s1
	v_dual_mov_b32 v28, s1 :: v_dual_mov_b32 v25, s1
	;; [unrolled: 1-line block ×14, first 2 shown]
	v_mov_b32_e32 v2, s1
	v_mov_b32_e32 v0, s1
	s_cbranch_vccnz .LBB24_89
; %bb.86:                               ;   in Loop: Header=BB24_14 Depth=1
	scratch_load_b32 v5, off, off offset:448 ; 4-byte Folded Reload
	v_add_nc_u32_e32 v1, v97, v102
	v_dual_mov_b32 v188, 0 :: v_dual_add_nc_u32 v3, v96, v101
	s_lshl_b32 s74, s14, 6
	s_delay_alu instid0(VALU_DEP_2) | instskip(NEXT) | instid1(VALU_DEP_2)
	v_lshrrev_b32_e32 v1, s35, v1
	v_lshrrev_b32_e32 v3, s35, v3
	s_delay_alu instid0(VALU_DEP_2) | instskip(NEXT) | instid1(VALU_DEP_2)
	v_mul_lo_u32 v1, v1, s8
	v_mul_lo_u32 v3, v3, s8
	s_delay_alu instid0(VALU_DEP_2) | instskip(NEXT) | instid1(VALU_DEP_1)
	v_sub_nc_u32_e32 v1, v97, v1
	v_mad_i64_i32 v[151:152], null, v1, s48, 0
	s_waitcnt vmcnt(0)
	v_xor_b32_e32 v6, 16, v5
	s_delay_alu instid0(VALU_DEP_1) | instskip(SKIP_4) | instid1(VALU_DEP_1)
	v_cmp_gt_i32_e32 vcc_lo, 32, v6
	v_add_nc_u32_e32 v0, v99, v103
	scratch_store_b32 off, v6, off offset:672 ; 4-byte Folded Spill
	v_cndmask_b32_e32 v1, v5, v6, vcc_lo
	v_lshrrev_b32_e32 v0, s35, v0
	v_mul_lo_u32 v0, v0, s8
	s_delay_alu instid0(VALU_DEP_1) | instskip(NEXT) | instid1(VALU_DEP_1)
	v_sub_nc_u32_e32 v0, v99, v0
	v_mad_i64_i32 v[153:154], null, v0, s48, 0
	v_sub_nc_u32_e32 v0, v96, v3
	s_delay_alu instid0(VALU_DEP_1) | instskip(SKIP_4) | instid1(VALU_DEP_4)
	v_mad_i64_i32 v[147:148], null, v0, s48, 0
	v_mov_b32_e32 v0, 0
	v_add_nc_u32_e32 v2, v98, v100
	v_lshlrev_b32_e32 v192, 2, v1
	v_lshlrev_b32_e32 v4, 1, v165
	v_dual_mov_b32 v190, 0xfeffffff :: v_dual_mov_b32 v7, v0
	v_mov_b32_e32 v1, v0
	v_lshrrev_b32_e32 v2, s35, v2
	v_mov_b32_e32 v3, v0
	v_add_co_u32 v4, s1, s99, v4
	v_mov_b32_e32 v5, v0
	s_delay_alu instid0(VALU_DEP_4)
	v_mul_lo_u32 v2, v2, s8
	v_mov_b32_e32 v6, v0
	scratch_store_b32 off, v4, off offset:144 ; 4-byte Folded Spill
	v_add_co_ci_u32_e64 v4, null, s100, 0, s1
	v_mov_b32_e32 v8, v0
	v_mov_b32_e32 v9, v0
	;; [unrolled: 1-line block ×3, first 2 shown]
	v_sub_nc_u32_e32 v2, v98, v2
	scratch_store_b32 off, v4, off offset:148 ; 4-byte Folded Spill
	v_mov_b32_e32 v4, v0
	v_mov_b32_e32 v11, v0
	;; [unrolled: 1-line block ×3, first 2 shown]
	v_mad_i64_i32 v[149:150], null, v2, s48, 0
	v_mov_b32_e32 v2, v0
	v_mov_b32_e32 v13, v0
	;; [unrolled: 1-line block ×20, first 2 shown]
.LBB24_87:                              ;   Parent Loop BB24_14 Depth=1
                                        ; =>  This Inner Loop Header: Depth=2
	scratch_load_b32 v96, off, off offset:144 ; 4-byte Folded Reload
	s_ashr_i32 s75, s74, 31
	v_lshlrev_b64 v[98:99], 1, v[151:152]
	s_lshl_b64 s[2:3], s[74:75], 1
	v_lshlrev_b64 v[100:101], 1, v[149:150]
	v_lshlrev_b64 v[102:103], 1, v[147:148]
	v_dual_mov_b32 v138, s43 :: v_dual_mov_b32 v133, s38
	v_dual_mov_b32 v134, s39 :: v_dual_mov_b32 v131, s36
	;; [unrolled: 1-line block ×4, first 2 shown]
	v_mov_b32_e32 v135, s40
	s_waitcnt vmcnt(0)
	v_add_co_u32 v104, vcc_lo, v96, s2
	scratch_load_b32 v96, off, off offset:148 ; 4-byte Folded Reload
	s_mul_i32 s2, s74, s12
	s_waitcnt vmcnt(0)
	v_add_co_ci_u32_e32 v105, vcc_lo, s3, v96, vcc_lo
	v_lshlrev_b64 v[96:97], 1, v[153:154]
	s_mul_hi_i32 s3, s74, s12
	s_delay_alu instid0(SALU_CYCLE_1) | instskip(NEXT) | instid1(SALU_CYCLE_1)
	s_lshl_b64 s[2:3], s[2:3], 2
	s_add_u32 s1, s97, s2
	s_delay_alu instid0(VALU_DEP_1) | instskip(NEXT) | instid1(VALU_DEP_2)
	v_add_co_u32 v96, vcc_lo, v104, v96
	v_add_co_ci_u32_e32 v97, vcc_lo, v105, v97, vcc_lo
	v_add_co_u32 v98, vcc_lo, v104, v98
	v_add_co_ci_u32_e32 v99, vcc_lo, v105, v99, vcc_lo
	;; [unrolled: 2-line block ×4, first 2 shown]
	s_clause 0x3
	global_load_b32 v96, v[96:97], off
	global_load_b32 v97, v[98:99], off
	;; [unrolled: 1-line block ×4, first 2 shown]
	v_add_nc_u32_e32 v100, v204, v167
	s_addc_u32 s2, s98, s3
	s_mul_hi_i32 s3, s74, s10
	s_delay_alu instid0(VALU_DEP_1)
	v_add_nc_u32_e32 v101, 0x4400, v100
	s_waitcnt vmcnt(2)
	ds_store_2addr_b32 v101, v96, v97 offset1:144
	v_add_nc_u32_e32 v96, 0x4800, v100
	s_waitcnt vmcnt(0)
	ds_store_2addr_b32 v96, v98, v99 offset0:32 offset1:176
	v_add_co_u32 v96, vcc_lo, s1, v228
	v_add_co_ci_u32_e32 v97, vcc_lo, s2, v229, vcc_lo
	s_delay_alu instid0(VALU_DEP_2) | instskip(NEXT) | instid1(VALU_DEP_2)
	v_add_co_u32 v96, vcc_lo, v96, v246
	v_add_co_ci_u32_e32 v97, vcc_lo, 0, v97, vcc_lo
	v_add_co_u32 v98, vcc_lo, s1, v233
	v_add_co_ci_u32_e32 v99, vcc_lo, s2, v234, vcc_lo
	s_delay_alu instid0(VALU_DEP_2) | instskip(NEXT) | instid1(VALU_DEP_2)
	v_add_co_u32 v100, vcc_lo, v98, v246
	v_add_co_ci_u32_e32 v101, vcc_lo, 0, v99, vcc_lo
	s_clause 0x1
	global_load_b128 v[96:99], v[96:97], off
	global_load_b128 v[100:103], v[100:101], off
	s_waitcnt vmcnt(1)
	ds_store_b128 v208, v[96:99]
	s_waitcnt vmcnt(0)
	ds_store_b128 v194, v[100:103]
	v_add_co_u32 v96, vcc_lo, s1, v236
	v_add_co_ci_u32_e32 v97, vcc_lo, s2, v237, vcc_lo
	v_mov_b32_e32 v236, v199
	s_delay_alu instid0(VALU_DEP_3) | instskip(NEXT) | instid1(VALU_DEP_3)
	v_add_co_u32 v96, vcc_lo, v96, v246
	v_add_co_ci_u32_e32 v97, vcc_lo, 0, v97, vcc_lo
	v_add_co_u32 v98, vcc_lo, s1, v238
	v_add_co_ci_u32_e32 v99, vcc_lo, s2, v239, vcc_lo
	s_delay_alu instid0(VALU_DEP_2) | instskip(NEXT) | instid1(VALU_DEP_2)
	v_add_co_u32 v100, vcc_lo, v98, v246
	v_add_co_ci_u32_e32 v101, vcc_lo, 0, v99, vcc_lo
	s_clause 0x1
	global_load_b128 v[96:99], v[96:97], off
	global_load_b128 v[100:103], v[100:101], off
	s_waitcnt vmcnt(1)
	ds_store_b128 v191, v[96:99]
	s_waitcnt vmcnt(0)
	ds_store_b128 v251, v[100:103]
	v_add_co_u32 v96, vcc_lo, s1, v240
	v_add_co_ci_u32_e32 v97, vcc_lo, s2, v241, vcc_lo
	s_delay_alu instid0(VALU_DEP_2) | instskip(NEXT) | instid1(VALU_DEP_2)
	v_add_co_u32 v96, vcc_lo, v96, v246
	v_add_co_ci_u32_e32 v97, vcc_lo, 0, v97, vcc_lo
	v_add_co_u32 v98, vcc_lo, s1, v242
	v_add_co_ci_u32_e32 v99, vcc_lo, s2, v243, vcc_lo
	s_delay_alu instid0(VALU_DEP_2) | instskip(NEXT) | instid1(VALU_DEP_2)
	v_add_co_u32 v100, vcc_lo, v98, v246
	v_add_co_ci_u32_e32 v101, vcc_lo, 0, v99, vcc_lo
	s_clause 0x1
	global_load_b128 v[96:99], v[96:97], off
	global_load_b128 v[100:103], v[100:101], off
	s_waitcnt vmcnt(1)
	ds_store_b128 v113, v[96:99]
	s_waitcnt vmcnt(0)
	ds_store_b128 v186, v[100:103]
	v_add_co_u32 v96, vcc_lo, s1, v244
	v_add_co_ci_u32_e32 v97, vcc_lo, s2, v245, vcc_lo
	s_delay_alu instid0(VALU_DEP_2) | instskip(NEXT) | instid1(VALU_DEP_2)
	v_add_co_u32 v96, vcc_lo, v96, v246
	v_add_co_ci_u32_e32 v97, vcc_lo, 0, v97, vcc_lo
	v_add_co_u32 v98, vcc_lo, s1, v253
	v_add_co_ci_u32_e32 v99, vcc_lo, s2, v254, vcc_lo
	s_mul_i32 s2, s74, s10
	s_delay_alu instid0(VALU_DEP_2) | instskip(NEXT) | instid1(VALU_DEP_2)
	v_add_co_u32 v100, vcc_lo, v98, v246
	v_add_co_ci_u32_e32 v101, vcc_lo, 0, v99, vcc_lo
	s_clause 0x1
	global_load_b128 v[96:99], v[96:97], off
	global_load_b128 v[100:103], v[100:101], off
	scratch_load_b32 v171, off, off offset:8 ; 4-byte Folded Reload
	s_lshl_b64 s[2:3], s[2:3], 2
	v_mov_b32_e32 v253, v232
	s_add_u32 s1, s95, s2
	s_addc_u32 s2, s96, s3
	v_cmp_eq_u32_e64 s3, 0, v202
	s_add_i32 s14, s14, 1
	s_add_i32 s74, s74, 64
	s_cmp_lt_i32 s14, s54
	s_waitcnt vmcnt(2)
	ds_store_b128 v114, v[96:99]
	s_waitcnt vmcnt(0)
	ds_store_b128 v171, v[100:103]
	s_waitcnt lgkmcnt(0)
	s_waitcnt_vscnt null, 0x0
	s_barrier
	buffer_gl0_inv
	ds_load_b128 v[96:99], v209
	ds_load_b128 v[100:103], v209 offset:16
	ds_load_b128 v[104:107], v209 offset:4352
	ds_load_b128 v[108:111], v209 offset:4368
	ds_load_b128 v[115:118], v209 offset:8704
	ds_load_b128 v[119:122], v209 offset:8720
	ds_load_b128 v[123:126], v209 offset:13056
	ds_load_b128 v[127:130], v209 offset:13072
	s_waitcnt lgkmcnt(6)
	v_wmma_f32_16x16x16_f16 v[139:146], v[96:103], v[88:95], v[131:138]
	ds_load_b128 v[96:99], v209 offset:32
	ds_load_b128 v[100:103], v209 offset:48
	s_waitcnt lgkmcnt(6)
	v_wmma_f32_16x16x16_f16 v[155:162], v[104:111], v[88:95], v[131:138]
	s_waitcnt lgkmcnt(4)
	v_wmma_f32_16x16x16_f16 v[104:111], v[115:122], v[88:95], v[131:138]
	;; [unrolled: 2-line block ×4, first 2 shown]
	ds_load_b128 v[96:99], v209 offset:4384
	ds_load_b128 v[100:103], v209 offset:4400
	s_waitcnt lgkmcnt(0)
	v_wmma_f32_16x16x16_f16 v[155:162], v[96:103], v[80:87], v[155:162]
	ds_load_b128 v[96:99], v209 offset:8736
	ds_load_b128 v[100:103], v209 offset:8752
	s_waitcnt lgkmcnt(0)
	v_wmma_f32_16x16x16_f16 v[104:111], v[96:103], v[80:87], v[104:111]
	;; [unrolled: 4-line block ×26, first 2 shown]
	ds_load_b128 v[96:99], v209 offset:13280
	ds_load_b128 v[100:103], v209 offset:13296
	s_waitcnt lgkmcnt(0)
	s_barrier
	buffer_gl0_inv
	v_wmma_f32_16x16x16_f16 v[163:170], v[96:103], v[40:47], v[163:170]
	ds_load_u16 v96, v213
	ds_load_u16 v97, v213 offset:4
	ds_load_u16 v98, v213 offset:8
	;; [unrolled: 1-line block ×7, first 2 shown]
	s_waitcnt lgkmcnt(7)
	v_cvt_f32_f16_e32 v96, v96
	s_waitcnt lgkmcnt(6)
	v_cvt_f32_f16_e32 v97, v97
	;; [unrolled: 2-line block ×5, first 2 shown]
	v_dual_add_f32 v117, v139, v96 :: v_dual_add_f32 v118, v140, v97
	ds_load_u16 v96, v213 offset:32
	ds_load_u16 v97, v213 offset:36
	;; [unrolled: 1-line block ×8, first 2 shown]
	v_add_f32_e32 v99, v142, v99
	s_waitcnt lgkmcnt(9)
	v_cvt_f32_f16_e32 v102, v102
	v_cvt_f32_f16_e32 v101, v101
	v_add_f32_e32 v98, v141, v98
	s_waitcnt lgkmcnt(8)
	v_cvt_f32_f16_e32 v103, v103
	v_dual_add_f32 v100, v143, v100 :: v_dual_add_nc_u32 v141, 0x800, v214
	v_dual_add_f32 v101, v144, v101 :: v_dual_add_nc_u32 v142, 0xc00, v214
	s_delay_alu instid0(VALU_DEP_3)
	v_add_f32_e32 v103, v146, v103
	s_waitcnt lgkmcnt(7)
	v_cvt_f32_f16_e32 v96, v96
	s_waitcnt lgkmcnt(6)
	v_cvt_f32_f16_e32 v97, v97
	;; [unrolled: 2-line block ×8, first 2 shown]
	v_dual_add_f32 v102, v145, v102 :: v_dual_add_f32 v139, v156, v97
	v_add_f32_e32 v138, v155, v96
	v_dual_add_f32 v137, v157, v112 :: v_dual_add_f32 v136, v158, v115
	v_dual_add_f32 v135, v159, v116 :: v_dual_add_f32 v134, v160, v119
	;; [unrolled: 1-line block ×3, first 2 shown]
	ds_load_u16 v96, v213 offset:64
	ds_load_u16 v97, v213 offset:68
	;; [unrolled: 1-line block ×8, first 2 shown]
	s_waitcnt lgkmcnt(7)
	v_cvt_f32_f16_e32 v96, v96
	s_waitcnt lgkmcnt(6)
	v_cvt_f32_f16_e32 v97, v97
	;; [unrolled: 2-line block ×8, first 2 shown]
	v_dual_add_f32 v127, v104, v96 :: v_dual_add_f32 v128, v105, v97
	v_add_f32_e32 v125, v106, v112
	v_add_f32_e32 v123, v107, v115
	;; [unrolled: 1-line block ×4, first 2 shown]
	ds_load_u16 v96, v213 offset:96
	ds_load_u16 v97, v213 offset:100
	;; [unrolled: 1-line block ×8, first 2 shown]
	v_add_f32_e32 v116, v110, v120
	s_waitcnt lgkmcnt(7)
	v_cvt_f32_f16_e32 v96, v96
	s_waitcnt lgkmcnt(6)
	v_cvt_f32_f16_e32 v97, v97
	;; [unrolled: 2-line block ×4, first 2 shown]
	v_add_f32_e32 v115, v111, v122
	s_waitcnt lgkmcnt(3)
	v_cvt_f32_f16_e32 v106, v106
	v_add_f32_e32 v205, v164, v97
	s_waitcnt lgkmcnt(0)
	v_cvt_f32_f16_e32 v109, v109
	v_add_f32_e32 v203, v163, v96
	v_add_co_u32 v96, vcc_lo, s1, v197
	v_add_co_ci_u32_e32 v97, vcc_lo, s2, v198, vcc_lo
	s_delay_alu instid0(VALU_DEP_4) | instskip(NEXT) | instid1(VALU_DEP_3)
	v_add_f32_e32 v112, v170, v109
	v_add_co_u32 v96, vcc_lo, v96, v246
	s_delay_alu instid0(VALU_DEP_3)
	v_add_co_ci_u32_e32 v97, vcc_lo, 0, v97, vcc_lo
	v_cvt_f32_f16_e32 v108, v108
	v_add_f32_e32 v200, v165, v104
	v_add_co_u32 v104, vcc_lo, s1, v206
	v_add_f32_e32 v196, v166, v105
	v_add_co_ci_u32_e32 v105, vcc_lo, s2, v207, vcc_lo
	v_add_f32_e32 v183, v169, v108
	s_delay_alu instid0(VALU_DEP_4) | instskip(SKIP_1) | instid1(VALU_DEP_4)
	v_add_co_u32 v108, vcc_lo, v104, v246
	v_cvt_f32_f16_e32 v107, v107
	v_add_co_ci_u32_e32 v109, vcc_lo, 0, v105, vcc_lo
	v_add_f32_e32 v195, v167, v106
	s_delay_alu instid0(VALU_DEP_3)
	v_add_f32_e32 v193, v168, v107
	s_clause 0x1
	global_load_b128 v[104:107], v[96:97], off
	global_load_b128 v[108:111], v[108:109], off
	v_add_co_u32 v96, vcc_lo, s1, v210
	v_add_co_ci_u32_e32 v97, vcc_lo, s2, v211, vcc_lo
	s_waitcnt vmcnt(1)
	ds_store_b128 v208, v[104:107]
	s_waitcnt vmcnt(0)
	ds_store_b128 v194, v[108:111]
	v_add_co_u32 v96, vcc_lo, v96, v246
	v_add_co_ci_u32_e32 v97, vcc_lo, 0, v97, vcc_lo
	v_add_co_u32 v104, vcc_lo, s1, v217
	v_add_co_ci_u32_e32 v105, vcc_lo, s2, v218, vcc_lo
	s_delay_alu instid0(VALU_DEP_2) | instskip(NEXT) | instid1(VALU_DEP_2)
	v_add_co_u32 v108, vcc_lo, v104, v246
	v_add_co_ci_u32_e32 v109, vcc_lo, 0, v105, vcc_lo
	s_clause 0x1
	global_load_b128 v[104:107], v[96:97], off
	global_load_b128 v[108:111], v[108:109], off
	v_add_co_u32 v96, vcc_lo, s1, v219
	v_add_co_ci_u32_e32 v97, vcc_lo, s2, v220, vcc_lo
	s_waitcnt vmcnt(1)
	ds_store_b128 v191, v[104:107]
	s_waitcnt vmcnt(0)
	ds_store_b128 v251, v[108:111]
	v_add_co_u32 v96, vcc_lo, v96, v246
	v_add_co_ci_u32_e32 v97, vcc_lo, 0, v97, vcc_lo
	v_add_co_u32 v104, vcc_lo, s1, v221
	v_add_co_ci_u32_e32 v105, vcc_lo, s2, v222, vcc_lo
	v_mov_b32_e32 v191, v194
	s_delay_alu instid0(VALU_DEP_3) | instskip(NEXT) | instid1(VALU_DEP_3)
	v_add_co_u32 v108, vcc_lo, v104, v246
	v_add_co_ci_u32_e32 v109, vcc_lo, 0, v105, vcc_lo
	s_clause 0x1
	global_load_b128 v[104:107], v[96:97], off
	global_load_b128 v[108:111], v[108:109], off
	v_add_co_u32 v96, vcc_lo, s1, v223
	v_add_co_ci_u32_e32 v97, vcc_lo, s2, v224, vcc_lo
	s_waitcnt vmcnt(1)
	ds_store_b128 v113, v[104:107]
	s_waitcnt vmcnt(0)
	ds_store_b128 v186, v[108:111]
	v_add_co_u32 v96, vcc_lo, v96, v246
	v_add_co_ci_u32_e32 v97, vcc_lo, 0, v97, vcc_lo
	v_add_co_u32 v104, vcc_lo, s1, v225
	v_add_co_ci_u32_e32 v105, vcc_lo, s2, v226, vcc_lo
	v_mov_b32_e32 v186, v184
	s_delay_alu instid0(VALU_DEP_3) | instskip(NEXT) | instid1(VALU_DEP_3)
	v_add_co_u32 v108, vcc_lo, v104, v246
	v_add_co_ci_u32_e32 v109, vcc_lo, 0, v105, vcc_lo
	s_clause 0x1
	global_load_b128 v[104:107], v[96:97], off
	global_load_b128 v[108:111], v[108:109], off
	s_waitcnt vmcnt(1)
	ds_store_b128 v114, v[104:107]
	s_waitcnt vmcnt(0)
	ds_store_b128 v171, v[108:111]
	v_mov_b32_e32 v104, v190
	v_dual_add_f32 v96, 0x40051340, v117 :: v_dual_add_f32 v97, 0x40051340, v118
	v_dual_add_f32 v105, 0x40051340, v99 :: v_dual_mov_b32 v184, v235
	v_dual_mov_b32 v194, v249 :: v_dual_mov_b32 v113, v250
	s_delay_alu instid0(VALU_DEP_3)
	v_max3_f32 v96, v104, v96, v97
	v_add_f32_e32 v97, 0x40051340, v98
	v_cmp_eq_u32_e64 s2, 1, v202
	s_waitcnt lgkmcnt(0)
	s_barrier
	buffer_gl0_inv
	v_max3_f32 v96, v96, v97, v105
	v_add_f32_e32 v97, 0x40051340, v100
	v_add_f32_e32 v105, 0x40051340, v101
	ds_load_2addr_b32 v[165:166], v214 offset1:16
	ds_load_2addr_b32 v[167:168], v214 offset0:68 offset1:84
	ds_load_2addr_b32 v[169:170], v214 offset0:136 offset1:152
	;; [unrolled: 1-line block ×3, first 2 shown]
	v_max3_f32 v96, v96, v97, v105
	v_add_f32_e32 v97, 0x40051340, v102
	v_add_f32_e32 v105, 0x40051340, v103
	s_delay_alu instid0(VALU_DEP_1) | instskip(SKIP_2) | instid1(VALU_DEP_1)
	v_max3_f32 v96, v96, v97, v105
	v_add_f32_e32 v97, 0x40051340, v138
	v_add_f32_e32 v105, 0x40051340, v139
	v_max3_f32 v96, v96, v97, v105
	v_add_f32_e32 v97, 0x40051340, v137
	v_add_f32_e32 v105, 0x40051340, v136
	s_waitcnt lgkmcnt(2)
	v_perm_b32 v240, v167, v165, 0x5040100
	s_waitcnt lgkmcnt(0)
	v_perm_b32 v241, v171, v169, 0x5040100
	v_max3_f32 v96, v96, v97, v105
	v_add_f32_e32 v97, 0x40051340, v135
	v_add_f32_e32 v105, 0x40051340, v134
	s_delay_alu instid0(VALU_DEP_1) | instskip(SKIP_2) | instid1(VALU_DEP_1)
	v_max3_f32 v96, v96, v97, v105
	v_add_f32_e32 v97, 0x40051340, v133
	v_add_f32_e32 v105, 0x40051340, v132
	v_max3_f32 v96, v96, v97, v105
	v_add_f32_e32 v97, 0x40051340, v127
	v_add_f32_e32 v105, 0x40051340, v128
	s_delay_alu instid0(VALU_DEP_1) | instskip(SKIP_2) | instid1(VALU_DEP_1)
	v_max3_f32 v96, v96, v97, v105
	v_add_f32_e32 v97, 0x40051340, v125
	v_add_f32_e32 v105, 0x40051340, v123
	;; [unrolled: 7-line block ×5, first 2 shown]
	v_max3_f32 v96, v96, v97, v105
	ds_bpermute_b32 v97, v192, v96
	s_waitcnt lgkmcnt(0)
	v_max_f32_e32 v97, v97, v97
	s_delay_alu instid0(VALU_DEP_1) | instskip(NEXT) | instid1(VALU_DEP_1)
	v_max_f32_e32 v190, v96, v97
	v_sub_f32_e32 v96, v118, v190
	v_sub_f32_e32 v99, v99, v190
	;; [unrolled: 1-line block ×4, first 2 shown]
	s_delay_alu instid0(VALU_DEP_4)
	v_dual_sub_f32 v104, v104, v190 :: v_dual_mul_f32 v97, 0x3fb8aa3b, v96
	v_cmp_ngt_f32_e32 vcc_lo, 0xc2ce8ed0, v96
	v_sub_f32_e32 v121, v121, v190
	v_sub_f32_e32 v103, v103, v190
	;; [unrolled: 1-line block ×3, first 2 shown]
	v_fma_f32 v105, 0x3fb8aa3b, v96, -v97
	v_rndne_f32_e32 v106, v97
	v_sub_f32_e32 v98, v98, v190
	v_sub_f32_e32 v127, v127, v190
	s_delay_alu instid0(VALU_DEP_4) | instskip(NEXT) | instid1(VALU_DEP_4)
	v_dual_sub_f32 v116, v116, v190 :: v_dual_fmac_f32 v105, 0x32a5705f, v96
	v_sub_f32_e32 v97, v97, v106
	v_cvt_i32_f32_e32 v106, v106
	v_cmp_ngt_f32_e64 s4, 0xc2ce8ed0, v98
	s_delay_alu instid0(VALU_DEP_3) | instskip(NEXT) | instid1(VALU_DEP_1)
	v_dual_sub_f32 v112, v112, v190 :: v_dual_add_f32 v97, v97, v105
	v_exp_f32_e32 v97, v97
	s_waitcnt_depctr 0xfff
	v_ldexp_f32 v97, v97, v106
	s_delay_alu instid0(VALU_DEP_1) | instskip(SKIP_1) | instid1(VALU_DEP_2)
	v_cndmask_b32_e32 v97, 0, v97, vcc_lo
	v_cmp_nlt_f32_e32 vcc_lo, 0x42b17218, v96
	v_dual_sub_f32 v105, v117, v190 :: v_dual_cndmask_b32 v118, 0x7f800000, v97
	s_delay_alu instid0(VALU_DEP_1)
	v_mul_f32_e32 v107, 0x3fb8aa3b, v105
	v_cmp_ngt_f32_e64 s1, 0xc2ce8ed0, v105
	v_cmp_eq_u32_e32 vcc_lo, 1, v249
	v_add_nc_u32_e32 v229, 0x1000, v214
	v_mov_b32_e32 v237, v185
	v_fma_f32 v108, 0x3fb8aa3b, v105, -v107
	v_rndne_f32_e32 v109, v107
	s_delay_alu instid0(VALU_DEP_2) | instskip(NEXT) | instid1(VALU_DEP_2)
	v_fmac_f32_e32 v108, 0x32a5705f, v105
	v_sub_f32_e32 v107, v107, v109
	v_cvt_i32_f32_e32 v106, v109
	s_delay_alu instid0(VALU_DEP_2) | instskip(NEXT) | instid1(VALU_DEP_1)
	v_add_f32_e32 v107, v107, v108
	v_exp_f32_e32 v107, v107
	s_waitcnt_depctr 0xfff
	v_ldexp_f32 v106, v107, v106
	s_delay_alu instid0(VALU_DEP_1)
	v_cndmask_b32_e64 v96, 0, v106, s1
	v_cmp_nlt_f32_e64 s1, 0x42b17218, v105
	ds_bpermute_b32 v105, v192, v118
	v_cndmask_b32_e64 v117, 0x7f800000, v96, s1
	v_cmp_eq_u32_e64 s1, 0, v249
	v_mov_b32_e32 v249, v230
	v_mov_b32_e32 v189, v231
	ds_bpermute_b32 v96, v192, v117
	s_waitcnt lgkmcnt(0)
	v_cndmask_b32_e32 v97, v117, v96, vcc_lo
	v_cndmask_b32_e64 v96, v117, v96, s1
	s_delay_alu instid0(VALU_DEP_2) | instskip(NEXT) | instid1(VALU_DEP_2)
	v_cndmask_b32_e64 v107, v97, v118, s2
	v_cndmask_b32_e64 v106, v96, v118, s3
	v_cvt_f16_f32_e32 v96, v96
	v_cvt_f16_f32_e32 v97, v97
	s_delay_alu instid0(VALU_DEP_3) | instskip(SKIP_1) | instid1(VALU_DEP_3)
	v_cndmask_b32_e64 v106, v106, v105, s1
	v_cndmask_b32_e32 v105, v107, v105, vcc_lo
	v_pack_b32_f16 v96, v96, v97
	s_delay_alu instid0(VALU_DEP_3) | instskip(NEXT) | instid1(VALU_DEP_3)
	v_cvt_f16_f32_e32 v107, v106
	v_cvt_f16_f32_e32 v108, v105
	s_delay_alu instid0(VALU_DEP_1) | instskip(SKIP_1) | instid1(VALU_DEP_1)
	v_pack_b32_f16 v97, v107, v108
	v_mul_f32_e32 v107, 0x3fb8aa3b, v98
	v_fma_f32 v108, 0x3fb8aa3b, v98, -v107
	v_rndne_f32_e32 v109, v107
	s_delay_alu instid0(VALU_DEP_1) | instskip(NEXT) | instid1(VALU_DEP_1)
	v_dual_fmac_f32 v108, 0x32a5705f, v98 :: v_dual_sub_f32 v107, v107, v109
	v_add_f32_e32 v107, v107, v108
	v_cvt_i32_f32_e32 v108, v109
	s_delay_alu instid0(VALU_DEP_2) | instskip(SKIP_2) | instid1(VALU_DEP_1)
	v_exp_f32_e32 v107, v107
	s_waitcnt_depctr 0xfff
	v_ldexp_f32 v107, v107, v108
	v_cndmask_b32_e64 v107, 0, v107, s4
	v_cmp_nlt_f32_e64 s4, 0x42b17218, v98
	s_delay_alu instid0(VALU_DEP_1) | instskip(SKIP_1) | instid1(VALU_DEP_2)
	v_cndmask_b32_e64 v120, 0x7f800000, v107, s4
	v_cmp_ngt_f32_e64 s4, 0xc2ce8ed0, v99
	v_cndmask_b32_e64 v98, v105, v120, s2
	v_cndmask_b32_e64 v105, v106, v120, s3
	ds_bpermute_b32 v106, v192, v120
	s_waitcnt lgkmcnt(0)
	v_cndmask_b32_e64 v105, v105, v106, s1
	v_cndmask_b32_e32 v106, v98, v106, vcc_lo
	s_delay_alu instid0(VALU_DEP_2) | instskip(NEXT) | instid1(VALU_DEP_2)
	v_cvt_f16_f32_e32 v98, v105
	v_cvt_f16_f32_e32 v107, v106
	s_delay_alu instid0(VALU_DEP_1) | instskip(SKIP_1) | instid1(VALU_DEP_1)
	v_pack_b32_f16 v98, v98, v107
	v_mul_f32_e32 v107, 0x3fb8aa3b, v99
	v_fma_f32 v108, 0x3fb8aa3b, v99, -v107
	v_rndne_f32_e32 v109, v107
	s_delay_alu instid0(VALU_DEP_1) | instskip(NEXT) | instid1(VALU_DEP_1)
	v_dual_fmac_f32 v108, 0x32a5705f, v99 :: v_dual_sub_f32 v107, v107, v109
	v_add_f32_e32 v107, v107, v108
	v_cvt_i32_f32_e32 v108, v109
	s_delay_alu instid0(VALU_DEP_2) | instskip(SKIP_2) | instid1(VALU_DEP_1)
	v_exp_f32_e32 v107, v107
	s_waitcnt_depctr 0xfff
	v_ldexp_f32 v107, v107, v108
	v_cndmask_b32_e64 v107, 0, v107, s4
	v_cmp_nlt_f32_e64 s4, 0x42b17218, v99
	s_delay_alu instid0(VALU_DEP_1) | instskip(SKIP_1) | instid1(VALU_DEP_2)
	v_cndmask_b32_e64 v122, 0x7f800000, v107, s4
	v_cmp_ngt_f32_e64 s4, 0xc2ce8ed0, v100
	v_cndmask_b32_e64 v99, v106, v122, s2
	ds_bpermute_b32 v106, v192, v122
	v_cndmask_b32_e64 v105, v105, v122, s3
	s_waitcnt lgkmcnt(0)
	s_delay_alu instid0(VALU_DEP_1) | instskip(SKIP_1) | instid1(VALU_DEP_2)
	v_cndmask_b32_e64 v105, v105, v106, s1
	v_cndmask_b32_e32 v106, v99, v106, vcc_lo
	v_cvt_f16_f32_e32 v99, v105
	s_delay_alu instid0(VALU_DEP_2) | instskip(NEXT) | instid1(VALU_DEP_1)
	v_cvt_f16_f32_e32 v107, v106
	v_pack_b32_f16 v99, v99, v107
	v_mul_f32_e32 v107, 0x3fb8aa3b, v100
	s_delay_alu instid0(VALU_DEP_1) | instskip(SKIP_1) | instid1(VALU_DEP_1)
	v_fma_f32 v108, 0x3fb8aa3b, v100, -v107
	v_rndne_f32_e32 v109, v107
	v_dual_fmac_f32 v108, 0x32a5705f, v100 :: v_dual_sub_f32 v107, v107, v109
	s_delay_alu instid0(VALU_DEP_1) | instskip(SKIP_1) | instid1(VALU_DEP_2)
	v_add_f32_e32 v107, v107, v108
	v_cvt_i32_f32_e32 v108, v109
	v_exp_f32_e32 v107, v107
	s_waitcnt_depctr 0xfff
	v_ldexp_f32 v107, v107, v108
	s_delay_alu instid0(VALU_DEP_1) | instskip(SKIP_1) | instid1(VALU_DEP_1)
	v_cndmask_b32_e64 v107, 0, v107, s4
	v_cmp_nlt_f32_e64 s4, 0x42b17218, v100
	v_cndmask_b32_e64 v124, 0x7f800000, v107, s4
	v_cmp_ngt_f32_e64 s4, 0xc2ce8ed0, v101
	s_delay_alu instid0(VALU_DEP_2) | instskip(SKIP_3) | instid1(VALU_DEP_1)
	v_cndmask_b32_e64 v100, v106, v124, s2
	ds_bpermute_b32 v106, v192, v124
	v_cndmask_b32_e64 v105, v105, v124, s3
	s_waitcnt lgkmcnt(0)
	v_cndmask_b32_e64 v105, v105, v106, s1
	v_cndmask_b32_e32 v106, v100, v106, vcc_lo
	s_delay_alu instid0(VALU_DEP_2) | instskip(NEXT) | instid1(VALU_DEP_2)
	v_cvt_f16_f32_e32 v100, v105
	v_cvt_f16_f32_e32 v107, v106
	s_delay_alu instid0(VALU_DEP_1) | instskip(SKIP_1) | instid1(VALU_DEP_1)
	v_pack_b32_f16 v100, v100, v107
	v_mul_f32_e32 v107, 0x3fb8aa3b, v101
	v_fma_f32 v108, 0x3fb8aa3b, v101, -v107
	v_rndne_f32_e32 v109, v107
	s_delay_alu instid0(VALU_DEP_2) | instskip(NEXT) | instid1(VALU_DEP_2)
	v_fmac_f32_e32 v108, 0x32a5705f, v101
	v_sub_f32_e32 v107, v107, v109
	s_delay_alu instid0(VALU_DEP_1) | instskip(SKIP_1) | instid1(VALU_DEP_2)
	v_add_f32_e32 v107, v107, v108
	v_cvt_i32_f32_e32 v108, v109
	v_exp_f32_e32 v107, v107
	s_waitcnt_depctr 0xfff
	v_ldexp_f32 v107, v107, v108
	s_delay_alu instid0(VALU_DEP_1) | instskip(SKIP_1) | instid1(VALU_DEP_1)
	v_cndmask_b32_e64 v107, 0, v107, s4
	v_cmp_nlt_f32_e64 s4, 0x42b17218, v101
	v_cndmask_b32_e64 v126, 0x7f800000, v107, s4
	v_cmp_ngt_f32_e64 s4, 0xc2ce8ed0, v102
	s_delay_alu instid0(VALU_DEP_2) | instskip(SKIP_3) | instid1(VALU_DEP_1)
	v_cndmask_b32_e64 v101, v106, v126, s2
	ds_bpermute_b32 v106, v192, v126
	v_cndmask_b32_e64 v105, v105, v126, s3
	s_waitcnt lgkmcnt(0)
	v_cndmask_b32_e64 v105, v105, v106, s1
	v_cndmask_b32_e32 v106, v101, v106, vcc_lo
	s_delay_alu instid0(VALU_DEP_2) | instskip(NEXT) | instid1(VALU_DEP_2)
	v_cvt_f16_f32_e32 v101, v105
	v_cvt_f16_f32_e32 v107, v106
	s_delay_alu instid0(VALU_DEP_1) | instskip(SKIP_1) | instid1(VALU_DEP_1)
	v_pack_b32_f16 v101, v101, v107
	v_mul_f32_e32 v107, 0x3fb8aa3b, v102
	v_fma_f32 v108, 0x3fb8aa3b, v102, -v107
	v_rndne_f32_e32 v109, v107
	s_delay_alu instid0(VALU_DEP_1) | instskip(NEXT) | instid1(VALU_DEP_1)
	v_dual_fmac_f32 v108, 0x32a5705f, v102 :: v_dual_sub_f32 v107, v107, v109
	v_add_f32_e32 v107, v107, v108
	v_cvt_i32_f32_e32 v108, v109
	s_delay_alu instid0(VALU_DEP_2) | instskip(SKIP_2) | instid1(VALU_DEP_1)
	v_exp_f32_e32 v107, v107
	s_waitcnt_depctr 0xfff
	v_ldexp_f32 v107, v107, v108
	v_cndmask_b32_e64 v107, 0, v107, s4
	v_cmp_nlt_f32_e64 s4, 0x42b17218, v102
	s_delay_alu instid0(VALU_DEP_1) | instskip(SKIP_1) | instid1(VALU_DEP_2)
	v_cndmask_b32_e64 v129, 0x7f800000, v107, s4
	v_cmp_ngt_f32_e64 s4, 0xc2ce8ed0, v103
	v_cndmask_b32_e64 v102, v106, v129, s2
	ds_bpermute_b32 v106, v192, v129
	v_cndmask_b32_e64 v105, v105, v129, s3
	s_waitcnt lgkmcnt(0)
	s_delay_alu instid0(VALU_DEP_1) | instskip(SKIP_1) | instid1(VALU_DEP_2)
	v_cndmask_b32_e64 v105, v105, v106, s1
	v_cndmask_b32_e32 v106, v102, v106, vcc_lo
	v_cvt_f16_f32_e32 v102, v105
	s_delay_alu instid0(VALU_DEP_2) | instskip(NEXT) | instid1(VALU_DEP_1)
	v_cvt_f16_f32_e32 v107, v106
	v_pack_b32_f16 v102, v102, v107
	v_mul_f32_e32 v107, 0x3fb8aa3b, v103
	s_delay_alu instid0(VALU_DEP_1) | instskip(SKIP_1) | instid1(VALU_DEP_1)
	v_fma_f32 v108, 0x3fb8aa3b, v103, -v107
	v_rndne_f32_e32 v109, v107
	v_dual_fmac_f32 v108, 0x32a5705f, v103 :: v_dual_sub_f32 v107, v107, v109
	s_delay_alu instid0(VALU_DEP_1) | instskip(SKIP_1) | instid1(VALU_DEP_2)
	v_add_f32_e32 v107, v107, v108
	v_cvt_i32_f32_e32 v108, v109
	v_exp_f32_e32 v107, v107
	s_waitcnt_depctr 0xfff
	v_ldexp_f32 v107, v107, v108
	s_delay_alu instid0(VALU_DEP_1) | instskip(SKIP_1) | instid1(VALU_DEP_1)
	v_cndmask_b32_e64 v107, 0, v107, s4
	v_cmp_nlt_f32_e64 s4, 0x42b17218, v103
	v_cndmask_b32_e64 v130, 0x7f800000, v107, s4
	v_cmp_ngt_f32_e64 s4, 0xc2ce8ed0, v104
	s_delay_alu instid0(VALU_DEP_2)
	v_cndmask_b32_e64 v103, v105, v130, s3
	v_cndmask_b32_e64 v105, v106, v130, s2
	ds_bpermute_b32 v106, v192, v130
	s_waitcnt lgkmcnt(0)
	v_cndmask_b32_e64 v103, v103, v106, s1
	v_cndmask_b32_e32 v105, v105, v106, vcc_lo
	s_delay_alu instid0(VALU_DEP_2) | instskip(NEXT) | instid1(VALU_DEP_2)
	v_cvt_f16_f32_e32 v103, v103
	v_cvt_f16_f32_e32 v105, v105
	s_delay_alu instid0(VALU_DEP_1) | instskip(SKIP_1) | instid1(VALU_DEP_1)
	v_pack_b32_f16 v103, v103, v105
	v_mul_f32_e32 v105, 0x3fb8aa3b, v104
	v_fma_f32 v106, 0x3fb8aa3b, v104, -v105
	v_rndne_f32_e32 v107, v105
	s_delay_alu instid0(VALU_DEP_1) | instskip(NEXT) | instid1(VALU_DEP_1)
	v_dual_fmac_f32 v106, 0x32a5705f, v104 :: v_dual_sub_f32 v105, v105, v107
	v_add_f32_e32 v105, v105, v106
	v_cvt_i32_f32_e32 v106, v107
	v_add_nc_u32_e32 v107, 0x400, v214
	s_delay_alu instid0(VALU_DEP_3)
	v_exp_f32_e32 v105, v105
	ds_load_2addr_b32 v[179:180], v107 offset0:16 offset1:84
	ds_load_2addr_b32 v[155:156], v107 offset0:132 offset1:152
	;; [unrolled: 1-line block ×10, first 2 shown]
	ds_load_b32 v143, v212 offset:2176
	ds_load_b32 v144, v212 offset:3264
	;; [unrolled: 1-line block ×7, first 2 shown]
	ds_load_2addr_b32 v[207:208], v107 offset0:100 offset1:116
	ds_load_2addr_b32 v[210:211], v107 offset0:168 offset1:184
	;; [unrolled: 1-line block ×3, first 2 shown]
	v_ldexp_f32 v105, v105, v106
	ds_load_2addr_b32 v[217:218], v142 offset0:132 offset1:148
	ds_load_2addr_b32 v[219:220], v142 offset0:200 offset1:216
	;; [unrolled: 1-line block ×7, first 2 shown]
	v_cndmask_b32_e64 v105, 0, v105, s4
	v_cmp_nlt_f32_e64 s4, 0x42b17218, v104
	s_delay_alu instid0(VALU_DEP_1)
	v_cndmask_b32_e64 v105, 0x7f800000, v105, s4
	v_cmp_le_f32_e64 s4, 0xc1a00000, v104
	v_perm_b32 v104, v168, v166, 0x5040100
	s_waitcnt lgkmcnt(16)
	v_perm_b32 v108, v174, v143, 0x5040100
	v_perm_b32 v109, v178, v176, 0x5040100
	;; [unrolled: 1-line block ×3, first 2 shown]
	v_cndmask_b32_e64 v131, 0, v105, s4
	v_perm_b32 v105, v172, v170, 0x5040100
	s_waitcnt lgkmcnt(9)
	v_perm_b32 v106, v207, v202, 0x5040100
	s_waitcnt lgkmcnt(7)
	;; [unrolled: 2-line block ×3, first 2 shown]
	v_perm_b32 v110, v217, v144, 0x5040100
	v_cvt_f16_f32_e64 v140, v131
	s_waitcnt lgkmcnt(4)
	v_perm_b32 v111, v221, v219, 0x5040100
	v_perm_b32 v243, v158, v156, 0x5040100
	;; [unrolled: 1-line block ×4, first 2 shown]
	v_pk_mul_f16 v16, v140, v16 op_sel_hi:[0,1]
	v_pk_mul_f16 v17, v140, v17 op_sel_hi:[0,1]
	;; [unrolled: 1-line block ×12, first 2 shown]
	v_wmma_f16_16x16x16_f16 v[16:23], v[104:111], v[96:103], v[16:23]
	ds_load_b32 v107, v199 offset:1088
	ds_load_b32 v111, v199 offset:2176
	;; [unrolled: 1-line block ×3, first 2 shown]
	ds_load_2addr_b32 v[238:239], v141 offset0:132 offset1:148
	ds_load_2addr_b32 v[197:198], v141 offset0:200 offset1:216
	;; [unrolled: 1-line block ×3, first 2 shown]
	v_pk_mul_f16 v28, v140, v28 op_sel_hi:[0,1]
	v_pk_mul_f16 v29, v140, v29 op_sel_hi:[0,1]
	;; [unrolled: 1-line block ×12, first 2 shown]
	v_mov_b32_e32 v235, v252
	ds_load_b32 v252, v199 offset:3264
	ds_load_b32 v254, v201 offset:1088
	;; [unrolled: 1-line block ×8, first 2 shown]
	v_pk_mul_f16 v0, v140, v0 op_sel_hi:[0,1]
	v_pk_mul_f16 v1, v140, v1 op_sel_hi:[0,1]
	;; [unrolled: 1-line block ×8, first 2 shown]
	ds_load_b32 v140, v231 offset:1088
	ds_load_b32 v248, v231 offset:2176
	;; [unrolled: 1-line block ×4, first 2 shown]
	v_mov_b32_e32 v185, v201
	ds_load_b32 v201, v232 offset:2176
	ds_load_b32 v232, v232 offset:3264
	;; [unrolled: 1-line block ×3, first 2 shown]
	ds_load_2addr_b32 v[230:231], v229 offset0:44 offset1:64
	v_perm_b32 v246, v182, v181, 0x5040100
	v_perm_b32 v247, v164, v162, 0x5040100
	s_delay_alu instid0(VALU_DEP_1)
	v_wmma_f16_16x16x16_f16 v[24:31], v[240:247], v[96:103], v[24:31]
	s_waitcnt lgkmcnt(24)
	v_perm_b32 v240, v225, v223, 0x5040100
	s_waitcnt lgkmcnt(22)
	v_perm_b32 v241, v233, v227, 0x5040100
	;; [unrolled: 2-line block ×3, first 2 shown]
	v_perm_b32 v243, v216, v211, 0x5040100
	s_waitcnt lgkmcnt(18)
	v_perm_b32 v244, v238, v111, 0x5040100
	s_waitcnt lgkmcnt(16)
	;; [unrolled: 2-line block ×3, first 2 shown]
	v_perm_b32 v246, v218, v252, 0x5040100
	v_perm_b32 v247, v222, v220, 0x5040100
	s_delay_alu instid0(VALU_DEP_1)
	v_wmma_f16_16x16x16_f16 v[8:15], v[240:247], v[96:103], v[8:15]
	v_perm_b32 v240, v226, v224, 0x5040100
	v_perm_b32 v241, v234, v228, 0x5040100
	s_waitcnt lgkmcnt(7)
	v_perm_b32 v242, v155, v140, 0x5040100
	v_perm_b32 v243, v159, v157, 0x5040100
	s_waitcnt lgkmcnt(6)
	;; [unrolled: 3-line block ×3, first 2 shown]
	v_perm_b32 v246, v161, v199, 0x5040100
	s_waitcnt lgkmcnt(0)
	v_perm_b32 v247, v230, v163, 0x5040100
	s_delay_alu instid0(VALU_DEP_1)
	v_wmma_f16_16x16x16_f16 v[0:7], v[240:247], v[96:103], v[0:7]
	v_perm_b32 v240, v167, v165, 0x7060302
	v_perm_b32 v241, v171, v169, 0x7060302
	;; [unrolled: 1-line block ×15, first 2 shown]
	v_wmma_f16_16x16x16_f16 v[16:23], v[164:171], v[96:103], v[16:23] op_sel:[0,0,1]
	v_perm_b32 v167, v216, v211, 0x7060302
	v_perm_b32 v171, v222, v220, 0x7060302
	;; [unrolled: 1-line block ×9, first 2 shown]
	v_dual_mov_b32 v252, v235 :: v_dual_mov_b32 v235, v184
	v_mov_b32_e32 v184, v186
	s_delay_alu instid0(VALU_DEP_4)
	v_wmma_f16_16x16x16_f16 v[8:15], v[164:171], v[96:103], v[8:15] op_sel:[0,0,1]
	v_perm_b32 v164, v226, v224, 0x7060302
	v_perm_b32 v165, v234, v228, 0x7060302
	;; [unrolled: 1-line block ×8, first 2 shown]
	v_wmma_f16_16x16x16_f16 v[24:31], v[240:247], v[96:103], v[24:31] op_sel:[0,0,1]
	s_clause 0x1
	scratch_load_b32 v186, off, off offset:12
	scratch_load_b32 v248, off, off offset:92
	v_add_nc_u32_e32 v144, 0x1400, v214
	v_wmma_f16_16x16x16_f16 v[0:7], v[164:171], v[96:103], v[0:7] op_sel:[0,0,1]
	v_sub_f32_e32 v96, v139, v190
	v_add_nc_u32_e32 v223, 0x1800, v214
	v_add_nc_u32_e32 v233, 0x1c00, v214
	;; [unrolled: 1-line block ×3, first 2 shown]
	s_delay_alu instid0(VALU_DEP_4) | instskip(SKIP_1) | instid1(VALU_DEP_2)
	v_mul_f32_e32 v97, 0x3fb8aa3b, v96
	v_cmp_ngt_f32_e64 s4, 0xc2ce8ed0, v96
	v_fma_f32 v98, 0x3fb8aa3b, v96, -v97
	v_rndne_f32_e32 v99, v97
	s_delay_alu instid0(VALU_DEP_1) | instskip(SKIP_1) | instid1(VALU_DEP_2)
	v_dual_fmac_f32 v98, 0x32a5705f, v96 :: v_dual_sub_f32 v97, v97, v99
	v_cvt_i32_f32_e32 v99, v99
	v_add_f32_e32 v97, v97, v98
	v_sub_f32_e32 v98, v138, v190
	s_delay_alu instid0(VALU_DEP_2) | instskip(NEXT) | instid1(VALU_DEP_1)
	v_exp_f32_e32 v97, v97
	v_mul_f32_e32 v100, 0x3fb8aa3b, v98
	v_cmp_ngt_f32_e64 s5, 0xc2ce8ed0, v98
	s_delay_alu instid0(VALU_DEP_2)
	v_fma_f32 v101, 0x3fb8aa3b, v98, -v100
	v_rndne_f32_e32 v102, v100
	s_waitcnt_depctr 0xfff
	v_ldexp_f32 v97, v97, v99
	v_fmac_f32_e32 v101, 0x32a5705f, v98
	v_sub_f32_e32 v100, v100, v102
	v_cvt_i32_f32_e32 v99, v102
	s_delay_alu instid0(VALU_DEP_4) | instskip(SKIP_1) | instid1(VALU_DEP_4)
	v_cndmask_b32_e64 v97, 0, v97, s4
	v_cmp_nlt_f32_e64 s4, 0x42b17218, v96
	v_add_f32_e32 v100, v100, v101
	s_delay_alu instid0(VALU_DEP_2) | instskip(NEXT) | instid1(VALU_DEP_2)
	v_cndmask_b32_e64 v97, 0x7f800000, v97, s4
	v_exp_f32_e32 v100, v100
	s_waitcnt_depctr 0xfff
	v_ldexp_f32 v99, v100, v99
	ds_bpermute_b32 v100, v192, v97
	v_cndmask_b32_e64 v96, 0, v99, s5
	v_cmp_nlt_f32_e64 s5, 0x42b17218, v98
	s_delay_alu instid0(VALU_DEP_1)
	v_cndmask_b32_e64 v96, 0x7f800000, v96, s5
	v_cmp_ngt_f32_e64 s5, 0xc2ce8ed0, v127
	ds_bpermute_b32 v98, v192, v96
	s_waitcnt lgkmcnt(0)
	v_cndmask_b32_e32 v99, v96, v98, vcc_lo
	v_cndmask_b32_e64 v98, v96, v98, s1
	s_delay_alu instid0(VALU_DEP_2) | instskip(NEXT) | instid1(VALU_DEP_2)
	v_cndmask_b32_e64 v102, v99, v97, s2
	v_cndmask_b32_e64 v101, v98, v97, s3
	v_cvt_f16_f32_e32 v98, v98
	v_cvt_f16_f32_e32 v99, v99
	s_delay_alu instid0(VALU_DEP_3) | instskip(SKIP_1) | instid1(VALU_DEP_3)
	v_cndmask_b32_e64 v101, v101, v100, s1
	v_cndmask_b32_e32 v100, v102, v100, vcc_lo
	v_pack_b32_f16 v155, v98, v99
	v_sub_f32_e32 v98, v137, v190
	s_delay_alu instid0(VALU_DEP_4) | instskip(NEXT) | instid1(VALU_DEP_4)
	v_cvt_f16_f32_e32 v102, v101
	v_cvt_f16_f32_e32 v103, v100
	s_delay_alu instid0(VALU_DEP_3) | instskip(SKIP_1) | instid1(VALU_DEP_3)
	v_mul_f32_e32 v99, 0x3fb8aa3b, v98
	v_cmp_ngt_f32_e64 s4, 0xc2ce8ed0, v98
	v_pack_b32_f16 v156, v102, v103
	s_delay_alu instid0(VALU_DEP_3) | instskip(SKIP_1) | instid1(VALU_DEP_1)
	v_fma_f32 v102, 0x3fb8aa3b, v98, -v99
	v_rndne_f32_e32 v103, v99
	v_dual_fmac_f32 v102, 0x32a5705f, v98 :: v_dual_sub_f32 v99, v99, v103
	s_delay_alu instid0(VALU_DEP_1) | instskip(SKIP_1) | instid1(VALU_DEP_2)
	v_add_f32_e32 v99, v99, v102
	v_cvt_i32_f32_e32 v102, v103
	v_exp_f32_e32 v99, v99
	s_waitcnt_depctr 0xfff
	v_ldexp_f32 v99, v99, v102
	s_delay_alu instid0(VALU_DEP_1) | instskip(SKIP_1) | instid1(VALU_DEP_1)
	v_cndmask_b32_e64 v99, 0, v99, s4
	v_cmp_nlt_f32_e64 s4, 0x42b17218, v98
	v_cndmask_b32_e64 v98, 0x7f800000, v99, s4
	s_delay_alu instid0(VALU_DEP_1)
	v_cndmask_b32_e64 v99, v100, v98, s2
	v_cndmask_b32_e64 v100, v101, v98, s3
	ds_bpermute_b32 v101, v192, v98
	s_waitcnt lgkmcnt(0)
	v_cndmask_b32_e64 v100, v100, v101, s1
	v_cndmask_b32_e32 v101, v99, v101, vcc_lo
	s_delay_alu instid0(VALU_DEP_2) | instskip(NEXT) | instid1(VALU_DEP_2)
	v_cvt_f16_f32_e32 v99, v100
	v_cvt_f16_f32_e32 v102, v101
	s_delay_alu instid0(VALU_DEP_1) | instskip(SKIP_1) | instid1(VALU_DEP_1)
	v_pack_b32_f16 v157, v99, v102
	v_sub_f32_e32 v99, v136, v190
	v_mul_f32_e32 v102, 0x3fb8aa3b, v99
	v_cmp_ngt_f32_e64 s4, 0xc2ce8ed0, v99
	s_delay_alu instid0(VALU_DEP_2) | instskip(SKIP_1) | instid1(VALU_DEP_2)
	v_fma_f32 v103, 0x3fb8aa3b, v99, -v102
	v_rndne_f32_e32 v107, v102
	v_fmac_f32_e32 v103, 0x32a5705f, v99
	s_delay_alu instid0(VALU_DEP_2) | instskip(NEXT) | instid1(VALU_DEP_1)
	v_sub_f32_e32 v102, v102, v107
	v_add_f32_e32 v102, v102, v103
	v_cvt_i32_f32_e32 v103, v107
	s_delay_alu instid0(VALU_DEP_2) | instskip(SKIP_2) | instid1(VALU_DEP_1)
	v_exp_f32_e32 v102, v102
	s_waitcnt_depctr 0xfff
	v_ldexp_f32 v102, v102, v103
	v_cndmask_b32_e64 v102, 0, v102, s4
	v_cmp_nlt_f32_e64 s4, 0x42b17218, v99
	s_delay_alu instid0(VALU_DEP_1) | instskip(SKIP_4) | instid1(VALU_DEP_1)
	v_cndmask_b32_e64 v99, 0x7f800000, v102, s4
	ds_bpermute_b32 v102, v192, v99
	v_cndmask_b32_e64 v101, v101, v99, s2
	v_cndmask_b32_e64 v100, v100, v99, s3
	s_waitcnt lgkmcnt(0)
	v_cndmask_b32_e64 v103, v100, v102, s1
	s_delay_alu instid0(VALU_DEP_3) | instskip(NEXT) | instid1(VALU_DEP_2)
	v_cndmask_b32_e32 v101, v101, v102, vcc_lo
	v_cvt_f16_f32_e32 v100, v103
	s_delay_alu instid0(VALU_DEP_2) | instskip(NEXT) | instid1(VALU_DEP_1)
	v_cvt_f16_f32_e32 v102, v101
	v_pack_b32_f16 v158, v100, v102
	v_sub_f32_e32 v100, v135, v190
	s_delay_alu instid0(VALU_DEP_1) | instskip(SKIP_1) | instid1(VALU_DEP_2)
	v_mul_f32_e32 v102, 0x3fb8aa3b, v100
	v_cmp_ngt_f32_e64 s4, 0xc2ce8ed0, v100
	v_fma_f32 v107, 0x3fb8aa3b, v100, -v102
	v_rndne_f32_e32 v111, v102
	s_delay_alu instid0(VALU_DEP_1) | instskip(NEXT) | instid1(VALU_DEP_1)
	v_dual_fmac_f32 v107, 0x32a5705f, v100 :: v_dual_sub_f32 v102, v102, v111
	v_add_f32_e32 v102, v102, v107
	v_cvt_i32_f32_e32 v107, v111
	s_delay_alu instid0(VALU_DEP_2) | instskip(SKIP_2) | instid1(VALU_DEP_1)
	v_exp_f32_e32 v102, v102
	s_waitcnt_depctr 0xfff
	v_ldexp_f32 v102, v102, v107
	v_cndmask_b32_e64 v102, 0, v102, s4
	v_cmp_nlt_f32_e64 s4, 0x42b17218, v100
	s_delay_alu instid0(VALU_DEP_1) | instskip(SKIP_1) | instid1(VALU_DEP_2)
	v_cndmask_b32_e64 v100, 0x7f800000, v102, s4
	v_sub_f32_e32 v123, v123, v190
	v_cndmask_b32_e64 v102, v103, v100, s3
	ds_bpermute_b32 v103, v192, v100
	v_cndmask_b32_e64 v101, v101, v100, s2
	s_waitcnt lgkmcnt(0)
	v_cndmask_b32_e64 v102, v102, v103, s1
	s_delay_alu instid0(VALU_DEP_2) | instskip(NEXT) | instid1(VALU_DEP_2)
	v_cndmask_b32_e32 v103, v101, v103, vcc_lo
	v_cvt_f16_f32_e32 v101, v102
	s_delay_alu instid0(VALU_DEP_2) | instskip(NEXT) | instid1(VALU_DEP_1)
	v_cvt_f16_f32_e32 v107, v103
	v_pack_b32_f16 v159, v101, v107
	v_sub_f32_e32 v101, v134, v190
	s_delay_alu instid0(VALU_DEP_1) | instskip(SKIP_1) | instid1(VALU_DEP_2)
	v_mul_f32_e32 v107, 0x3fb8aa3b, v101
	v_cmp_ngt_f32_e64 s4, 0xc2ce8ed0, v101
	v_fma_f32 v111, 0x3fb8aa3b, v101, -v107
	v_rndne_f32_e32 v134, v107
	s_delay_alu instid0(VALU_DEP_2) | instskip(NEXT) | instid1(VALU_DEP_2)
	v_fmac_f32_e32 v111, 0x32a5705f, v101
	v_sub_f32_e32 v107, v107, v134
	s_delay_alu instid0(VALU_DEP_1) | instskip(SKIP_1) | instid1(VALU_DEP_2)
	v_add_f32_e32 v107, v107, v111
	v_cvt_i32_f32_e32 v111, v134
	v_exp_f32_e32 v107, v107
	s_waitcnt_depctr 0xfff
	v_ldexp_f32 v107, v107, v111
	s_delay_alu instid0(VALU_DEP_1) | instskip(SKIP_1) | instid1(VALU_DEP_1)
	v_cndmask_b32_e64 v107, 0, v107, s4
	v_cmp_nlt_f32_e64 s4, 0x42b17218, v101
	v_cndmask_b32_e64 v101, 0x7f800000, v107, s4
	ds_bpermute_b32 v107, v192, v101
	v_cndmask_b32_e64 v103, v103, v101, s2
	v_cndmask_b32_e64 v102, v102, v101, s3
	s_waitcnt lgkmcnt(0)
	s_delay_alu instid0(VALU_DEP_1) | instskip(NEXT) | instid1(VALU_DEP_3)
	v_cndmask_b32_e64 v111, v102, v107, s1
	v_cndmask_b32_e32 v103, v103, v107, vcc_lo
	s_delay_alu instid0(VALU_DEP_2) | instskip(NEXT) | instid1(VALU_DEP_2)
	v_cvt_f16_f32_e32 v102, v111
	v_cvt_f16_f32_e32 v107, v103
	s_delay_alu instid0(VALU_DEP_1) | instskip(SKIP_1) | instid1(VALU_DEP_1)
	v_pack_b32_f16 v160, v102, v107
	v_sub_f32_e32 v102, v133, v190
	v_mul_f32_e32 v107, 0x3fb8aa3b, v102
	v_cmp_ngt_f32_e64 s4, 0xc2ce8ed0, v102
	s_delay_alu instid0(VALU_DEP_2) | instskip(SKIP_1) | instid1(VALU_DEP_2)
	v_fma_f32 v133, 0x3fb8aa3b, v102, -v107
	v_rndne_f32_e32 v134, v107
	v_fmac_f32_e32 v133, 0x32a5705f, v102
	s_delay_alu instid0(VALU_DEP_2) | instskip(NEXT) | instid1(VALU_DEP_1)
	v_sub_f32_e32 v107, v107, v134
	v_add_f32_e32 v107, v107, v133
	v_cvt_i32_f32_e32 v133, v134
	s_delay_alu instid0(VALU_DEP_2) | instskip(SKIP_2) | instid1(VALU_DEP_1)
	v_exp_f32_e32 v107, v107
	s_waitcnt_depctr 0xfff
	v_ldexp_f32 v107, v107, v133
	v_cndmask_b32_e64 v107, 0, v107, s4
	v_cmp_nlt_f32_e64 s4, 0x42b17218, v102
	s_delay_alu instid0(VALU_DEP_1) | instskip(NEXT) | instid1(VALU_DEP_1)
	v_cndmask_b32_e64 v102, 0x7f800000, v107, s4
	v_cndmask_b32_e64 v107, v111, v102, s3
	ds_bpermute_b32 v111, v192, v102
	v_cndmask_b32_e64 v103, v103, v102, s2
	s_waitcnt lgkmcnt(0)
	v_cndmask_b32_e64 v107, v107, v111, s1
	s_delay_alu instid0(VALU_DEP_2) | instskip(NEXT) | instid1(VALU_DEP_2)
	v_cndmask_b32_e32 v111, v103, v111, vcc_lo
	v_cvt_f16_f32_e32 v103, v107
	s_delay_alu instid0(VALU_DEP_2) | instskip(NEXT) | instid1(VALU_DEP_1)
	v_cvt_f16_f32_e64 v133, v111
	v_pack_b32_f16 v161, v103, v133
	v_sub_f32_e32 v103, v132, v190
	s_delay_alu instid0(VALU_DEP_1) | instskip(SKIP_1) | instid1(VALU_DEP_2)
	v_mul_f32_e32 v132, 0x3fb8aa3b, v103
	v_cmp_ngt_f32_e64 s4, 0xc2ce8ed0, v103
	v_fma_f32 v133, 0x3fb8aa3b, v103, -v132
	v_rndne_f32_e32 v134, v132
	s_delay_alu instid0(VALU_DEP_1) | instskip(NEXT) | instid1(VALU_DEP_1)
	v_dual_fmac_f32 v133, 0x32a5705f, v103 :: v_dual_sub_f32 v132, v132, v134
	v_add_f32_e32 v132, v132, v133
	v_cvt_i32_f32_e32 v133, v134
	s_delay_alu instid0(VALU_DEP_2) | instskip(SKIP_2) | instid1(VALU_DEP_1)
	v_exp_f32_e32 v132, v132
	s_waitcnt_depctr 0xfff
	v_ldexp_f32 v132, v132, v133
	v_cndmask_b32_e64 v132, 0, v132, s4
	v_cmp_nlt_f32_e64 s4, 0x42b17218, v103
	s_delay_alu instid0(VALU_DEP_1) | instskip(SKIP_4) | instid1(VALU_DEP_2)
	v_cndmask_b32_e64 v103, 0x7f800000, v132, s4
	ds_bpermute_b32 v132, v192, v103
	v_cndmask_b32_e64 v107, v107, v103, s3
	v_cndmask_b32_e64 v111, v111, v103, s2
	s_waitcnt lgkmcnt(0)
	v_cndmask_b32_e64 v107, v107, v132, s1
	s_delay_alu instid0(VALU_DEP_2) | instskip(NEXT) | instid1(VALU_DEP_2)
	v_cndmask_b32_e32 v111, v111, v132, vcc_lo
	v_cvt_f16_f32_e32 v107, v107
	s_delay_alu instid0(VALU_DEP_2) | instskip(NEXT) | instid1(VALU_DEP_1)
	v_cvt_f16_f32_e32 v111, v111
	v_pack_b32_f16 v162, v107, v111
	v_add_nc_u32_e32 v107, 0x1200, v214
	ds_load_2addr_b32 v[140:141], v107 offset0:120 offset1:140
	ds_load_2addr_b32 v[142:143], v229 offset0:112 offset1:132
	;; [unrolled: 1-line block ×3, first 2 shown]
	s_waitcnt vmcnt(0)
	ds_load_b32 v199, v248 offset:2176
	ds_load_b32 v202, v248 offset:3264
	;; [unrolled: 1-line block ×5, first 2 shown]
	scratch_load_b32 v107, off, off         ; 4-byte Folded Reload
	s_waitcnt vmcnt(0)
	ds_load_b32 v111, v107 offset:1088
	ds_load_b32 v230, v248 offset:1088
	;; [unrolled: 1-line block ×3, first 2 shown]
	ds_load_2addr_b32 v[165:166], v144 offset0:60 offset1:148
	ds_load_2addr_b32 v[167:168], v144 offset0:196 offset1:216
	;; [unrolled: 1-line block ×9, first 2 shown]
	s_waitcnt lgkmcnt(18)
	v_perm_b32 v132, v143, v231, 0x5040100
	s_waitcnt lgkmcnt(17)
	v_perm_b32 v133, v141, v164, 0x5040100
	ds_load_2addr_b32 v[197:198], v229 offset0:80 offset1:96
	ds_load_2addr_b32 v[207:208], v229 offset0:148 offset1:164
	;; [unrolled: 1-line block ×8, first 2 shown]
	s_waitcnt lgkmcnt(16)
	v_perm_b32 v134, v166, v230, 0x5040100
	s_waitcnt lgkmcnt(14)
	v_perm_b32 v135, v170, v168, 0x5040100
	;; [unrolled: 2-line block ×6, first 2 shown]
	s_delay_alu instid0(VALU_DEP_1)
	v_wmma_f16_16x16x16_f16 v[24:31], v[132:139], v[155:162], v[24:31]
	v_add_nc_u32_e32 v137, 0x1a00, v214
	ds_load_2addr_b32 v[225:226], v137 offset0:120 offset1:136
	ds_load_2addr_b32 v[227:228], v233 offset0:60 offset1:76
	ds_load_2addr_b32 v[233:234], v233 offset0:196 offset1:212
	ds_load_2addr_b32 v[238:239], v247 offset0:8 offset1:24
	ds_load_2addr_b32 v[240:241], v247 offset0:76 offset1:92
	ds_load_2addr_b32 v[242:243], v247 offset0:108 offset1:128
	s_waitcnt lgkmcnt(12)
	v_perm_b32 v132, v207, v197, 0x5040100
	s_waitcnt lgkmcnt(10)
	v_perm_b32 v133, v215, v210, 0x5040100
	;; [unrolled: 2-line block ×8, first 2 shown]
	s_delay_alu instid0(VALU_DEP_1)
	v_wmma_f16_16x16x16_f16 v[16:23], v[132:139], v[155:162], v[16:23]
	v_perm_b32 v132, v208, v198, 0x5040100
	v_perm_b32 v133, v216, v211, 0x5040100
	;; [unrolled: 1-line block ×8, first 2 shown]
	s_delay_alu instid0(VALU_DEP_1)
	v_wmma_f16_16x16x16_f16 v[8:15], v[132:139], v[155:162], v[8:15]
	v_perm_b32 v132, v163, v142, 0x5040100
	v_perm_b32 v133, v165, v140, 0x5040100
	v_perm_b32 v134, v167, v250, 0x5040100
	v_perm_b32 v135, v171, v169, 0x5040100
	v_perm_b32 v136, v173, v201, 0x5040100
	v_perm_b32 v137, v177, v175, 0x5040100
	v_perm_b32 v138, v179, v232, 0x5040100
	s_waitcnt lgkmcnt(0)
	v_perm_b32 v139, v242, v181, 0x5040100
	s_delay_alu instid0(VALU_DEP_1)
	v_wmma_f16_16x16x16_f16 v[0:7], v[132:139], v[155:162], v[0:7]
	v_perm_b32 v132, v143, v231, 0x7060302
	v_perm_b32 v134, v166, v230, 0x7060302
	;; [unrolled: 1-line block ×8, first 2 shown]
	v_add_nc_u32_e32 v202, 0x2c00, v214
	s_delay_alu instid0(VALU_DEP_2)
	v_wmma_f16_16x16x16_f16 v[24:31], v[132:139], v[155:162], v[24:31] op_sel:[0,0,1]
	v_perm_b32 v134, v217, v145, 0x7060302
	v_perm_b32 v136, v223, v146, 0x7060302
	;; [unrolled: 1-line block ×8, first 2 shown]
	s_delay_alu instid0(VALU_DEP_1)
	v_wmma_f16_16x16x16_f16 v[16:23], v[132:139], v[155:162], v[16:23] op_sel:[0,0,1]
	v_perm_b32 v132, v208, v198, 0x7060302
	v_perm_b32 v133, v216, v211, 0x7060302
	;; [unrolled: 1-line block ×8, first 2 shown]
	v_sub_f32_e32 v114, v128, v190
	v_add_nc_u32_e32 v208, 0x3000, v214
	s_delay_alu instid0(VALU_DEP_3)
	v_wmma_f16_16x16x16_f16 v[8:15], v[132:139], v[155:162], v[8:15] op_sel:[0,0,1]
	v_perm_b32 v132, v163, v142, 0x7060302
	v_perm_b32 v133, v165, v140, 0x7060302
	;; [unrolled: 1-line block ×8, first 2 shown]
	v_mul_f32_e32 v128, 0x3fb8aa3b, v114
	v_cmp_ngt_f32_e64 s4, 0xc2ce8ed0, v114
	s_delay_alu instid0(VALU_DEP_3) | instskip(NEXT) | instid1(VALU_DEP_3)
	v_wmma_f16_16x16x16_f16 v[0:7], v[132:139], v[155:162], v[0:7] op_sel:[0,0,1]
	v_fma_f32 v132, 0x3fb8aa3b, v114, -v128
	v_rndne_f32_e32 v133, v128
	s_delay_alu instid0(VALU_DEP_2) | instskip(NEXT) | instid1(VALU_DEP_2)
	v_fmac_f32_e32 v132, 0x32a5705f, v114
	v_sub_f32_e32 v128, v128, v133
	v_cvt_i32_f32_e32 v133, v133
	s_delay_alu instid0(VALU_DEP_2) | instskip(SKIP_1) | instid1(VALU_DEP_2)
	v_add_f32_e32 v128, v128, v132
	v_mul_f32_e32 v132, 0x3fb8aa3b, v127
	v_exp_f32_e32 v128, v128
	s_delay_alu instid0(VALU_DEP_1) | instskip(SKIP_1) | instid1(VALU_DEP_2)
	v_fma_f32 v134, 0x3fb8aa3b, v127, -v132
	v_rndne_f32_e32 v135, v132
	v_fmac_f32_e32 v134, 0x32a5705f, v127
	s_delay_alu instid0(VALU_DEP_2) | instskip(SKIP_4) | instid1(VALU_DEP_3)
	v_sub_f32_e32 v132, v132, v135
	s_waitcnt_depctr 0xfff
	v_ldexp_f32 v128, v128, v133
	v_cvt_i32_f32_e32 v133, v135
	v_add_f32_e32 v132, v132, v134
	v_cndmask_b32_e64 v128, 0, v128, s4
	v_cmp_nlt_f32_e64 s4, 0x42b17218, v114
	s_delay_alu instid0(VALU_DEP_3) | instskip(NEXT) | instid1(VALU_DEP_1)
	v_exp_f32_e32 v132, v132
	v_cndmask_b32_e64 v128, 0x7f800000, v128, s4
	s_waitcnt_depctr 0xfff
	v_ldexp_f32 v132, v132, v133
	ds_bpermute_b32 v133, v192, v128
	v_cndmask_b32_e64 v114, 0, v132, s5
	v_cmp_nlt_f32_e64 s5, 0x42b17218, v127
	s_delay_alu instid0(VALU_DEP_1) | instskip(SKIP_4) | instid1(VALU_DEP_2)
	v_cndmask_b32_e64 v127, 0x7f800000, v114, s5
	ds_bpermute_b32 v114, v192, v127
	s_waitcnt lgkmcnt(0)
	v_cndmask_b32_e32 v132, v127, v114, vcc_lo
	v_cndmask_b32_e64 v114, v127, v114, s1
	v_cndmask_b32_e64 v135, v132, v128, s2
	s_delay_alu instid0(VALU_DEP_2) | instskip(SKIP_2) | instid1(VALU_DEP_4)
	v_cndmask_b32_e64 v134, v114, v128, s3
	v_cvt_f16_f32_e32 v114, v114
	v_cvt_f16_f32_e64 v132, v132
	v_cndmask_b32_e32 v135, v135, v133, vcc_lo
	s_delay_alu instid0(VALU_DEP_4) | instskip(NEXT) | instid1(VALU_DEP_3)
	v_cndmask_b32_e64 v134, v134, v133, s1
	v_pack_b32_f16 v132, v114, v132
	v_sub_f32_e32 v114, v125, v190
	s_delay_alu instid0(VALU_DEP_4) | instskip(NEXT) | instid1(VALU_DEP_4)
	v_cvt_f16_f32_e64 v136, v135
	v_cvt_f16_f32_e64 v133, v134
	s_delay_alu instid0(VALU_DEP_3) | instskip(SKIP_1) | instid1(VALU_DEP_3)
	v_mul_f32_e32 v125, 0x3fb8aa3b, v114
	v_cmp_ngt_f32_e64 s4, 0xc2ce8ed0, v114
	v_pack_b32_f16 v133, v133, v136
	s_delay_alu instid0(VALU_DEP_3) | instskip(SKIP_1) | instid1(VALU_DEP_1)
	v_fma_f32 v136, 0x3fb8aa3b, v114, -v125
	v_rndne_f32_e32 v137, v125
	v_dual_fmac_f32 v136, 0x32a5705f, v114 :: v_dual_sub_f32 v125, v125, v137
	s_delay_alu instid0(VALU_DEP_1) | instskip(SKIP_1) | instid1(VALU_DEP_2)
	v_add_f32_e32 v125, v125, v136
	v_cvt_i32_f32_e32 v136, v137
	v_exp_f32_e32 v125, v125
	s_waitcnt_depctr 0xfff
	v_ldexp_f32 v125, v125, v136
	s_delay_alu instid0(VALU_DEP_1) | instskip(SKIP_1) | instid1(VALU_DEP_1)
	v_cndmask_b32_e64 v125, 0, v125, s4
	v_cmp_nlt_f32_e64 s4, 0x42b17218, v114
	v_cndmask_b32_e64 v125, 0x7f800000, v125, s4
	v_cmp_ngt_f32_e64 s4, 0xc2ce8ed0, v123
	v_sub_f32_e32 v119, v119, v190
	s_delay_alu instid0(VALU_DEP_3) | instskip(SKIP_3) | instid1(VALU_DEP_1)
	v_cndmask_b32_e64 v114, v135, v125, s2
	ds_bpermute_b32 v135, v192, v125
	v_cndmask_b32_e64 v134, v134, v125, s3
	s_waitcnt lgkmcnt(0)
	v_cndmask_b32_e64 v136, v134, v135, s1
	v_cndmask_b32_e32 v114, v114, v135, vcc_lo
	s_delay_alu instid0(VALU_DEP_2) | instskip(NEXT) | instid1(VALU_DEP_2)
	v_cvt_f16_f32_e64 v134, v136
	v_cvt_f16_f32_e64 v135, v114
	s_delay_alu instid0(VALU_DEP_1) | instskip(SKIP_1) | instid1(VALU_DEP_1)
	v_pack_b32_f16 v134, v134, v135
	v_mul_f32_e32 v135, 0x3fb8aa3b, v123
	v_fma_f32 v137, 0x3fb8aa3b, v123, -v135
	v_rndne_f32_e32 v138, v135
	s_delay_alu instid0(VALU_DEP_2) | instskip(NEXT) | instid1(VALU_DEP_2)
	v_fmac_f32_e32 v137, 0x32a5705f, v123
	v_sub_f32_e32 v135, v135, v138
	s_delay_alu instid0(VALU_DEP_1) | instskip(SKIP_1) | instid1(VALU_DEP_2)
	v_add_f32_e32 v135, v135, v137
	v_cvt_i32_f32_e32 v137, v138
	v_exp_f32_e32 v135, v135
	s_waitcnt_depctr 0xfff
	v_ldexp_f32 v135, v135, v137
	s_delay_alu instid0(VALU_DEP_1) | instskip(SKIP_1) | instid1(VALU_DEP_1)
	v_cndmask_b32_e64 v135, 0, v135, s4
	v_cmp_nlt_f32_e64 s4, 0x42b17218, v123
	v_cndmask_b32_e64 v123, 0x7f800000, v135, s4
	v_cmp_ngt_f32_e64 s4, 0xc2ce8ed0, v121
	s_delay_alu instid0(VALU_DEP_2) | instskip(SKIP_4) | instid1(VALU_DEP_2)
	v_cndmask_b32_e64 v135, v136, v123, s3
	ds_bpermute_b32 v136, v192, v123
	v_cndmask_b32_e64 v114, v114, v123, s2
	s_waitcnt lgkmcnt(0)
	v_cndmask_b32_e64 v137, v135, v136, s1
	v_cndmask_b32_e32 v114, v114, v136, vcc_lo
	s_delay_alu instid0(VALU_DEP_2) | instskip(NEXT) | instid1(VALU_DEP_2)
	v_cvt_f16_f32_e64 v135, v137
	v_cvt_f16_f32_e64 v136, v114
	s_delay_alu instid0(VALU_DEP_1) | instskip(SKIP_1) | instid1(VALU_DEP_1)
	v_pack_b32_f16 v135, v135, v136
	v_mul_f32_e32 v136, 0x3fb8aa3b, v121
	v_fma_f32 v138, 0x3fb8aa3b, v121, -v136
	v_rndne_f32_e32 v139, v136
	s_delay_alu instid0(VALU_DEP_2) | instskip(NEXT) | instid1(VALU_DEP_2)
	v_fmac_f32_e32 v138, 0x32a5705f, v121
	v_sub_f32_e32 v136, v136, v139
	s_delay_alu instid0(VALU_DEP_1) | instskip(SKIP_1) | instid1(VALU_DEP_2)
	v_add_f32_e32 v136, v136, v138
	v_cvt_i32_f32_e32 v138, v139
	v_exp_f32_e32 v136, v136
	s_waitcnt_depctr 0xfff
	v_ldexp_f32 v136, v136, v138
	s_delay_alu instid0(VALU_DEP_1) | instskip(SKIP_1) | instid1(VALU_DEP_1)
	v_cndmask_b32_e64 v136, 0, v136, s4
	v_cmp_nlt_f32_e64 s4, 0x42b17218, v121
	v_cndmask_b32_e64 v121, 0x7f800000, v136, s4
	v_cmp_ngt_f32_e64 s4, 0xc2ce8ed0, v119
	v_sub_f32_e32 v115, v115, v190
	s_delay_alu instid0(VALU_DEP_3) | instskip(SKIP_4) | instid1(VALU_DEP_2)
	v_cndmask_b32_e64 v136, v137, v121, s3
	ds_bpermute_b32 v137, v192, v121
	v_cndmask_b32_e64 v114, v114, v121, s2
	s_waitcnt lgkmcnt(0)
	v_cndmask_b32_e64 v138, v136, v137, s1
	v_cndmask_b32_e32 v114, v114, v137, vcc_lo
	s_delay_alu instid0(VALU_DEP_2) | instskip(NEXT) | instid1(VALU_DEP_2)
	v_cvt_f16_f32_e64 v136, v138
	v_cvt_f16_f32_e64 v137, v114
	s_delay_alu instid0(VALU_DEP_1) | instskip(SKIP_1) | instid1(VALU_DEP_1)
	v_pack_b32_f16 v136, v136, v137
	v_mul_f32_e32 v137, 0x3fb8aa3b, v119
	v_fma_f32 v139, 0x3fb8aa3b, v119, -v137
	v_rndne_f32_e32 v140, v137
	s_delay_alu instid0(VALU_DEP_2) | instskip(NEXT) | instid1(VALU_DEP_2)
	v_fmac_f32_e32 v139, 0x32a5705f, v119
	v_sub_f32_e32 v137, v137, v140
	s_delay_alu instid0(VALU_DEP_1) | instskip(SKIP_1) | instid1(VALU_DEP_2)
	v_add_f32_e32 v137, v137, v139
	v_cvt_i32_f32_e32 v139, v140
	v_exp_f32_e32 v137, v137
	s_waitcnt_depctr 0xfff
	v_ldexp_f32 v137, v137, v139
	s_delay_alu instid0(VALU_DEP_1) | instskip(SKIP_1) | instid1(VALU_DEP_1)
	v_cndmask_b32_e64 v137, 0, v137, s4
	v_cmp_nlt_f32_e64 s4, 0x42b17218, v119
	v_cndmask_b32_e64 v119, 0x7f800000, v137, s4
	v_cmp_ngt_f32_e64 s4, 0xc2ce8ed0, v116
	s_delay_alu instid0(VALU_DEP_2) | instskip(SKIP_4) | instid1(VALU_DEP_2)
	v_cndmask_b32_e64 v137, v138, v119, s3
	ds_bpermute_b32 v138, v192, v119
	v_cndmask_b32_e64 v114, v114, v119, s2
	s_waitcnt lgkmcnt(0)
	v_cndmask_b32_e64 v139, v137, v138, s1
	v_cndmask_b32_e32 v114, v114, v138, vcc_lo
	s_delay_alu instid0(VALU_DEP_2) | instskip(NEXT) | instid1(VALU_DEP_2)
	v_cvt_f16_f32_e64 v137, v139
	v_cvt_f16_f32_e64 v138, v114
	s_delay_alu instid0(VALU_DEP_1) | instskip(SKIP_1) | instid1(VALU_DEP_1)
	v_pack_b32_f16 v137, v137, v138
	v_mul_f32_e32 v138, 0x3fb8aa3b, v116
	v_fma_f32 v140, 0x3fb8aa3b, v116, -v138
	v_rndne_f32_e32 v141, v138
	s_delay_alu instid0(VALU_DEP_2) | instskip(NEXT) | instid1(VALU_DEP_2)
	v_fmac_f32_e32 v140, 0x32a5705f, v116
	v_sub_f32_e32 v138, v138, v141
	s_delay_alu instid0(VALU_DEP_1) | instskip(SKIP_1) | instid1(VALU_DEP_2)
	v_add_f32_e32 v138, v138, v140
	v_cvt_i32_f32_e32 v140, v141
	v_exp_f32_e32 v138, v138
	s_waitcnt_depctr 0xfff
	v_ldexp_f32 v138, v138, v140
	s_delay_alu instid0(VALU_DEP_1) | instskip(SKIP_1) | instid1(VALU_DEP_1)
	v_cndmask_b32_e64 v138, 0, v138, s4
	v_cmp_nlt_f32_e64 s4, 0x42b17218, v116
	v_cndmask_b32_e64 v146, 0x7f800000, v138, s4
	v_cmp_ngt_f32_e64 s4, 0xc2ce8ed0, v115
	ds_bpermute_b32 v138, v192, v146
	v_cndmask_b32_e64 v114, v114, v146, s2
	v_cndmask_b32_e64 v116, v139, v146, s3
	s_waitcnt lgkmcnt(0)
	s_delay_alu instid0(VALU_DEP_1) | instskip(NEXT) | instid1(VALU_DEP_3)
	v_cndmask_b32_e64 v116, v116, v138, s1
	v_cndmask_b32_e32 v114, v114, v138, vcc_lo
	s_delay_alu instid0(VALU_DEP_2) | instskip(NEXT) | instid1(VALU_DEP_2)
	v_cvt_f16_f32_e64 v138, v116
	v_cvt_f16_f32_e64 v139, v114
	s_delay_alu instid0(VALU_DEP_1) | instskip(SKIP_1) | instid1(VALU_DEP_1)
	v_pack_b32_f16 v138, v138, v139
	v_mul_f32_e32 v139, 0x3fb8aa3b, v115
	v_fma_f32 v140, 0x3fb8aa3b, v115, -v139
	v_rndne_f32_e32 v141, v139
	s_delay_alu instid0(VALU_DEP_1) | instskip(SKIP_4) | instid1(VALU_DEP_2)
	v_dual_fmac_f32 v140, 0x32a5705f, v115 :: v_dual_sub_f32 v139, v139, v141
	v_mov_b32_e32 v250, v113
	scratch_load_b32 v113, off, off offset:16 ; 4-byte Folded Reload
	v_add_f32_e32 v139, v139, v140
	v_cvt_i32_f32_e32 v140, v141
	v_exp_f32_e32 v139, v139
	s_waitcnt_depctr 0xfff
	v_ldexp_f32 v139, v139, v140
	s_delay_alu instid0(VALU_DEP_1) | instskip(SKIP_1) | instid1(VALU_DEP_1)
	v_cndmask_b32_e64 v139, 0, v139, s4
	v_cmp_nlt_f32_e64 s4, 0x42b17218, v115
	v_cndmask_b32_e64 v199, 0x7f800000, v139, s4
	v_add_nc_u32_e32 v201, 0x2400, v214
	s_delay_alu instid0(VALU_DEP_2) | instskip(SKIP_4) | instid1(VALU_DEP_2)
	v_cndmask_b32_e64 v115, v116, v199, s3
	ds_bpermute_b32 v116, v192, v199
	v_cndmask_b32_e64 v114, v114, v199, s2
	s_waitcnt lgkmcnt(0)
	v_cndmask_b32_e64 v115, v115, v116, s1
	v_cndmask_b32_e32 v114, v114, v116, vcc_lo
	s_delay_alu instid0(VALU_DEP_2) | instskip(NEXT) | instid1(VALU_DEP_2)
	v_cvt_f16_f32_e32 v115, v115
	v_cvt_f16_f32_e32 v114, v114
	s_delay_alu instid0(VALU_DEP_1)
	v_pack_b32_f16 v139, v115, v114
	v_add_nc_u32_e32 v114, 0x2200, v214
	ds_load_2addr_b32 v[115:116], v114 offset0:116 offset1:136
	ds_load_2addr_b32 v[140:141], v247 offset0:176 offset1:196
	;; [unrolled: 1-line block ×3, first 2 shown]
	v_add_nc_u32_e32 v114, 0x2800, v214
	ds_load_2addr_b32 v[144:145], v201 offset0:124 offset1:212
	ds_load_2addr_b32 v[163:164], v114 offset0:4 offset1:24
	;; [unrolled: 1-line block ×11, first 2 shown]
	scratch_load_b32 v247, off, off offset:140 ; 4-byte Folded Reload
	ds_load_2addr_b32 v[197:198], v201 offset0:24 offset1:40
	ds_load_2addr_b32 v[206:207], v201 offset0:92 offset1:108
	;; [unrolled: 1-line block ×3, first 2 shown]
	s_waitcnt vmcnt(0)
	ds_load_b32 v201, v247 offset:1088
	ds_load_b32 v212, v247 offset:2176
	;; [unrolled: 1-line block ×5, first 2 shown]
	ds_load_2addr_b32 v[215:216], v114 offset0:40 offset1:56
	ds_load_2addr_b32 v[217:218], v114 offset0:108 offset1:124
	v_add_nc_u32_e32 v114, 0x2a00, v214
	s_waitcnt lgkmcnt(22)
	v_perm_b32 v155, v141, v243, 0x5040100
	s_waitcnt lgkmcnt(21)
	v_perm_b32 v156, v143, v116, 0x5040100
	;; [unrolled: 2-line block ×4, first 2 shown]
	ds_load_2addr_b32 v[219:220], v114 offset0:116 offset1:132
	ds_load_2addr_b32 v[221:222], v202 offset0:56 offset1:72
	;; [unrolled: 1-line block ×6, first 2 shown]
	ds_load_b32 v114, v184 offset:1088
	ds_load_b32 v202, v184 offset:2176
	;; [unrolled: 1-line block ×6, first 2 shown]
	ds_load_2addr_b32 v[233:234], v208 offset0:172 offset1:192
	s_waitcnt lgkmcnt(30)
	v_perm_b32 v159, v168, v245, 0x5040100
	s_waitcnt lgkmcnt(28)
	v_perm_b32 v160, v172, v170, 0x5040100
	;; [unrolled: 2-line block ×4, first 2 shown]
	s_delay_alu instid0(VALU_DEP_1)
	v_wmma_f16_16x16x16_f16 v[24:31], v[155:162], v[132:139], v[24:31]
	s_waitcnt lgkmcnt(23)
	v_perm_b32 v155, v181, v179, 0x5040100
	s_waitcnt lgkmcnt(21)
	v_perm_b32 v156, v206, v197, 0x5040100
	s_waitcnt lgkmcnt(19)
	v_perm_b32 v157, v210, v201, 0x5040100
	s_waitcnt lgkmcnt(13)
	v_perm_b32 v158, v217, v215, 0x5040100
	s_waitcnt lgkmcnt(12)
	v_perm_b32 v159, v219, v212, 0x5040100
	s_waitcnt lgkmcnt(10)
	v_perm_b32 v160, v223, v221, 0x5040100
	s_waitcnt lgkmcnt(9)
	v_perm_b32 v161, v225, v229, 0x5040100
	s_waitcnt lgkmcnt(7)
	v_perm_b32 v162, v230, v227, 0x5040100
	s_delay_alu instid0(VALU_DEP_1)
	v_wmma_f16_16x16x16_f16 v[16:23], v[155:162], v[132:139], v[16:23]
	v_perm_b32 v155, v182, v180, 0x5040100
	v_perm_b32 v156, v207, v198, 0x5040100
	;; [unrolled: 1-line block ×8, first 2 shown]
	s_delay_alu instid0(VALU_DEP_1)
	v_wmma_f16_16x16x16_f16 v[8:15], v[155:162], v[132:139], v[8:15]
	v_perm_b32 v155, v115, v140, 0x5040100
	v_perm_b32 v156, v144, v142, 0x5040100
	s_waitcnt lgkmcnt(6)
	v_perm_b32 v157, v163, v114, 0x5040100
	v_perm_b32 v158, v167, v165, 0x5040100
	s_waitcnt lgkmcnt(5)
	;; [unrolled: 3-line block ×3, first 2 shown]
	v_perm_b32 v161, v175, v239, 0x5040100
	s_waitcnt lgkmcnt(0)
	v_perm_b32 v162, v233, v177, 0x5040100
	s_delay_alu instid0(VALU_DEP_1)
	v_wmma_f16_16x16x16_f16 v[0:7], v[155:162], v[132:139], v[0:7]
	v_perm_b32 v155, v141, v243, 0x7060302
	v_perm_b32 v157, v145, v244, 0x7060302
	;; [unrolled: 1-line block ×8, first 2 shown]
	s_clause 0x1
	scratch_load_b64 v[244:245], off, off offset:264
	scratch_load_b32 v246, off, off offset:280
	v_wmma_f16_16x16x16_f16 v[24:31], v[155:162], v[132:139], v[24:31] op_sel:[0,0,1]
	v_perm_b32 v157, v210, v201, 0x7060302
	v_perm_b32 v159, v219, v212, 0x7060302
	;; [unrolled: 1-line block ×8, first 2 shown]
	scratch_load_b32 v227, off, off         ; 4-byte Folded Reload
	v_add_nc_u32_e32 v217, 0x3800, v214
	v_add_nc_u32_e32 v219, 0x3c00, v214
	;; [unrolled: 1-line block ×3, first 2 shown]
	v_wmma_f16_16x16x16_f16 v[16:23], v[155:162], v[132:139], v[16:23] op_sel:[0,0,1]
	v_perm_b32 v157, v211, v108, 0x7060302
	v_sub_f32_e32 v108, v205, v190
	v_perm_b32 v155, v182, v180, 0x7060302
	v_perm_b32 v156, v207, v198, 0x7060302
	;; [unrolled: 1-line block ×7, first 2 shown]
	scratch_load_b64 v[225:226], off, off offset:208 ; 8-byte Folded Reload
	v_mul_f32_e32 v109, 0x3fb8aa3b, v108
	v_cmp_ngt_f32_e64 s4, 0xc2ce8ed0, v108
	scratch_load_b64 v[228:229], off, off offset:216 ; 8-byte Folded Reload
	v_wmma_f16_16x16x16_f16 v[8:15], v[155:162], v[132:139], v[8:15] op_sel:[0,0,1]
	v_perm_b32 v157, v163, v114, 0x7060302
	v_fma_f32 v110, 0x3fb8aa3b, v108, -v109
	v_rndne_f32_e32 v114, v109
	v_perm_b32 v155, v115, v140, 0x7060302
	v_perm_b32 v156, v144, v142, 0x7060302
	;; [unrolled: 1-line block ×3, first 2 shown]
	s_delay_alu instid0(VALU_DEP_4)
	v_dual_fmac_f32 v110, 0x32a5705f, v108 :: v_dual_sub_f32 v109, v109, v114
	v_perm_b32 v160, v173, v171, 0x7060302
	v_perm_b32 v159, v169, v202, 0x7060302
	;; [unrolled: 1-line block ×4, first 2 shown]
	v_add_f32_e32 v109, v109, v110
	v_sub_f32_e32 v110, v203, v190
	v_cvt_i32_f32_e32 v114, v114
	v_add_nc_u32_e32 v142, 0x3600, v214
	v_wmma_f16_16x16x16_f16 v[0:7], v[155:162], v[132:139], v[0:7] op_sel:[0,0,1]
	v_exp_f32_e32 v109, v109
	v_mul_f32_e32 v115, 0x3fb8aa3b, v110
	v_cmp_ngt_f32_e64 s5, 0xc2ce8ed0, v110
	v_add_nc_u32_e32 v160, 0x3e00, v214
	v_add_nc_u32_e32 v144, 0x3a00, v214
	v_mov_b32_e32 v230, v249
	v_fma_f32 v116, 0x3fb8aa3b, v110, -v115
	v_rndne_f32_e32 v132, v115
	s_delay_alu instid0(TRANS32_DEP_1) | instskip(NEXT) | instid1(VALU_DEP_2)
	v_ldexp_f32 v109, v109, v114
	v_dual_fmac_f32 v116, 0x32a5705f, v110 :: v_dual_sub_f32 v115, v115, v132
	v_cvt_i32_f32_e32 v114, v132
	s_delay_alu instid0(VALU_DEP_3) | instskip(SKIP_1) | instid1(VALU_DEP_4)
	v_cndmask_b32_e64 v109, 0, v109, s4
	v_cmp_nlt_f32_e64 s4, 0x42b17218, v108
	v_add_f32_e32 v115, v115, v116
	s_delay_alu instid0(VALU_DEP_1) | instskip(SKIP_2) | instid1(VALU_DEP_1)
	v_exp_f32_e32 v115, v115
	s_waitcnt_depctr 0xfff
	v_ldexp_f32 v114, v115, v114
	v_cndmask_b32_e64 v108, 0, v114, s5
	v_cmp_nlt_f32_e64 s5, 0x42b17218, v110
	v_cndmask_b32_e64 v114, 0x7f800000, v109, s4
	s_delay_alu instid0(VALU_DEP_2)
	v_cndmask_b32_e64 v110, 0x7f800000, v108, s5
	ds_bpermute_b32 v115, v192, v114
	ds_bpermute_b32 v108, v192, v110
	s_waitcnt lgkmcnt(0)
	v_cndmask_b32_e32 v109, v110, v108, vcc_lo
	v_cndmask_b32_e64 v108, v110, v108, s1
	s_delay_alu instid0(VALU_DEP_2) | instskip(NEXT) | instid1(VALU_DEP_2)
	v_cndmask_b32_e64 v132, v109, v114, s2
	v_cndmask_b32_e64 v116, v108, v114, s3
	v_cvt_f16_f32_e32 v108, v108
	v_cvt_f16_f32_e32 v109, v109
	s_delay_alu instid0(VALU_DEP_3) | instskip(SKIP_1) | instid1(VALU_DEP_3)
	v_cndmask_b32_e64 v116, v116, v115, s1
	v_cndmask_b32_e32 v115, v132, v115, vcc_lo
	v_pack_b32_f16 v132, v108, v109
	v_sub_f32_e32 v108, v200, v190
	s_delay_alu instid0(VALU_DEP_4) | instskip(NEXT) | instid1(VALU_DEP_4)
	v_cvt_f16_f32_e64 v133, v116
	v_cvt_f16_f32_e64 v134, v115
	s_delay_alu instid0(VALU_DEP_3) | instskip(SKIP_1) | instid1(VALU_DEP_3)
	v_mul_f32_e32 v109, 0x3fb8aa3b, v108
	v_cmp_ngt_f32_e64 s4, 0xc2ce8ed0, v108
	v_pack_b32_f16 v133, v133, v134
	s_delay_alu instid0(VALU_DEP_3) | instskip(SKIP_1) | instid1(VALU_DEP_1)
	v_fma_f32 v134, 0x3fb8aa3b, v108, -v109
	v_rndne_f32_e32 v135, v109
	v_dual_fmac_f32 v134, 0x32a5705f, v108 :: v_dual_sub_f32 v109, v109, v135
	s_delay_alu instid0(VALU_DEP_1) | instskip(SKIP_1) | instid1(VALU_DEP_2)
	v_add_f32_e32 v109, v109, v134
	v_cvt_i32_f32_e32 v134, v135
	v_exp_f32_e32 v109, v109
	s_waitcnt_depctr 0xfff
	v_ldexp_f32 v109, v109, v134
	s_delay_alu instid0(VALU_DEP_1) | instskip(SKIP_1) | instid1(VALU_DEP_1)
	v_cndmask_b32_e64 v109, 0, v109, s4
	v_cmp_nlt_f32_e64 s4, 0x42b17218, v108
	v_cndmask_b32_e64 v200, 0x7f800000, v109, s4
	s_delay_alu instid0(VALU_DEP_1) | instskip(SKIP_3) | instid1(VALU_DEP_1)
	v_cndmask_b32_e64 v109, v115, v200, s2
	ds_bpermute_b32 v115, v192, v200
	v_cndmask_b32_e64 v108, v116, v200, s3
	s_waitcnt lgkmcnt(0)
	v_cndmask_b32_e64 v108, v108, v115, s1
	v_cndmask_b32_e32 v109, v109, v115, vcc_lo
	s_delay_alu instid0(VALU_DEP_2) | instskip(NEXT) | instid1(VALU_DEP_2)
	v_cvt_f16_f32_e32 v115, v108
	v_cvt_f16_f32_e32 v116, v109
	s_delay_alu instid0(VALU_DEP_1) | instskip(SKIP_1) | instid1(VALU_DEP_1)
	v_pack_b32_f16 v134, v115, v116
	v_sub_f32_e32 v115, v196, v190
	v_mul_f32_e32 v116, 0x3fb8aa3b, v115
	v_cmp_ngt_f32_e64 s4, 0xc2ce8ed0, v115
	s_delay_alu instid0(VALU_DEP_2) | instskip(SKIP_1) | instid1(VALU_DEP_1)
	v_fma_f32 v135, 0x3fb8aa3b, v115, -v116
	v_rndne_f32_e32 v136, v116
	v_dual_fmac_f32 v135, 0x32a5705f, v115 :: v_dual_sub_f32 v116, v116, v136
	s_delay_alu instid0(VALU_DEP_1) | instskip(SKIP_1) | instid1(VALU_DEP_2)
	v_add_f32_e32 v116, v116, v135
	v_cvt_i32_f32_e32 v135, v136
	v_exp_f32_e32 v116, v116
	s_waitcnt_depctr 0xfff
	v_ldexp_f32 v116, v116, v135
	s_delay_alu instid0(VALU_DEP_1) | instskip(SKIP_1) | instid1(VALU_DEP_1)
	v_cndmask_b32_e64 v116, 0, v116, s4
	v_cmp_nlt_f32_e64 s4, 0x42b17218, v115
	v_cndmask_b32_e64 v201, 0x7f800000, v116, s4
	ds_bpermute_b32 v115, v192, v201
	v_cndmask_b32_e64 v108, v108, v201, s3
	v_cndmask_b32_e64 v109, v109, v201, s2
	s_waitcnt lgkmcnt(0)
	s_delay_alu instid0(VALU_DEP_2) | instskip(NEXT) | instid1(VALU_DEP_2)
	v_cndmask_b32_e64 v108, v108, v115, s1
	v_cndmask_b32_e32 v109, v109, v115, vcc_lo
	s_delay_alu instid0(VALU_DEP_2) | instskip(NEXT) | instid1(VALU_DEP_2)
	v_cvt_f16_f32_e32 v115, v108
	v_cvt_f16_f32_e32 v116, v109
	s_delay_alu instid0(VALU_DEP_1) | instskip(SKIP_2) | instid1(VALU_DEP_2)
	v_pack_b32_f16 v135, v115, v116
	v_sub_f32_e32 v115, v195, v190
	v_add_nc_u32_e32 v195, 0x3400, v214
	v_mul_f32_e32 v116, 0x3fb8aa3b, v115
	v_cmp_ngt_f32_e64 s4, 0xc2ce8ed0, v115
	s_delay_alu instid0(VALU_DEP_2) | instskip(SKIP_1) | instid1(VALU_DEP_2)
	v_fma_f32 v136, 0x3fb8aa3b, v115, -v116
	v_rndne_f32_e32 v137, v116
	v_fmac_f32_e32 v136, 0x32a5705f, v115
	s_delay_alu instid0(VALU_DEP_2) | instskip(NEXT) | instid1(VALU_DEP_1)
	v_sub_f32_e32 v116, v116, v137
	v_add_f32_e32 v116, v116, v136
	v_cvt_i32_f32_e32 v136, v137
	s_delay_alu instid0(VALU_DEP_2) | instskip(SKIP_2) | instid1(VALU_DEP_1)
	v_exp_f32_e32 v116, v116
	s_waitcnt_depctr 0xfff
	v_ldexp_f32 v116, v116, v136
	v_cndmask_b32_e64 v116, 0, v116, s4
	v_cmp_nlt_f32_e64 s4, 0x42b17218, v115
	s_delay_alu instid0(VALU_DEP_1) | instskip(SKIP_4) | instid1(VALU_DEP_2)
	v_cndmask_b32_e64 v212, 0x7f800000, v116, s4
	ds_bpermute_b32 v115, v192, v212
	v_cndmask_b32_e64 v108, v108, v212, s3
	v_cndmask_b32_e64 v109, v109, v212, s2
	s_waitcnt lgkmcnt(0)
	v_cndmask_b32_e64 v108, v108, v115, s1
	s_delay_alu instid0(VALU_DEP_2) | instskip(NEXT) | instid1(VALU_DEP_2)
	v_cndmask_b32_e32 v109, v109, v115, vcc_lo
	v_cvt_f16_f32_e32 v115, v108
	s_delay_alu instid0(VALU_DEP_2) | instskip(NEXT) | instid1(VALU_DEP_1)
	v_cvt_f16_f32_e32 v116, v109
	v_pack_b32_f16 v136, v115, v116
	v_sub_f32_e32 v115, v193, v190
	s_delay_alu instid0(VALU_DEP_1) | instskip(SKIP_1) | instid1(VALU_DEP_2)
	v_mul_f32_e32 v116, 0x3fb8aa3b, v115
	v_cmp_ngt_f32_e64 s4, 0xc2ce8ed0, v115
	v_fma_f32 v137, 0x3fb8aa3b, v115, -v116
	v_rndne_f32_e32 v138, v116
	s_delay_alu instid0(VALU_DEP_1) | instskip(NEXT) | instid1(VALU_DEP_1)
	v_dual_fmac_f32 v137, 0x32a5705f, v115 :: v_dual_sub_f32 v116, v116, v138
	v_add_f32_e32 v116, v116, v137
	v_cvt_i32_f32_e32 v137, v138
	s_delay_alu instid0(VALU_DEP_2) | instskip(SKIP_2) | instid1(VALU_DEP_1)
	v_exp_f32_e32 v116, v116
	s_waitcnt_depctr 0xfff
	v_ldexp_f32 v116, v116, v137
	v_cndmask_b32_e64 v116, 0, v116, s4
	v_cmp_nlt_f32_e64 s4, 0x42b17218, v115
	s_delay_alu instid0(VALU_DEP_1) | instskip(SKIP_4) | instid1(VALU_DEP_2)
	v_cndmask_b32_e64 v193, 0x7f800000, v116, s4
	ds_bpermute_b32 v115, v192, v193
	v_cndmask_b32_e64 v108, v108, v193, s3
	v_cndmask_b32_e64 v109, v109, v193, s2
	s_waitcnt lgkmcnt(0)
	v_cndmask_b32_e64 v108, v108, v115, s1
	s_delay_alu instid0(VALU_DEP_2) | instskip(NEXT) | instid1(VALU_DEP_2)
	v_cndmask_b32_e32 v109, v109, v115, vcc_lo
	v_cvt_f16_f32_e32 v115, v108
	s_delay_alu instid0(VALU_DEP_2) | instskip(NEXT) | instid1(VALU_DEP_1)
	v_cvt_f16_f32_e32 v116, v109
	v_pack_b32_f16 v137, v115, v116
	v_sub_f32_e32 v115, v183, v190
	s_delay_alu instid0(VALU_DEP_1) | instskip(SKIP_1) | instid1(VALU_DEP_2)
	v_mul_f32_e32 v116, 0x3fb8aa3b, v115
	v_cmp_ngt_f32_e64 s4, 0xc2ce8ed0, v115
	v_fma_f32 v138, 0x3fb8aa3b, v115, -v116
	v_rndne_f32_e32 v139, v116
	s_delay_alu instid0(VALU_DEP_2) | instskip(NEXT) | instid1(VALU_DEP_2)
	v_fmac_f32_e32 v138, 0x32a5705f, v115
	v_sub_f32_e32 v116, v116, v139
	s_delay_alu instid0(VALU_DEP_1) | instskip(SKIP_1) | instid1(VALU_DEP_2)
	v_add_f32_e32 v116, v116, v138
	v_cvt_i32_f32_e32 v138, v139
	v_exp_f32_e32 v116, v116
	s_waitcnt_depctr 0xfff
	v_ldexp_f32 v116, v116, v138
	s_delay_alu instid0(VALU_DEP_1) | instskip(SKIP_1) | instid1(VALU_DEP_1)
	v_cndmask_b32_e64 v116, 0, v116, s4
	v_cmp_nlt_f32_e64 s4, 0x42b17218, v115
	v_cndmask_b32_e64 v183, 0x7f800000, v116, s4
	v_cmp_ngt_f32_e64 s4, 0xc2ce8ed0, v112
	ds_bpermute_b32 v115, v192, v183
	v_cndmask_b32_e64 v108, v108, v183, s3
	v_cndmask_b32_e64 v109, v109, v183, s2
	s_waitcnt lgkmcnt(0)
	s_delay_alu instid0(VALU_DEP_2) | instskip(NEXT) | instid1(VALU_DEP_2)
	v_cndmask_b32_e64 v108, v108, v115, s1
	v_cndmask_b32_e32 v109, v109, v115, vcc_lo
	s_delay_alu instid0(VALU_DEP_2) | instskip(NEXT) | instid1(VALU_DEP_2)
	v_cvt_f16_f32_e32 v115, v108
	v_cvt_f16_f32_e32 v116, v109
	s_delay_alu instid0(VALU_DEP_1) | instskip(SKIP_1) | instid1(VALU_DEP_1)
	v_pack_b32_f16 v138, v115, v116
	v_mul_f32_e32 v115, 0x3fb8aa3b, v112
	v_fma_f32 v116, 0x3fb8aa3b, v112, -v115
	v_rndne_f32_e32 v139, v115
	s_delay_alu instid0(VALU_DEP_1) | instskip(NEXT) | instid1(VALU_DEP_1)
	v_dual_fmac_f32 v116, 0x32a5705f, v112 :: v_dual_sub_f32 v115, v115, v139
	v_add_f32_e32 v115, v115, v116
	v_cvt_i32_f32_e32 v116, v139
	s_delay_alu instid0(VALU_DEP_2) | instskip(SKIP_2) | instid1(VALU_DEP_1)
	v_exp_f32_e32 v115, v115
	s_waitcnt_depctr 0xfff
	v_ldexp_f32 v115, v115, v116
	v_cndmask_b32_e64 v115, 0, v115, s4
	v_cmp_nlt_f32_e64 s4, 0x42b17218, v112
	s_delay_alu instid0(VALU_DEP_1) | instskip(SKIP_4) | instid1(VALU_DEP_2)
	v_cndmask_b32_e64 v112, 0x7f800000, v115, s4
	ds_bpermute_b32 v115, v192, v112
	v_cndmask_b32_e64 v108, v108, v112, s3
	v_cndmask_b32_e64 v109, v109, v112, s2
	s_waitcnt lgkmcnt(0)
	v_cndmask_b32_e64 v108, v108, v115, s1
	s_delay_alu instid0(VALU_DEP_2) | instskip(NEXT) | instid1(VALU_DEP_2)
	v_cndmask_b32_e32 v109, v109, v115, vcc_lo
	v_cvt_f16_f32_e32 v108, v108
	s_delay_alu instid0(VALU_DEP_2) | instskip(NEXT) | instid1(VALU_DEP_1)
	v_cvt_f16_f32_e32 v109, v109
	v_pack_b32_f16 v139, v108, v109
	v_add_nc_u32_e32 v108, 0x3200, v214
	ds_load_2addr_b32 v[108:109], v108 offset0:112 offset1:132
	ds_load_2addr_b32 v[115:116], v195 offset0:52 offset1:72
	;; [unrolled: 1-line block ×4, first 2 shown]
	s_waitcnt vmcnt(2)
	ds_load_b32 v223, v227 offset:2176
	ds_load_2addr_b32 v[144:145], v144 offset0:76 offset1:164
	ds_load_2addr_b32 v[163:164], v217 offset0:136 offset1:156
	;; [unrolled: 1-line block ×21, first 2 shown]
	ds_load_b32 v224, v230 offset:2176
	s_waitcnt lgkmcnt(26)
	v_perm_b32 v155, v109, v234, 0x5040100
	s_waitcnt lgkmcnt(24)
	v_perm_b32 v156, v141, v116, 0x5040100
	;; [unrolled: 2-line block ×8, first 2 shown]
	s_delay_alu instid0(VALU_DEP_1)
	v_wmma_f16_16x16x16_f16 v[24:31], v[155:162], v[132:139], v[24:31]
	s_waitcnt lgkmcnt(12)
	v_perm_b32 v155, v179, v177, 0x5040100
	s_waitcnt lgkmcnt(10)
	v_perm_b32 v156, v195, v181, 0x5040100
	;; [unrolled: 2-line block ×8, first 2 shown]
	s_delay_alu instid0(VALU_DEP_1)
	v_wmma_f16_16x16x16_f16 v[16:23], v[155:162], v[132:139], v[16:23]
	v_perm_b32 v155, v180, v178, 0x5040100
	v_perm_b32 v156, v196, v182, 0x5040100
	;; [unrolled: 1-line block ×6, first 2 shown]
	s_waitcnt lgkmcnt(0)
	v_perm_b32 v159, v220, v224, 0x5040100
	v_perm_b32 v161, v222, v106, 0x5040100
	s_delay_alu instid0(VALU_DEP_1)
	v_wmma_f16_16x16x16_f16 v[8:15], v[155:162], v[132:139], v[8:15]
	v_perm_b32 v155, v115, v108, 0x5040100
	v_perm_b32 v156, v142, v140, 0x5040100
	v_perm_b32 v158, v144, v163, 0x5040100
	v_perm_b32 v157, v165, v240, 0x5040100
	v_perm_b32 v160, v167, v169, 0x5040100
	v_perm_b32 v159, v171, v241, 0x5040100
	v_perm_b32 v161, v173, v242, 0x5040100
	v_perm_b32 v162, v107, v175, 0x5040100
	s_delay_alu instid0(VALU_DEP_1)
	v_wmma_f16_16x16x16_f16 v[0:7], v[155:162], v[132:139], v[0:7]
	v_perm_b32 v155, v109, v234, 0x7060302
	v_perm_b32 v157, v143, v111, 0x7060302
	;; [unrolled: 1-line block ×8, first 2 shown]
	s_clause 0x1
	scratch_load_b64 v[233:234], off, off offset:224
	scratch_load_b32 v204, off, off offset:28
	v_wmma_f16_16x16x16_f16 v[24:31], v[155:162], v[132:139], v[24:31] op_sel:[0,0,1]
	v_perm_b32 v161, v221, v104, 0x7060302
	v_add_f32_e32 v104, v117, v118
	v_perm_b32 v157, v217, v232, 0x7060302
	v_perm_b32 v159, v219, v238, 0x7060302
	;; [unrolled: 1-line block ×4, first 2 shown]
	v_add_f32_e32 v104, v120, v104
	v_perm_b32 v158, v202, v197, 0x7060302
	v_perm_b32 v160, v207, v205, 0x7060302
	;; [unrolled: 1-line block ×3, first 2 shown]
	scratch_load_b32 v215, off, off offset:108 ; 4-byte Folded Reload
	v_add_f32_e32 v104, v122, v104
	v_mov_b32_e32 v232, v253
	s_clause 0x1
	scratch_load_b64 v[253:254], off, off offset:272
	scratch_load_b64 v[238:239], off, off offset:240
	v_wmma_f16_16x16x16_f16 v[16:23], v[155:162], v[132:139], v[16:23] op_sel:[0,0,1]
	v_add_f32_e32 v104, v124, v104
	v_perm_b32 v155, v180, v178, 0x7060302
	v_perm_b32 v156, v196, v182, 0x7060302
	;; [unrolled: 1-line block ×4, first 2 shown]
	v_add_f32_e32 v104, v126, v104
	v_perm_b32 v162, v216, v211, 0x7060302
	v_perm_b32 v157, v218, v105, 0x7060302
	;; [unrolled: 1-line block ×4, first 2 shown]
	v_add_f32_e32 v104, v129, v104
	s_clause 0x5
	scratch_load_b64 v[197:198], off, off offset:152
	scratch_load_b32 v202, off, off offset:20
	scratch_load_b64 v[206:207], off, off offset:160
	scratch_load_b32 v208, off, off offset:60
	scratch_load_b64 v[210:211], off, off offset:168
	scratch_load_b64 v[217:218], off, off offset:176
	v_add_f32_e32 v104, v130, v104
	s_clause 0x2
	scratch_load_b64 v[223:224], off, off offset:200
	scratch_load_b64 v[219:220], off, off offset:184
	;; [unrolled: 1-line block ×3, first 2 shown]
	v_wmma_f16_16x16x16_f16 v[8:15], v[155:162], v[132:139], v[8:15] op_sel:[0,0,1]
	v_perm_b32 v160, v167, v169, 0x7060302
	v_add_f32_e32 v96, v96, v104
	scratch_load_b32 v167, off, off offset:24 ; 4-byte Folded Reload
	v_perm_b32 v157, v165, v240, 0x7060302
	v_perm_b32 v159, v171, v241, 0x7060302
	scratch_load_b64 v[240:241], off, off offset:248 ; 8-byte Folded Reload
	v_add_f32_e32 v96, v97, v96
	v_perm_b32 v161, v173, v242, 0x7060302
	scratch_load_b64 v[242:243], off, off offset:256 ; 8-byte Folded Reload
	v_perm_b32 v155, v115, v108, 0x7060302
	v_perm_b32 v156, v142, v140, 0x7060302
	v_add_f32_e32 v96, v98, v96
	v_perm_b32 v158, v144, v163, 0x7060302
	v_perm_b32 v162, v107, v175, 0x7060302
	s_delay_alu instid0(VALU_DEP_3) | instskip(NEXT) | instid1(VALU_DEP_2)
	v_dual_mov_b32 v97, v188 :: v_dual_add_f32 v96, v99, v96
	v_wmma_f16_16x16x16_f16 v[0:7], v[155:162], v[132:139], v[0:7] op_sel:[0,0,1]
	s_delay_alu instid0(VALU_DEP_2) | instskip(NEXT) | instid1(VALU_DEP_1)
	v_add_f32_e32 v96, v100, v96
	v_add_f32_e32 v96, v101, v96
	s_delay_alu instid0(VALU_DEP_1) | instskip(NEXT) | instid1(VALU_DEP_1)
	v_add_f32_e32 v96, v102, v96
	v_add_f32_e32 v96, v103, v96
	s_delay_alu instid0(VALU_DEP_1) | instskip(NEXT) | instid1(VALU_DEP_1)
	;; [unrolled: 3-line block ×5, first 2 shown]
	v_add_f32_e32 v96, v146, v96
	v_dual_add_f32 v96, v199, v96 :: v_dual_mov_b32 v199, v236
	s_delay_alu instid0(VALU_DEP_1) | instskip(NEXT) | instid1(VALU_DEP_1)
	v_dual_add_f32 v96, v110, v96 :: v_dual_mov_b32 v231, v189
	v_add_f32_e32 v96, v114, v96
	v_dual_mov_b32 v249, v194 :: v_dual_mov_b32 v194, v191
	s_delay_alu instid0(VALU_DEP_2) | instskip(NEXT) | instid1(VALU_DEP_1)
	v_dual_add_f32 v96, v200, v96 :: v_dual_mov_b32 v191, v187
	v_add_f32_e32 v96, v201, v96
	v_mov_b32_e32 v201, v185
	v_mov_b32_e32 v185, v237
	scratch_load_b64 v[236:237], off, off offset:232 ; 8-byte Folded Reload
	v_add_f32_e32 v96, v212, v96
	s_clause 0x1
	scratch_load_b32 v212, off, off offset:100
	scratch_load_b32 v114, off, off offset:4
	s_waitcnt vmcnt(0)
	s_barrier
	v_add_f32_e32 v96, v193, v96
	buffer_gl0_inv
	v_add_f32_e32 v96, v183, v96
	s_delay_alu instid0(VALU_DEP_1) | instskip(NEXT) | instid1(VALU_DEP_1)
	v_add_f32_e32 v188, v112, v96
	v_fmac_f32_e32 v188, v97, v131
	s_cbranch_scc1 .LBB24_87
; %bb.88:                               ;   in Loop: Header=BB24_14 Depth=1
	s_clause 0xe
	scratch_load_b32 v169, off, off offset:660
	scratch_load_b32 v193, off, off offset:664
	;; [unrolled: 1-line block ×3, first 2 shown]
	scratch_load_b64 v[162:163], off, off offset:676
	scratch_load_b32 v163, off, off offset:684
	scratch_load_b32 v164, off, off offset:688
	;; [unrolled: 1-line block ×11, first 2 shown]
	v_dual_mov_b32 v166, 0 :: v_dual_mov_b32 v157, 32
	s_waitcnt vmcnt(13)
	v_add_nc_u32_e32 v170, 60, v193
	v_add_nc_u32_e32 v171, 56, v193
	;; [unrolled: 1-line block ×5, first 2 shown]
	v_and_b32_e32 v175, 15, v193
	v_add_nc_u32_e32 v176, 40, v193
	v_add_nc_u32_e32 v177, 36, v193
	v_add_nc_u32_e32 v178, 32, v193
	v_add_nc_u32_e32 v179, 28, v193
	v_add_nc_u32_e32 v180, 24, v193
	v_add_nc_u32_e32 v181, 20, v193
	v_add_nc_u32_e32 v182, 16, v193
	v_add_nc_u32_e32 v183, 12, v193
	v_add_nc_u32_e32 v187, 8, v193
	v_add_nc_u32_e32 v189, 4, v193
.LBB24_89:                              ;   in Loop: Header=BB24_14 Depth=1
	s_lshl_b32 s2, s14, 6
	s_waitcnt vmcnt(8)
	v_lshlrev_b32_e32 v98, 1, v165
	s_ashr_i32 s3, s2, 31
	v_lshlrev_b64 v[96:97], 1, v[153:154]
	s_lshl_b64 s[4:5], s[2:3], 1
	v_dual_mov_b32 v138, s43 :: v_dual_mov_b32 v131, s36
	s_add_u32 s1, s99, s4
	s_addc_u32 s3, s100, s5
	v_mov_b32_e32 v137, s42
	v_add_co_u32 v104, s1, s1, v98
	s_delay_alu instid0(VALU_DEP_1) | instskip(SKIP_1) | instid1(VALU_DEP_3)
	v_add_co_ci_u32_e64 v105, null, s3, 0, s1
	v_lshlrev_b64 v[98:99], 1, v[151:152]
	v_add_co_u32 v96, vcc_lo, v104, v96
	v_lshlrev_b64 v[100:101], 1, v[149:150]
	s_delay_alu instid0(VALU_DEP_4) | instskip(NEXT) | instid1(VALU_DEP_4)
	v_add_co_ci_u32_e32 v97, vcc_lo, v105, v97, vcc_lo
	v_add_co_u32 v98, vcc_lo, v104, v98
	v_lshlrev_b64 v[102:103], 1, v[147:148]
	v_add_co_ci_u32_e32 v99, vcc_lo, v105, v99, vcc_lo
	v_add_co_u32 v100, vcc_lo, v104, v100
	v_add_co_ci_u32_e32 v101, vcc_lo, v105, v101, vcc_lo
	s_delay_alu instid0(VALU_DEP_4)
	v_add_co_u32 v102, vcc_lo, v104, v102
	v_add_co_ci_u32_e32 v103, vcc_lo, v105, v103, vcc_lo
	s_clause 0x3
	global_load_b32 v96, v[96:97], off
	global_load_b32 v97, v[98:99], off
	;; [unrolled: 1-line block ×4, first 2 shown]
	v_dual_mov_b32 v135, s40 :: v_dual_add_nc_u32 v100, v204, v167
	s_mul_hi_i32 s5, s12, s2
	s_mul_i32 s4, s12, s2
	s_delay_alu instid0(VALU_DEP_1)
	v_dual_mov_b32 v136, s41 :: v_dual_add_nc_u32 v101, 0x4400, v100
	s_lshl_b64 s[4:5], s[4:5], 2
	v_mov_b32_e32 v134, s39
	s_add_u32 s1, s97, s4
	s_addc_u32 s3, s98, s5
	v_dual_mov_b32 v132, s37 :: v_dual_add_nc_u32 v161, 0x2000, v214
	v_mov_b32_e32 v133, s38
	s_waitcnt vmcnt(2)
	ds_store_2addr_b32 v101, v96, v97 offset1:144
	v_add_nc_u32_e32 v96, 0x4800, v100
	s_waitcnt vmcnt(0)
	ds_store_2addr_b32 v96, v98, v99 offset0:32 offset1:176
	v_add_co_u32 v96, vcc_lo, s1, v228
	v_add_co_ci_u32_e32 v97, vcc_lo, s3, v229, vcc_lo
	s_delay_alu instid0(VALU_DEP_2) | instskip(NEXT) | instid1(VALU_DEP_2)
	v_add_co_u32 v96, vcc_lo, v96, v246
	v_add_co_ci_u32_e32 v97, vcc_lo, 0, v97, vcc_lo
	v_add_co_u32 v98, vcc_lo, s1, v233
	v_add_co_ci_u32_e32 v99, vcc_lo, s3, v234, vcc_lo
	s_delay_alu instid0(VALU_DEP_2) | instskip(NEXT) | instid1(VALU_DEP_2)
	v_add_co_u32 v100, vcc_lo, v98, v246
	v_add_co_ci_u32_e32 v101, vcc_lo, 0, v99, vcc_lo
	s_clause 0x1
	global_load_b128 v[96:99], v[96:97], off
	global_load_b128 v[100:103], v[100:101], off
	s_waitcnt vmcnt(1)
	ds_store_b128 v208, v[96:99]
	s_waitcnt vmcnt(0)
	ds_store_b128 v194, v[100:103]
	v_add_co_u32 v96, vcc_lo, s1, v236
	v_add_co_ci_u32_e32 v97, vcc_lo, s3, v237, vcc_lo
	s_delay_alu instid0(VALU_DEP_2) | instskip(NEXT) | instid1(VALU_DEP_2)
	v_add_co_u32 v96, vcc_lo, v96, v246
	v_add_co_ci_u32_e32 v97, vcc_lo, 0, v97, vcc_lo
	v_add_co_u32 v98, vcc_lo, s1, v238
	v_add_co_ci_u32_e32 v99, vcc_lo, s3, v239, vcc_lo
	s_delay_alu instid0(VALU_DEP_2) | instskip(NEXT) | instid1(VALU_DEP_2)
	v_add_co_u32 v100, vcc_lo, v98, v246
	v_add_co_ci_u32_e32 v101, vcc_lo, 0, v99, vcc_lo
	s_clause 0x1
	global_load_b128 v[96:99], v[96:97], off
	global_load_b128 v[100:103], v[100:101], off
	s_waitcnt vmcnt(1)
	ds_store_b128 v191, v[96:99]
	s_waitcnt vmcnt(0)
	ds_store_b128 v251, v[100:103]
	;; [unrolled: 17-line block ×3, first 2 shown]
	v_add_co_u32 v96, vcc_lo, s1, v244
	v_add_co_ci_u32_e32 v97, vcc_lo, s3, v245, vcc_lo
	s_delay_alu instid0(VALU_DEP_2) | instskip(NEXT) | instid1(VALU_DEP_2)
	v_add_co_u32 v96, vcc_lo, v96, v246
	v_add_co_ci_u32_e32 v97, vcc_lo, 0, v97, vcc_lo
	v_add_co_u32 v98, vcc_lo, s1, v253
	v_add_co_ci_u32_e32 v99, vcc_lo, s3, v254, vcc_lo
	s_mul_hi_i32 s3, s10, s2
	s_delay_alu instid0(VALU_DEP_2) | instskip(NEXT) | instid1(VALU_DEP_2)
	v_add_co_u32 v100, vcc_lo, v98, v246
	v_add_co_ci_u32_e32 v101, vcc_lo, 0, v99, vcc_lo
	s_clause 0x1
	global_load_b128 v[96:99], v[96:97], off
	global_load_b128 v[100:103], v[100:101], off
	scratch_load_b32 v155, off, off offset:8 ; 4-byte Folded Reload
	v_cmp_lt_i32_e32 vcc_lo, v156, v157
	s_mul_i32 s2, s10, s2
	s_delay_alu instid0(SALU_CYCLE_1) | instskip(NEXT) | instid1(SALU_CYCLE_1)
	s_lshl_b64 s[2:3], s[2:3], 2
	s_add_u32 s1, s95, s2
	s_addc_u32 s2, s96, s3
	v_cmp_eq_u32_e64 s3, 1, v202
	s_cmp_eq_u64 s[72:73], 0
	s_waitcnt vmcnt(2)
	ds_store_b128 v114, v[96:99]
	s_waitcnt vmcnt(0)
	ds_store_b128 v155, v[100:103]
	s_waitcnt lgkmcnt(0)
	s_waitcnt_vscnt null, 0x0
	s_barrier
	buffer_gl0_inv
	ds_load_b128 v[96:99], v209
	ds_load_b128 v[100:103], v209 offset:16
	ds_load_b128 v[104:107], v209 offset:4352
	ds_load_b128 v[108:111], v209 offset:4368
	ds_load_b128 v[115:118], v209 offset:8704
	ds_load_b128 v[119:122], v209 offset:8720
	ds_load_b128 v[123:126], v209 offset:13056
	ds_load_b128 v[127:130], v209 offset:13072
	s_waitcnt lgkmcnt(6)
	v_wmma_f32_16x16x16_f16 v[139:146], v[96:103], v[88:95], v[131:138]
	s_waitcnt lgkmcnt(4)
	v_wmma_f32_16x16x16_f16 v[147:154], v[104:111], v[88:95], v[131:138]
	;; [unrolled: 2-line block ×4, first 2 shown]
	ds_load_b128 v[88:91], v209 offset:32
	ds_load_b128 v[92:95], v209 offset:48
	s_waitcnt lgkmcnt(0)
	v_wmma_f32_16x16x16_f16 v[139:146], v[88:95], v[80:87], v[139:146]
	ds_load_b128 v[88:91], v209 offset:4384
	ds_load_b128 v[92:95], v209 offset:4400
	s_waitcnt lgkmcnt(0)
	v_wmma_f32_16x16x16_f16 v[147:154], v[88:95], v[80:87], v[147:154]
	;; [unrolled: 4-line block ×27, first 2 shown]
	ds_load_b128 v[32:35], v209 offset:13280
	ds_load_b128 v[36:39], v209 offset:13296
	s_waitcnt lgkmcnt(0)
	s_barrier
	buffer_gl0_inv
	v_wmma_f32_16x16x16_f16 v[96:103], v[32:39], v[40:47], v[96:103]
	ds_load_u16 v32, v213
	ds_load_u16 v33, v213 offset:4
	ds_load_u16 v34, v213 offset:8
	;; [unrolled: 1-line block ×15, first 2 shown]
	s_waitcnt lgkmcnt(15)
	v_cvt_f32_f16_e32 v32, v32
	s_waitcnt lgkmcnt(7)
	v_cvt_f32_f16_e32 v40, v40
	;; [unrolled: 2-line block ×4, first 2 shown]
	v_cvt_f32_f16_e32 v36, v36
	s_waitcnt lgkmcnt(4)
	v_cvt_f32_f16_e32 v43, v43
	v_cvt_f32_f16_e32 v38, v38
	s_waitcnt lgkmcnt(3)
	v_cvt_f32_f16_e32 v44, v44
	s_waitcnt lgkmcnt(2)
	;; [unrolled: 2-line block ×4, first 2 shown]
	v_cvt_f32_f16_e32 v47, v47
	v_add_f32_e32 v36, v143, v36
	v_dual_add_f32 v38, v145, v38 :: v_dual_add_f32 v93, v151, v44
	v_dual_add_f32 v112, v147, v40 :: v_dual_add_f32 v95, v149, v42
	;; [unrolled: 1-line block ×4, first 2 shown]
	v_add_f32_e32 v90, v154, v47
	ds_load_u16 v40, v213 offset:64
	ds_load_u16 v41, v213 offset:68
	;; [unrolled: 1-line block ×8, first 2 shown]
	v_cvt_f32_f16_e32 v33, v33
	v_cvt_f32_f16_e32 v34, v34
	;; [unrolled: 1-line block ×4, first 2 shown]
	s_delay_alu instid0(VALU_DEP_4) | instskip(SKIP_1) | instid1(VALU_DEP_4)
	v_dual_add_f32 v32, v139, v32 :: v_dual_add_f32 v33, v140, v33
	v_cvt_f32_f16_e32 v39, v39
	v_dual_add_f32 v34, v141, v34 :: v_dual_add_f32 v35, v142, v35
	s_delay_alu instid0(VALU_DEP_4) | instskip(NEXT) | instid1(VALU_DEP_3)
	v_add_f32_e32 v37, v144, v37
	v_add_f32_e32 v39, v146, v39
	s_waitcnt lgkmcnt(7)
	v_cvt_f32_f16_e32 v40, v40
	s_waitcnt lgkmcnt(6)
	v_cvt_f32_f16_e32 v41, v41
	;; [unrolled: 2-line block ×8, first 2 shown]
	v_dual_add_f32 v88, v104, v40 :: v_dual_add_f32 v89, v105, v41
	v_add_f32_e32 v87, v106, v42
	v_dual_add_f32 v83, v110, v46 :: v_dual_add_f32 v86, v107, v43
	v_dual_add_f32 v85, v108, v44 :: v_dual_add_f32 v84, v109, v45
	v_add_f32_e32 v82, v111, v47
	ds_load_u16 v40, v213 offset:96
	ds_load_u16 v41, v213 offset:100
	;; [unrolled: 1-line block ×8, first 2 shown]
	v_add_nc_u32_e32 v105, 0x800, v214
	v_add_nc_u32_e32 v106, 0xc00, v214
	s_waitcnt lgkmcnt(7)
	v_cvt_f32_f16_e32 v40, v40
	s_waitcnt lgkmcnt(6)
	v_cvt_f32_f16_e32 v41, v41
	;; [unrolled: 2-line block ×8, first 2 shown]
	v_dual_add_f32 v80, v96, v40 :: v_dual_add_f32 v81, v97, v41
	v_dual_add_f32 v40, 0x40051340, v32 :: v_dual_add_f32 v41, 0x40051340, v33
	s_delay_alu instid0(VALU_DEP_3) | instskip(SKIP_2) | instid1(VALU_DEP_4)
	v_dual_add_f32 v74, v103, v47 :: v_dual_add_f32 v79, v98, v42
	v_add_f32_e32 v76, v101, v45
	v_add_f32_e32 v42, 0x40051340, v35
	v_max3_f32 v40, v190, v40, v41
	v_add_f32_e32 v41, 0x40051340, v34
	v_dual_add_f32 v75, v102, v46 :: v_dual_add_f32 v78, v99, v43
	v_add_f32_e32 v77, v100, v44
	s_delay_alu instid0(VALU_DEP_3) | instskip(SKIP_1) | instid1(VALU_DEP_1)
	v_max3_f32 v40, v40, v41, v42
	v_dual_add_f32 v41, 0x40051340, v36 :: v_dual_add_f32 v42, 0x40051340, v37
	v_max3_f32 v40, v40, v41, v42
	v_dual_add_f32 v41, 0x40051340, v38 :: v_dual_add_f32 v42, 0x40051340, v39
	s_delay_alu instid0(VALU_DEP_1) | instskip(SKIP_1) | instid1(VALU_DEP_1)
	v_max3_f32 v40, v40, v41, v42
	v_dual_add_f32 v41, 0x40051340, v112 :: v_dual_add_f32 v42, 0x40051340, v147
	v_max3_f32 v40, v40, v41, v42
	v_dual_add_f32 v41, 0x40051340, v95 :: v_dual_add_f32 v42, 0x40051340, v94
	s_delay_alu instid0(VALU_DEP_1) | instskip(SKIP_1) | instid1(VALU_DEP_1)
	;; [unrolled: 5-line block ×6, first 2 shown]
	v_max3_f32 v40, v40, v41, v42
	v_dual_add_f32 v41, 0x40051340, v77 :: v_dual_add_f32 v42, 0x40051340, v76
	v_max3_f32 v40, v40, v41, v42
	v_dual_add_f32 v41, 0x40051340, v75 :: v_dual_add_f32 v42, 0x40051340, v74
	s_delay_alu instid0(VALU_DEP_1) | instskip(SKIP_3) | instid1(VALU_DEP_1)
	v_max3_f32 v40, v40, v41, v42
	scratch_load_b32 v41, off, off offset:448 ; 4-byte Folded Reload
	s_waitcnt vmcnt(0)
	v_cndmask_b32_e32 v41, v41, v156, vcc_lo
	v_lshlrev_b32_e32 v73, 2, v41
	ds_bpermute_b32 v41, v73, v40
	s_waitcnt lgkmcnt(0)
	v_max_f32_e32 v41, v41, v41
	s_delay_alu instid0(VALU_DEP_1) | instskip(NEXT) | instid1(VALU_DEP_1)
	v_max_f32_e32 v48, v40, v41
	v_sub_f32_e32 v40, v190, v48
	s_delay_alu instid0(VALU_DEP_1)
	v_mul_f32_e32 v41, 0x3fb8aa3b, v40
	v_sub_f32_e32 v33, v33, v48
	v_cmp_ngt_f32_e32 vcc_lo, 0xc2ce8ed0, v40
	v_sub_f32_e32 v32, v32, v48
	v_sub_f32_e32 v36, v36, v48
	v_fma_f32 v42, 0x3fb8aa3b, v40, -v41
	v_rndne_f32_e32 v43, v41
	v_sub_f32_e32 v38, v38, v48
	s_delay_alu instid0(VALU_DEP_2) | instskip(NEXT) | instid1(VALU_DEP_1)
	v_dual_fmac_f32 v42, 0x32a5705f, v40 :: v_dual_sub_f32 v41, v41, v43
	v_add_f32_e32 v41, v41, v42
	v_cvt_i32_f32_e32 v42, v43
	s_delay_alu instid0(VALU_DEP_2) | instskip(SKIP_2) | instid1(VALU_DEP_1)
	v_exp_f32_e32 v41, v41
	s_waitcnt_depctr 0xfff
	v_ldexp_f32 v41, v41, v42
	v_cndmask_b32_e32 v41, 0, v41, vcc_lo
	v_cmp_nlt_f32_e32 vcc_lo, 0x42b17218, v40
	s_delay_alu instid0(VALU_DEP_2) | instskip(SKIP_1) | instid1(VALU_DEP_2)
	v_cndmask_b32_e32 v41, 0x7f800000, v41, vcc_lo
	v_cmp_le_f32_e32 vcc_lo, 0xc1a00000, v40
	v_cndmask_b32_e32 v96, 0, v41, vcc_lo
	s_delay_alu instid0(VALU_DEP_1) | instskip(NEXT) | instid1(VALU_DEP_1)
	v_cvt_f16_f32_e32 v40, v96
	v_pk_mul_f16 v24, v40, v24 op_sel_hi:[0,1]
	v_pk_mul_f16 v25, v40, v25 op_sel_hi:[0,1]
	;; [unrolled: 1-line block ×32, first 2 shown]
	v_add_co_u32 v40, vcc_lo, s1, v197
	v_add_co_ci_u32_e32 v41, vcc_lo, s2, v198, vcc_lo
	s_delay_alu instid0(VALU_DEP_2) | instskip(NEXT) | instid1(VALU_DEP_2)
	v_add_co_u32 v40, vcc_lo, v40, v246
	v_add_co_ci_u32_e32 v41, vcc_lo, 0, v41, vcc_lo
	v_add_co_u32 v42, vcc_lo, s1, v206
	v_add_co_ci_u32_e32 v43, vcc_lo, s2, v207, vcc_lo
	s_delay_alu instid0(VALU_DEP_2) | instskip(NEXT) | instid1(VALU_DEP_2)
	v_add_co_u32 v44, vcc_lo, v42, v246
	v_add_co_ci_u32_e32 v45, vcc_lo, 0, v43, vcc_lo
	s_clause 0x1
	global_load_b128 v[40:43], v[40:41], off
	global_load_b128 v[44:47], v[44:45], off
	s_waitcnt vmcnt(1)
	ds_store_b128 v208, v[40:43]
	s_waitcnt vmcnt(0)
	ds_store_b128 v194, v[44:47]
	v_add_co_u32 v40, vcc_lo, s1, v210
	v_add_co_ci_u32_e32 v41, vcc_lo, s2, v211, vcc_lo
	s_delay_alu instid0(VALU_DEP_2) | instskip(NEXT) | instid1(VALU_DEP_2)
	v_add_co_u32 v40, vcc_lo, v40, v246
	v_add_co_ci_u32_e32 v41, vcc_lo, 0, v41, vcc_lo
	v_add_co_u32 v42, vcc_lo, s1, v217
	v_add_co_ci_u32_e32 v43, vcc_lo, s2, v218, vcc_lo
	s_delay_alu instid0(VALU_DEP_2) | instskip(NEXT) | instid1(VALU_DEP_2)
	v_add_co_u32 v44, vcc_lo, v42, v246
	v_add_co_ci_u32_e32 v45, vcc_lo, 0, v43, vcc_lo
	s_clause 0x1
	global_load_b128 v[40:43], v[40:41], off
	global_load_b128 v[44:47], v[44:45], off
	s_waitcnt vmcnt(1)
	ds_store_b128 v191, v[40:43]
	s_waitcnt vmcnt(0)
	ds_store_b128 v251, v[44:47]
	;; [unrolled: 17-line block ×3, first 2 shown]
	v_add_co_u32 v40, vcc_lo, s1, v223
	v_add_co_ci_u32_e32 v41, vcc_lo, s2, v224, vcc_lo
	s_delay_alu instid0(VALU_DEP_2) | instskip(NEXT) | instid1(VALU_DEP_2)
	v_add_co_u32 v40, vcc_lo, v40, v246
	v_add_co_ci_u32_e32 v41, vcc_lo, 0, v41, vcc_lo
	v_add_co_u32 v42, vcc_lo, s1, v225
	v_add_co_ci_u32_e32 v43, vcc_lo, s2, v226, vcc_lo
	v_cmp_ngt_f32_e64 s1, 0xc2ce8ed0, v32
	s_delay_alu instid0(VALU_DEP_3) | instskip(NEXT) | instid1(VALU_DEP_3)
	v_add_co_u32 v44, vcc_lo, v42, v246
	v_add_co_ci_u32_e32 v45, vcc_lo, 0, v43, vcc_lo
	s_clause 0x1
	global_load_b128 v[40:43], v[40:41], off
	global_load_b128 v[44:47], v[44:45], off
	s_waitcnt vmcnt(1)
	ds_store_b128 v114, v[40:43]
	s_waitcnt vmcnt(0)
	ds_store_b128 v155, v[44:47]
	v_mul_f32_e32 v40, 0x3fb8aa3b, v33
	v_cmp_eq_u32_e64 s2, 0, v202
	s_waitcnt lgkmcnt(0)
	s_barrier
	buffer_gl0_inv
	v_fma_f32 v41, 0x3fb8aa3b, v33, -v40
	v_rndne_f32_e32 v42, v40
	ds_load_2addr_b32 v[59:60], v214 offset1:16
	ds_load_2addr_b32 v[61:62], v214 offset0:68 offset1:84
	ds_load_2addr_b32 v[63:64], v214 offset0:136 offset1:152
	;; [unrolled: 1-line block ×3, first 2 shown]
	v_add_nc_u32_e32 v114, 0x1000, v214
	v_dual_fmac_f32 v41, 0x32a5705f, v33 :: v_dual_sub_f32 v40, v40, v42
	v_cvt_i32_f32_e32 v42, v42
	s_delay_alu instid0(VALU_DEP_2) | instskip(SKIP_1) | instid1(VALU_DEP_2)
	v_dual_add_f32 v40, v40, v41 :: v_dual_mul_f32 v41, 0x3fb8aa3b, v32
	v_cmp_ngt_f32_e32 vcc_lo, 0xc2ce8ed0, v33
	v_exp_f32_e32 v40, v40
	s_delay_alu instid0(VALU_DEP_2)
	v_fma_f32 v43, 0x3fb8aa3b, v32, -v41
	v_rndne_f32_e32 v44, v41
	s_waitcnt lgkmcnt(2)
	v_perm_b32 v115, v61, v59, 0x5040100
	s_waitcnt lgkmcnt(0)
	v_perm_b32 v116, v65, v63, 0x5040100
	s_waitcnt_depctr 0xfff
	v_ldexp_f32 v40, v40, v42
	v_cvt_i32_f32_e32 v42, v44
	s_delay_alu instid0(VALU_DEP_2) | instskip(SKIP_1) | instid1(VALU_DEP_2)
	v_cndmask_b32_e32 v40, 0, v40, vcc_lo
	v_cmp_nlt_f32_e32 vcc_lo, 0x42b17218, v33
	v_cndmask_b32_e32 v98, 0x7f800000, v40, vcc_lo
	v_cmp_eq_u32_e32 vcc_lo, 1, v249
	v_fmac_f32_e32 v43, 0x32a5705f, v32
	v_sub_f32_e32 v35, v35, v48
	v_sub_f32_e32 v34, v34, v48
	;; [unrolled: 1-line block ×3, first 2 shown]
	ds_bpermute_b32 v40, v73, v98
	v_sub_f32_e32 v37, v37, v48
	v_sub_f32_e32 v39, v39, v48
	v_cmp_ngt_f32_e64 s4, 0xc2ce8ed0, v34
	v_add_f32_e32 v41, v41, v43
	s_delay_alu instid0(VALU_DEP_1) | instskip(SKIP_2) | instid1(VALU_DEP_1)
	v_exp_f32_e32 v41, v41
	s_waitcnt_depctr 0xfff
	v_ldexp_f32 v41, v41, v42
	v_cndmask_b32_e64 v33, 0, v41, s1
	v_cmp_nlt_f32_e64 s1, 0x42b17218, v32
	s_delay_alu instid0(VALU_DEP_1)
	v_cndmask_b32_e64 v97, 0x7f800000, v33, s1
	v_cmp_eq_u32_e64 s1, 0, v249
	ds_bpermute_b32 v32, v73, v97
	s_waitcnt lgkmcnt(0)
	v_cndmask_b32_e64 v33, v97, v32, s1
	v_cndmask_b32_e32 v32, v97, v32, vcc_lo
	s_delay_alu instid0(VALU_DEP_2) | instskip(NEXT) | instid1(VALU_DEP_2)
	v_cndmask_b32_e64 v41, v33, v98, s2
	v_cndmask_b32_e64 v42, v32, v98, s3
	v_cvt_f16_f32_e32 v33, v33
	v_cvt_f16_f32_e32 v32, v32
	s_delay_alu instid0(VALU_DEP_4) | instskip(NEXT) | instid1(VALU_DEP_4)
	v_cndmask_b32_e64 v41, v41, v40, s1
	v_cndmask_b32_e32 v40, v42, v40, vcc_lo
	s_delay_alu instid0(VALU_DEP_3) | instskip(NEXT) | instid1(VALU_DEP_3)
	v_pack_b32_f16 v32, v33, v32
	v_cvt_f16_f32_e32 v42, v41
	s_delay_alu instid0(VALU_DEP_3) | instskip(NEXT) | instid1(VALU_DEP_1)
	v_cvt_f16_f32_e32 v43, v40
	v_pack_b32_f16 v33, v42, v43
	v_mul_f32_e32 v42, 0x3fb8aa3b, v34
	s_delay_alu instid0(VALU_DEP_1) | instskip(SKIP_1) | instid1(VALU_DEP_1)
	v_fma_f32 v43, 0x3fb8aa3b, v34, -v42
	v_rndne_f32_e32 v44, v42
	v_dual_fmac_f32 v43, 0x32a5705f, v34 :: v_dual_sub_f32 v42, v42, v44
	s_delay_alu instid0(VALU_DEP_1) | instskip(SKIP_1) | instid1(VALU_DEP_2)
	v_add_f32_e32 v42, v42, v43
	v_cvt_i32_f32_e32 v43, v44
	v_exp_f32_e32 v42, v42
	s_waitcnt_depctr 0xfff
	v_ldexp_f32 v42, v42, v43
	s_delay_alu instid0(VALU_DEP_1) | instskip(SKIP_1) | instid1(VALU_DEP_1)
	v_cndmask_b32_e64 v42, 0, v42, s4
	v_cmp_nlt_f32_e64 s4, 0x42b17218, v34
	v_cndmask_b32_e64 v99, 0x7f800000, v42, s4
	v_cmp_ngt_f32_e64 s4, 0xc2ce8ed0, v35
	s_delay_alu instid0(VALU_DEP_2) | instskip(SKIP_4) | instid1(VALU_DEP_2)
	v_cndmask_b32_e64 v34, v41, v99, s2
	ds_bpermute_b32 v41, v73, v99
	v_cndmask_b32_e64 v40, v40, v99, s3
	s_waitcnt lgkmcnt(0)
	v_cndmask_b32_e64 v42, v34, v41, s1
	v_cndmask_b32_e32 v40, v40, v41, vcc_lo
	s_delay_alu instid0(VALU_DEP_2) | instskip(NEXT) | instid1(VALU_DEP_2)
	v_cvt_f16_f32_e32 v34, v42
	v_cvt_f16_f32_e32 v41, v40
	s_delay_alu instid0(VALU_DEP_1) | instskip(SKIP_1) | instid1(VALU_DEP_1)
	v_pack_b32_f16 v34, v34, v41
	v_mul_f32_e32 v41, 0x3fb8aa3b, v35
	v_fma_f32 v43, 0x3fb8aa3b, v35, -v41
	v_rndne_f32_e32 v44, v41
	s_delay_alu instid0(VALU_DEP_2) | instskip(NEXT) | instid1(VALU_DEP_2)
	v_fmac_f32_e32 v43, 0x32a5705f, v35
	v_sub_f32_e32 v41, v41, v44
	s_delay_alu instid0(VALU_DEP_1) | instskip(SKIP_1) | instid1(VALU_DEP_2)
	v_add_f32_e32 v41, v41, v43
	v_cvt_i32_f32_e32 v43, v44
	v_exp_f32_e32 v41, v41
	s_waitcnt_depctr 0xfff
	v_ldexp_f32 v41, v41, v43
	s_delay_alu instid0(VALU_DEP_1) | instskip(SKIP_1) | instid1(VALU_DEP_1)
	v_cndmask_b32_e64 v41, 0, v41, s4
	v_cmp_nlt_f32_e64 s4, 0x42b17218, v35
	v_cndmask_b32_e64 v100, 0x7f800000, v41, s4
	ds_bpermute_b32 v41, v73, v100
	v_cndmask_b32_e64 v35, v42, v100, s2
	v_cndmask_b32_e64 v40, v40, v100, s3
	s_waitcnt lgkmcnt(0)
	s_delay_alu instid0(VALU_DEP_2) | instskip(NEXT) | instid1(VALU_DEP_2)
	v_cndmask_b32_e64 v42, v35, v41, s1
	v_cndmask_b32_e32 v40, v40, v41, vcc_lo
	s_delay_alu instid0(VALU_DEP_2) | instskip(NEXT) | instid1(VALU_DEP_2)
	v_cvt_f16_f32_e32 v35, v42
	v_cvt_f16_f32_e32 v41, v40
	s_delay_alu instid0(VALU_DEP_1) | instskip(SKIP_1) | instid1(VALU_DEP_1)
	v_pack_b32_f16 v35, v35, v41
	v_mul_f32_e32 v41, 0x3fb8aa3b, v36
	v_fma_f32 v43, 0x3fb8aa3b, v36, -v41
	v_rndne_f32_e32 v44, v41
	s_delay_alu instid0(VALU_DEP_2) | instskip(NEXT) | instid1(VALU_DEP_2)
	v_fmac_f32_e32 v43, 0x32a5705f, v36
	v_sub_f32_e32 v41, v41, v44
	s_delay_alu instid0(VALU_DEP_1) | instskip(SKIP_2) | instid1(VALU_DEP_3)
	v_add_f32_e32 v41, v41, v43
	v_cvt_i32_f32_e32 v43, v44
	v_cmp_ngt_f32_e64 s4, 0xc2ce8ed0, v36
	v_exp_f32_e32 v41, v41
	s_waitcnt_depctr 0xfff
	v_ldexp_f32 v41, v41, v43
	s_delay_alu instid0(VALU_DEP_1) | instskip(SKIP_1) | instid1(VALU_DEP_1)
	v_cndmask_b32_e64 v41, 0, v41, s4
	v_cmp_nlt_f32_e64 s4, 0x42b17218, v36
	v_cndmask_b32_e64 v101, 0x7f800000, v41, s4
	v_cmp_ngt_f32_e64 s4, 0xc2ce8ed0, v37
	ds_bpermute_b32 v41, v73, v101
	v_cndmask_b32_e64 v36, v42, v101, s2
	v_cndmask_b32_e64 v40, v40, v101, s3
	s_waitcnt lgkmcnt(0)
	s_delay_alu instid0(VALU_DEP_2) | instskip(NEXT) | instid1(VALU_DEP_2)
	v_cndmask_b32_e64 v42, v36, v41, s1
	v_cndmask_b32_e32 v40, v40, v41, vcc_lo
	s_delay_alu instid0(VALU_DEP_2) | instskip(NEXT) | instid1(VALU_DEP_2)
	v_cvt_f16_f32_e32 v36, v42
	v_cvt_f16_f32_e32 v41, v40
	s_delay_alu instid0(VALU_DEP_1) | instskip(SKIP_1) | instid1(VALU_DEP_1)
	v_pack_b32_f16 v36, v36, v41
	v_mul_f32_e32 v41, 0x3fb8aa3b, v37
	v_fma_f32 v43, 0x3fb8aa3b, v37, -v41
	v_rndne_f32_e32 v44, v41
	s_delay_alu instid0(VALU_DEP_2) | instskip(NEXT) | instid1(VALU_DEP_2)
	v_fmac_f32_e32 v43, 0x32a5705f, v37
	v_sub_f32_e32 v41, v41, v44
	s_delay_alu instid0(VALU_DEP_1) | instskip(SKIP_1) | instid1(VALU_DEP_2)
	v_add_f32_e32 v41, v41, v43
	v_cvt_i32_f32_e32 v43, v44
	v_exp_f32_e32 v41, v41
	s_waitcnt_depctr 0xfff
	v_ldexp_f32 v41, v41, v43
	s_delay_alu instid0(VALU_DEP_1) | instskip(SKIP_1) | instid1(VALU_DEP_1)
	v_cndmask_b32_e64 v41, 0, v41, s4
	v_cmp_nlt_f32_e64 s4, 0x42b17218, v37
	v_cndmask_b32_e64 v102, 0x7f800000, v41, s4
	v_cmp_ngt_f32_e64 s4, 0xc2ce8ed0, v38
	ds_bpermute_b32 v41, v73, v102
	v_cndmask_b32_e64 v37, v42, v102, s2
	v_cndmask_b32_e64 v40, v40, v102, s3
	s_waitcnt lgkmcnt(0)
	s_delay_alu instid0(VALU_DEP_2) | instskip(NEXT) | instid1(VALU_DEP_2)
	v_cndmask_b32_e64 v42, v37, v41, s1
	v_cndmask_b32_e32 v40, v40, v41, vcc_lo
	s_delay_alu instid0(VALU_DEP_2) | instskip(NEXT) | instid1(VALU_DEP_2)
	v_cvt_f16_f32_e32 v37, v42
	v_cvt_f16_f32_e32 v41, v40
	s_delay_alu instid0(VALU_DEP_1) | instskip(SKIP_1) | instid1(VALU_DEP_1)
	v_pack_b32_f16 v37, v37, v41
	v_mul_f32_e32 v41, 0x3fb8aa3b, v38
	v_fma_f32 v43, 0x3fb8aa3b, v38, -v41
	v_rndne_f32_e32 v44, v41
	s_delay_alu instid0(VALU_DEP_2) | instskip(NEXT) | instid1(VALU_DEP_2)
	v_fmac_f32_e32 v43, 0x32a5705f, v38
	v_sub_f32_e32 v41, v41, v44
	s_delay_alu instid0(VALU_DEP_1) | instskip(SKIP_1) | instid1(VALU_DEP_2)
	v_add_f32_e32 v41, v41, v43
	v_cvt_i32_f32_e32 v43, v44
	;; [unrolled: 29-line block ×3, first 2 shown]
	v_exp_f32_e32 v41, v41
	s_waitcnt_depctr 0xfff
	v_ldexp_f32 v41, v41, v43
	v_add_nc_u32_e32 v43, 0x400, v214
	s_delay_alu instid0(VALU_DEP_2) | instskip(SKIP_1) | instid1(VALU_DEP_1)
	v_cndmask_b32_e64 v41, 0, v41, s4
	v_cmp_nlt_f32_e64 s4, 0x42b17218, v39
	v_cndmask_b32_e64 v104, 0x7f800000, v41, s4
	ds_bpermute_b32 v41, v73, v104
	v_cndmask_b32_e64 v39, v42, v104, s2
	v_cndmask_b32_e64 v40, v40, v104, s3
	s_waitcnt lgkmcnt(0)
	s_delay_alu instid0(VALU_DEP_2) | instskip(NEXT) | instid1(VALU_DEP_2)
	v_cndmask_b32_e64 v39, v39, v41, s1
	v_cndmask_b32_e32 v40, v40, v41, vcc_lo
	s_delay_alu instid0(VALU_DEP_2) | instskip(NEXT) | instid1(VALU_DEP_2)
	v_cvt_f16_f32_e32 v39, v39
	v_cvt_f16_f32_e32 v40, v40
	s_delay_alu instid0(VALU_DEP_1)
	v_pack_b32_f16 v39, v39, v40
	ds_load_2addr_b32 v[40:41], v43 offset0:16 offset1:84
	ds_load_2addr_b32 v[49:50], v43 offset0:132 offset1:152
	ds_load_2addr_b32 v[51:52], v43 offset0:200 offset1:220
	ds_load_2addr_b32 v[53:54], v105 offset0:12 offset1:32
	ds_load_2addr_b32 v[67:68], v105 offset0:100 offset1:116
	ds_load_2addr_b32 v[69:70], v105 offset0:168 offset1:184
	ds_load_2addr_b32 v[71:72], v105 offset0:236 offset1:252
	ds_load_2addr_b32 v[44:45], v106 offset0:48 offset1:116
	ds_load_2addr_b32 v[55:56], v106 offset0:164 offset1:184
	ds_load_2addr_b32 v[57:58], v106 offset0:232 offset1:252
	s_waitcnt lgkmcnt(9)
	v_perm_b32 v117, v41, v40, 0x5040100
	s_waitcnt lgkmcnt(7)
	v_perm_b32 v118, v52, v50, 0x5040100
	;; [unrolled: 2-line block ×6, first 2 shown]
	s_delay_alu instid0(VALU_DEP_1)
	v_wmma_f16_16x16x16_f16 v[24:31], v[115:122], v[32:39], v[24:31]
	v_perm_b32 v117, v41, v40, 0x7060302
	v_perm_b32 v121, v45, v44, 0x7060302
	;; [unrolled: 1-line block ×8, first 2 shown]
	ds_load_b32 v50, v212 offset:2176
	ds_load_b32 v52, v212 offset:3264
	;; [unrolled: 1-line block ×7, first 2 shown]
	ds_load_2addr_b32 v[107:108], v43 offset0:100 offset1:116
	v_perm_b32 v40, v62, v60, 0x5040100
	v_perm_b32 v41, v66, v64, 0x5040100
	v_wmma_f16_16x16x16_f16 v[24:31], v[115:122], v[32:39], v[24:31] op_sel:[0,0,1]
	ds_load_2addr_b32 v[109:110], v43 offset0:168 offset1:184
	ds_load_2addr_b32 v[115:116], v43 offset0:236 offset1:252
	;; [unrolled: 1-line block ×5, first 2 shown]
	v_perm_b32 v45, v72, v70, 0x5040100
	s_waitcnt lgkmcnt(12)
	v_perm_b32 v44, v68, v50, 0x5040100
	s_waitcnt lgkmcnt(5)
	v_perm_b32 v42, v107, v61, 0x5040100
	s_waitcnt lgkmcnt(3)
	v_perm_b32 v43, v115, v109, 0x5040100
	s_waitcnt lgkmcnt(2)
	v_perm_b32 v46, v117, v52, 0x5040100
	s_waitcnt lgkmcnt(0)
	v_perm_b32 v47, v121, v119, 0x5040100
	v_perm_b32 v63, v116, v110, 0x5040100
	;; [unrolled: 1-line block ×3, first 2 shown]
	s_delay_alu instid0(VALU_DEP_3)
	v_wmma_f16_16x16x16_f16 v[16:23], v[40:47], v[32:39], v[16:23]
	v_perm_b32 v40, v62, v60, 0x7060302
	v_perm_b32 v41, v66, v64, 0x7060302
	;; [unrolled: 1-line block ×8, first 2 shown]
	s_delay_alu instid0(VALU_DEP_1)
	v_wmma_f16_16x16x16_f16 v[16:23], v[40:47], v[32:39], v[16:23] op_sel:[0,0,1]
	ds_load_2addr_b32 v[42:43], v214 offset0:32 offset1:48
	ds_load_2addr_b32 v[68:69], v214 offset0:100 offset1:116
	;; [unrolled: 1-line block ×4, first 2 shown]
	ds_load_b32 v44, v199 offset:1088
	ds_load_b32 v50, v199 offset:2176
	;; [unrolled: 1-line block ×3, first 2 shown]
	ds_load_2addr_b32 v[125:126], v105 offset0:132 offset1:148
	ds_load_2addr_b32 v[127:128], v105 offset0:200 offset1:216
	;; [unrolled: 1-line block ×3, first 2 shown]
	ds_load_b32 v52, v199 offset:3264
	ds_load_b32 v152, v201 offset:1088
	;; [unrolled: 1-line block ×8, first 2 shown]
	s_waitcnt lgkmcnt(7)
	v_perm_b32 v66, v118, v52, 0x5040100
	v_perm_b32 v60, v68, v42, 0x5040100
	;; [unrolled: 1-line block ×6, first 2 shown]
	s_delay_alu instid0(VALU_DEP_1)
	v_wmma_f16_16x16x16_f16 v[8:15], v[60:67], v[32:39], v[8:15]
	v_perm_b32 v63, v116, v110, 0x7060302
	v_perm_b32 v62, v108, v44, 0x7060302
	;; [unrolled: 1-line block ×5, first 2 shown]
	ds_load_b32 v44, v231 offset:1088
	ds_load_b32 v50, v231 offset:2176
	;; [unrolled: 1-line block ×7, first 2 shown]
	ds_load_2addr_b32 v[115:116], v114 offset0:44 offset1:64
	v_perm_b32 v67, v122, v120, 0x7060302
	v_perm_b32 v61, v123, v70, 0x7060302
	;; [unrolled: 1-line block ×3, first 2 shown]
	s_delay_alu instid0(VALU_DEP_1)
	v_wmma_f16_16x16x16_f16 v[8:15], v[60:67], v[32:39], v[8:15] op_sel:[0,0,1]
	v_perm_b32 v60, v69, v43, 0x5040100
	v_perm_b32 v61, v124, v71, 0x5040100
	;; [unrolled: 1-line block ×4, first 2 shown]
	s_waitcnt lgkmcnt(7)
	v_perm_b32 v62, v49, v44, 0x5040100
	s_waitcnt lgkmcnt(6)
	v_perm_b32 v64, v126, v50, 0x5040100
	;; [unrolled: 2-line block ×4, first 2 shown]
	s_delay_alu instid0(VALU_DEP_1)
	v_wmma_f16_16x16x16_f16 v[0:7], v[60:67], v[32:39], v[0:7]
	v_perm_b32 v60, v69, v43, 0x7060302
	v_perm_b32 v61, v124, v71, 0x7060302
	;; [unrolled: 1-line block ×8, first 2 shown]
	v_add_nc_u32_e32 v53, 0x1800, v214
	v_add_nc_u32_e32 v55, 0x1c00, v214
	s_delay_alu instid0(VALU_DEP_3) | instskip(SKIP_1) | instid1(VALU_DEP_1)
	v_wmma_f16_16x16x16_f16 v[0:7], v[60:67], v[32:39], v[0:7] op_sel:[0,0,1]
	v_sub_f32_e32 v32, v147, v48
	v_mul_f32_e32 v33, 0x3fb8aa3b, v32
	v_cmp_ngt_f32_e64 s4, 0xc2ce8ed0, v32
	s_delay_alu instid0(VALU_DEP_2) | instskip(SKIP_1) | instid1(VALU_DEP_1)
	v_fma_f32 v34, 0x3fb8aa3b, v32, -v33
	v_rndne_f32_e32 v35, v33
	v_dual_fmac_f32 v34, 0x32a5705f, v32 :: v_dual_sub_f32 v33, v33, v35
	v_cvt_i32_f32_e32 v35, v35
	s_delay_alu instid0(VALU_DEP_2) | instskip(NEXT) | instid1(VALU_DEP_1)
	v_dual_add_f32 v33, v33, v34 :: v_dual_sub_f32 v34, v112, v48
	v_exp_f32_e32 v33, v33
	s_delay_alu instid0(VALU_DEP_1) | instskip(SKIP_1) | instid1(VALU_DEP_2)
	v_mul_f32_e32 v36, 0x3fb8aa3b, v34
	v_cmp_ngt_f32_e64 s5, 0xc2ce8ed0, v34
	v_fma_f32 v37, 0x3fb8aa3b, v34, -v36
	v_rndne_f32_e32 v38, v36
	s_waitcnt_depctr 0xfff
	v_ldexp_f32 v33, v33, v35
	v_fmac_f32_e32 v37, 0x32a5705f, v34
	v_sub_f32_e32 v36, v36, v38
	s_delay_alu instid0(VALU_DEP_3) | instskip(SKIP_1) | instid1(VALU_DEP_3)
	v_cndmask_b32_e64 v33, 0, v33, s4
	v_cmp_nlt_f32_e64 s4, 0x42b17218, v32
	v_add_f32_e32 v36, v36, v37
	s_delay_alu instid0(VALU_DEP_2) | instskip(NEXT) | instid1(VALU_DEP_2)
	v_cndmask_b32_e64 v33, 0x7f800000, v33, s4
	v_exp_f32_e32 v35, v36
	v_cvt_i32_f32_e32 v36, v38
	s_waitcnt_depctr 0xfff
	v_ldexp_f32 v35, v35, v36
	ds_bpermute_b32 v36, v73, v33
	v_cndmask_b32_e64 v32, 0, v35, s5
	v_cmp_nlt_f32_e64 s5, 0x42b17218, v34
	s_delay_alu instid0(VALU_DEP_1) | instskip(SKIP_4) | instid1(VALU_DEP_2)
	v_cndmask_b32_e64 v32, 0x7f800000, v32, s5
	ds_bpermute_b32 v34, v73, v32
	s_waitcnt lgkmcnt(0)
	v_cndmask_b32_e32 v35, v32, v34, vcc_lo
	v_cndmask_b32_e64 v34, v32, v34, s1
	v_cndmask_b32_e64 v38, v35, v33, s3
	s_delay_alu instid0(VALU_DEP_2) | instskip(SKIP_2) | instid1(VALU_DEP_3)
	v_cndmask_b32_e64 v37, v34, v33, s2
	v_cvt_f16_f32_e32 v34, v34
	v_cvt_f16_f32_e32 v35, v35
	v_cndmask_b32_e64 v37, v37, v36, s1
	v_cndmask_b32_e32 v36, v38, v36, vcc_lo
	s_delay_alu instid0(VALU_DEP_3) | instskip(SKIP_1) | instid1(VALU_DEP_4)
	v_pack_b32_f16 v60, v34, v35
	v_sub_f32_e32 v34, v95, v48
	v_cvt_f16_f32_e32 v38, v37
	s_delay_alu instid0(VALU_DEP_4) | instskip(NEXT) | instid1(VALU_DEP_3)
	v_cvt_f16_f32_e32 v39, v36
	v_mul_f32_e32 v35, 0x3fb8aa3b, v34
	v_cmp_ngt_f32_e64 s4, 0xc2ce8ed0, v34
	s_delay_alu instid0(VALU_DEP_3) | instskip(NEXT) | instid1(VALU_DEP_3)
	v_pack_b32_f16 v61, v38, v39
	v_fma_f32 v38, 0x3fb8aa3b, v34, -v35
	v_rndne_f32_e32 v39, v35
	s_delay_alu instid0(VALU_DEP_1) | instskip(NEXT) | instid1(VALU_DEP_1)
	v_dual_fmac_f32 v38, 0x32a5705f, v34 :: v_dual_sub_f32 v35, v35, v39
	v_add_f32_e32 v35, v35, v38
	v_cvt_i32_f32_e32 v38, v39
	s_delay_alu instid0(VALU_DEP_2) | instskip(SKIP_2) | instid1(VALU_DEP_1)
	v_exp_f32_e32 v35, v35
	s_waitcnt_depctr 0xfff
	v_ldexp_f32 v35, v35, v38
	v_cndmask_b32_e64 v35, 0, v35, s4
	v_cmp_nlt_f32_e64 s4, 0x42b17218, v34
	s_delay_alu instid0(VALU_DEP_1) | instskip(NEXT) | instid1(VALU_DEP_1)
	v_cndmask_b32_e64 v34, 0x7f800000, v35, s4
	v_cndmask_b32_e64 v35, v36, v34, s3
	;; [unrolled: 1-line block ×3, first 2 shown]
	ds_bpermute_b32 v37, v73, v34
	s_waitcnt lgkmcnt(0)
	v_cndmask_b32_e64 v36, v36, v37, s1
	v_cndmask_b32_e32 v37, v35, v37, vcc_lo
	s_delay_alu instid0(VALU_DEP_2) | instskip(NEXT) | instid1(VALU_DEP_2)
	v_cvt_f16_f32_e32 v35, v36
	v_cvt_f16_f32_e32 v38, v37
	s_delay_alu instid0(VALU_DEP_1) | instskip(SKIP_1) | instid1(VALU_DEP_1)
	v_pack_b32_f16 v62, v35, v38
	v_sub_f32_e32 v35, v94, v48
	v_mul_f32_e32 v38, 0x3fb8aa3b, v35
	v_cmp_ngt_f32_e64 s4, 0xc2ce8ed0, v35
	s_delay_alu instid0(VALU_DEP_2) | instskip(SKIP_1) | instid1(VALU_DEP_2)
	v_fma_f32 v39, 0x3fb8aa3b, v35, -v38
	v_rndne_f32_e32 v43, v38
	v_fmac_f32_e32 v39, 0x32a5705f, v35
	s_delay_alu instid0(VALU_DEP_2) | instskip(NEXT) | instid1(VALU_DEP_1)
	v_sub_f32_e32 v38, v38, v43
	v_add_f32_e32 v38, v38, v39
	v_cvt_i32_f32_e32 v39, v43
	s_delay_alu instid0(VALU_DEP_2) | instskip(SKIP_2) | instid1(VALU_DEP_1)
	v_exp_f32_e32 v38, v38
	s_waitcnt_depctr 0xfff
	v_ldexp_f32 v38, v38, v39
	v_cndmask_b32_e64 v38, 0, v38, s4
	v_cmp_nlt_f32_e64 s4, 0x42b17218, v35
	s_delay_alu instid0(VALU_DEP_1) | instskip(SKIP_4) | instid1(VALU_DEP_1)
	v_cndmask_b32_e64 v35, 0x7f800000, v38, s4
	ds_bpermute_b32 v38, v73, v35
	v_cndmask_b32_e64 v37, v37, v35, s3
	v_cndmask_b32_e64 v36, v36, v35, s2
	s_waitcnt lgkmcnt(0)
	v_cndmask_b32_e64 v39, v36, v38, s1
	s_delay_alu instid0(VALU_DEP_3) | instskip(NEXT) | instid1(VALU_DEP_2)
	v_cndmask_b32_e32 v37, v37, v38, vcc_lo
	v_cvt_f16_f32_e32 v36, v39
	s_delay_alu instid0(VALU_DEP_2) | instskip(NEXT) | instid1(VALU_DEP_1)
	v_cvt_f16_f32_e32 v38, v37
	v_pack_b32_f16 v63, v36, v38
	v_sub_f32_e32 v36, v93, v48
	s_delay_alu instid0(VALU_DEP_1) | instskip(SKIP_1) | instid1(VALU_DEP_2)
	v_mul_f32_e32 v38, 0x3fb8aa3b, v36
	v_cmp_ngt_f32_e64 s4, 0xc2ce8ed0, v36
	v_fma_f32 v43, 0x3fb8aa3b, v36, -v38
	v_rndne_f32_e32 v44, v38
	s_delay_alu instid0(VALU_DEP_2) | instskip(NEXT) | instid1(VALU_DEP_2)
	v_fmac_f32_e32 v43, 0x32a5705f, v36
	v_sub_f32_e32 v38, v38, v44
	s_delay_alu instid0(VALU_DEP_1) | instskip(SKIP_1) | instid1(VALU_DEP_2)
	v_add_f32_e32 v38, v38, v43
	v_cvt_i32_f32_e32 v43, v44
	v_exp_f32_e32 v38, v38
	s_waitcnt_depctr 0xfff
	v_ldexp_f32 v38, v38, v43
	s_delay_alu instid0(VALU_DEP_1) | instskip(SKIP_1) | instid1(VALU_DEP_1)
	v_cndmask_b32_e64 v38, 0, v38, s4
	v_cmp_nlt_f32_e64 s4, 0x42b17218, v36
	v_cndmask_b32_e64 v36, 0x7f800000, v38, s4
	s_delay_alu instid0(VALU_DEP_1) | instskip(SKIP_4) | instid1(VALU_DEP_2)
	v_cndmask_b32_e64 v38, v39, v36, s2
	ds_bpermute_b32 v39, v73, v36
	v_cndmask_b32_e64 v37, v37, v36, s3
	s_waitcnt lgkmcnt(0)
	v_cndmask_b32_e64 v38, v38, v39, s1
	v_cndmask_b32_e32 v39, v37, v39, vcc_lo
	s_delay_alu instid0(VALU_DEP_2) | instskip(NEXT) | instid1(VALU_DEP_2)
	v_cvt_f16_f32_e32 v37, v38
	v_cvt_f16_f32_e32 v43, v39
	s_delay_alu instid0(VALU_DEP_1) | instskip(SKIP_1) | instid1(VALU_DEP_1)
	v_pack_b32_f16 v64, v37, v43
	v_sub_f32_e32 v37, v92, v48
	v_mul_f32_e32 v43, 0x3fb8aa3b, v37
	v_cmp_ngt_f32_e64 s4, 0xc2ce8ed0, v37
	s_delay_alu instid0(VALU_DEP_2) | instskip(SKIP_1) | instid1(VALU_DEP_2)
	v_fma_f32 v44, 0x3fb8aa3b, v37, -v43
	v_rndne_f32_e32 v49, v43
	v_fmac_f32_e32 v44, 0x32a5705f, v37
	s_delay_alu instid0(VALU_DEP_2) | instskip(NEXT) | instid1(VALU_DEP_1)
	v_sub_f32_e32 v43, v43, v49
	v_add_f32_e32 v43, v43, v44
	v_cvt_i32_f32_e32 v44, v49
	s_delay_alu instid0(VALU_DEP_2) | instskip(SKIP_2) | instid1(VALU_DEP_1)
	v_exp_f32_e32 v43, v43
	s_waitcnt_depctr 0xfff
	v_ldexp_f32 v43, v43, v44
	v_cndmask_b32_e64 v43, 0, v43, s4
	v_cmp_nlt_f32_e64 s4, 0x42b17218, v37
	s_delay_alu instid0(VALU_DEP_1) | instskip(SKIP_4) | instid1(VALU_DEP_1)
	v_cndmask_b32_e64 v37, 0x7f800000, v43, s4
	ds_bpermute_b32 v43, v73, v37
	v_cndmask_b32_e64 v39, v39, v37, s3
	v_cndmask_b32_e64 v38, v38, v37, s2
	s_waitcnt lgkmcnt(0)
	v_cndmask_b32_e64 v44, v38, v43, s1
	s_delay_alu instid0(VALU_DEP_3) | instskip(NEXT) | instid1(VALU_DEP_2)
	v_cndmask_b32_e32 v39, v39, v43, vcc_lo
	v_cvt_f16_f32_e32 v38, v44
	s_delay_alu instid0(VALU_DEP_2) | instskip(NEXT) | instid1(VALU_DEP_1)
	v_cvt_f16_f32_e32 v43, v39
	v_pack_b32_f16 v65, v38, v43
	v_sub_f32_e32 v38, v91, v48
	s_delay_alu instid0(VALU_DEP_1) | instskip(SKIP_1) | instid1(VALU_DEP_2)
	v_mul_f32_e32 v43, 0x3fb8aa3b, v38
	v_cmp_ngt_f32_e64 s4, 0xc2ce8ed0, v38
	v_fma_f32 v49, 0x3fb8aa3b, v38, -v43
	v_rndne_f32_e32 v50, v43
	s_delay_alu instid0(VALU_DEP_2) | instskip(NEXT) | instid1(VALU_DEP_2)
	v_fmac_f32_e32 v49, 0x32a5705f, v38
	v_sub_f32_e32 v43, v43, v50
	s_delay_alu instid0(VALU_DEP_1) | instskip(SKIP_1) | instid1(VALU_DEP_2)
	v_add_f32_e32 v43, v43, v49
	v_cvt_i32_f32_e32 v49, v50
	v_exp_f32_e32 v43, v43
	s_waitcnt_depctr 0xfff
	v_ldexp_f32 v43, v43, v49
	s_delay_alu instid0(VALU_DEP_1) | instskip(SKIP_1) | instid1(VALU_DEP_1)
	v_cndmask_b32_e64 v43, 0, v43, s4
	v_cmp_nlt_f32_e64 s4, 0x42b17218, v38
	v_cndmask_b32_e64 v38, 0x7f800000, v43, s4
	s_delay_alu instid0(VALU_DEP_1) | instskip(SKIP_4) | instid1(VALU_DEP_2)
	v_cndmask_b32_e64 v43, v44, v38, s2
	ds_bpermute_b32 v44, v73, v38
	v_cndmask_b32_e64 v39, v39, v38, s3
	s_waitcnt lgkmcnt(0)
	v_cndmask_b32_e64 v43, v43, v44, s1
	v_cndmask_b32_e32 v44, v39, v44, vcc_lo
	s_delay_alu instid0(VALU_DEP_2) | instskip(NEXT) | instid1(VALU_DEP_2)
	v_cvt_f16_f32_e32 v39, v43
	v_cvt_f16_f32_e32 v49, v44
	s_delay_alu instid0(VALU_DEP_1) | instskip(SKIP_1) | instid1(VALU_DEP_1)
	v_pack_b32_f16 v66, v39, v49
	v_sub_f32_e32 v39, v90, v48
	v_mul_f32_e32 v49, 0x3fb8aa3b, v39
	v_cmp_ngt_f32_e64 s4, 0xc2ce8ed0, v39
	s_delay_alu instid0(VALU_DEP_2) | instskip(SKIP_1) | instid1(VALU_DEP_2)
	v_fma_f32 v50, 0x3fb8aa3b, v39, -v49
	v_rndne_f32_e32 v51, v49
	v_fmac_f32_e32 v50, 0x32a5705f, v39
	s_delay_alu instid0(VALU_DEP_2) | instskip(NEXT) | instid1(VALU_DEP_1)
	v_sub_f32_e32 v49, v49, v51
	v_add_f32_e32 v49, v49, v50
	v_cvt_i32_f32_e32 v50, v51
	s_delay_alu instid0(VALU_DEP_2) | instskip(SKIP_2) | instid1(VALU_DEP_1)
	v_exp_f32_e32 v49, v49
	s_waitcnt_depctr 0xfff
	v_ldexp_f32 v49, v49, v50
	v_cndmask_b32_e64 v49, 0, v49, s4
	v_cmp_nlt_f32_e64 s4, 0x42b17218, v39
	s_delay_alu instid0(VALU_DEP_1) | instskip(SKIP_4) | instid1(VALU_DEP_1)
	v_cndmask_b32_e64 v39, 0x7f800000, v49, s4
	ds_bpermute_b32 v49, v73, v39
	v_cndmask_b32_e64 v44, v44, v39, s3
	v_cndmask_b32_e64 v43, v43, v39, s2
	s_waitcnt lgkmcnt(0)
	v_cndmask_b32_e64 v43, v43, v49, s1
	s_delay_alu instid0(VALU_DEP_3) | instskip(NEXT) | instid1(VALU_DEP_2)
	v_dual_cndmask_b32 v44, v44, v49 :: v_dual_add_nc_u32 v49, 0x1400, v214
	v_cvt_f16_f32_e32 v43, v43
	s_delay_alu instid0(VALU_DEP_2) | instskip(NEXT) | instid1(VALU_DEP_1)
	v_cvt_f16_f32_e32 v44, v44
	v_pack_b32_f16 v67, v43, v44
	v_add_nc_u32_e32 v43, 0x1200, v214
	ds_load_2addr_b32 v[68:69], v43 offset0:120 offset1:140
	ds_load_2addr_b32 v[70:71], v114 offset0:112 offset1:132
	;; [unrolled: 1-line block ×3, first 2 shown]
	ds_load_b32 v50, v248 offset:2176
	ds_load_b32 v51, v248 offset:3264
	;; [unrolled: 1-line block ×8, first 2 shown]
	ds_load_2addr_b32 v[92:93], v49 offset0:60 offset1:148
	ds_load_2addr_b32 v[94:95], v49 offset0:196 offset1:216
	;; [unrolled: 1-line block ×9, first 2 shown]
	s_waitcnt lgkmcnt(18)
	v_perm_b32 v105, v71, v116, 0x5040100
	s_waitcnt lgkmcnt(17)
	v_perm_b32 v106, v69, v91, 0x5040100
	;; [unrolled: 2-line block ×8, first 2 shown]
	s_delay_alu instid0(VALU_DEP_1)
	v_wmma_f16_16x16x16_f16 v[24:31], v[105:112], v[60:67], v[24:31]
	v_perm_b32 v105, v71, v116, 0x7060302
	v_perm_b32 v112, v130, v128, 0x7060302
	ds_load_2addr_b32 v[71:72], v114 offset0:80 offset1:96
	ds_load_2addr_b32 v[115:116], v114 offset0:148 offset1:164
	;; [unrolled: 1-line block ×7, first 2 shown]
	v_add_nc_u32_e32 v49, 0x1a00, v214
	ds_load_2addr_b32 v[140:141], v53 offset0:180 offset1:196
	ds_load_2addr_b32 v[142:143], v49 offset0:120 offset1:136
	ds_load_2addr_b32 v[144:145], v55 offset0:60 offset1:76
	ds_load_2addr_b32 v[146:147], v55 offset0:196 offset1:212
	ds_load_2addr_b32 v[148:149], v161 offset0:8 offset1:24
	ds_load_2addr_b32 v[150:151], v161 offset0:76 offset1:92
	v_perm_b32 v107, v93, v52, 0x7060302
	v_perm_b32 v109, v120, v50, 0x7060302
	;; [unrolled: 1-line block ×6, first 2 shown]
	v_add_nc_u32_e32 v120, 0x2400, v214
	s_waitcnt lgkmcnt(11)
	v_perm_b32 v49, v115, v71, 0x7060302
	v_add_nc_u32_e32 v124, 0x2800, v214
	s_waitcnt lgkmcnt(9)
	v_perm_b32 v50, v132, v130, 0x7060302
	v_wmma_f16_16x16x16_f16 v[24:31], v[105:112], v[60:67], v[24:31] op_sel:[0,0,1]
	v_perm_b32 v105, v115, v71, 0x5040100
	v_perm_b32 v106, v132, v130, 0x5040100
	s_waitcnt lgkmcnt(8)
	v_perm_b32 v107, v134, v54, 0x5040100
	s_waitcnt lgkmcnt(6)
	;; [unrolled: 2-line block ×3, first 2 shown]
	v_perm_b32 v109, v140, v56, 0x5040100
	v_perm_b32 v51, v134, v54, 0x7060302
	s_waitcnt lgkmcnt(3)
	v_perm_b32 v110, v144, v142, 0x5040100
	s_waitcnt lgkmcnt(2)
	;; [unrolled: 2-line block ×3, first 2 shown]
	v_perm_b32 v112, v150, v148, 0x5040100
	v_perm_b32 v55, v146, v58, 0x7060302
	ds_load_2addr_b32 v[57:58], v161 offset0:108 offset1:128
	v_perm_b32 v53, v140, v56, 0x7060302
	v_perm_b32 v52, v138, v136, 0x7060302
	v_wmma_f16_16x16x16_f16 v[16:23], v[105:112], v[60:67], v[16:23]
	v_perm_b32 v54, v144, v142, 0x7060302
	v_perm_b32 v56, v150, v148, 0x7060302
	v_add_nc_u32_e32 v130, 0x2c00, v214
	s_delay_alu instid0(VALU_DEP_2)
	v_wmma_f16_16x16x16_f16 v[16:23], v[49:56], v[60:67], v[16:23] op_sel:[0,0,1]
	v_perm_b32 v49, v116, v72, 0x5040100
	v_perm_b32 v50, v133, v131, 0x5040100
	v_perm_b32 v51, v135, v152, 0x5040100
	v_perm_b32 v52, v139, v137, 0x5040100
	v_perm_b32 v53, v141, v153, 0x5040100
	v_perm_b32 v54, v145, v143, 0x5040100
	v_perm_b32 v55, v147, v154, 0x5040100
	v_perm_b32 v56, v151, v149, 0x5040100
	s_delay_alu instid0(VALU_DEP_1)
	v_wmma_f16_16x16x16_f16 v[8:15], v[49:56], v[60:67], v[8:15]
	v_perm_b32 v49, v116, v72, 0x7060302
	v_perm_b32 v50, v133, v131, 0x7060302
	v_perm_b32 v52, v139, v137, 0x7060302
	v_perm_b32 v54, v145, v143, 0x7060302
	v_perm_b32 v56, v151, v149, 0x7060302
	v_perm_b32 v51, v135, v152, 0x7060302
	v_perm_b32 v53, v141, v153, 0x7060302
	v_perm_b32 v55, v147, v154, 0x7060302
	v_add_nc_u32_e32 v141, 0x3000, v214
	s_delay_alu instid0(VALU_DEP_2)
	v_wmma_f16_16x16x16_f16 v[8:15], v[49:56], v[60:67], v[8:15] op_sel:[0,0,1]
	v_perm_b32 v49, v90, v70, 0x5040100
	v_perm_b32 v50, v92, v68, 0x5040100
	;; [unrolled: 1-line block ×7, first 2 shown]
	s_waitcnt lgkmcnt(0)
	v_perm_b32 v56, v57, v129, 0x5040100
	s_delay_alu instid0(VALU_DEP_1)
	v_wmma_f16_16x16x16_f16 v[0:7], v[49:56], v[60:67], v[0:7]
	v_perm_b32 v49, v90, v70, 0x7060302
	v_perm_b32 v50, v92, v68, 0x7060302
	;; [unrolled: 1-line block ×8, first 2 shown]
	s_delay_alu instid0(VALU_DEP_1) | instskip(SKIP_1) | instid1(VALU_DEP_1)
	v_wmma_f16_16x16x16_f16 v[0:7], v[49:56], v[60:67], v[0:7] op_sel:[0,0,1]
	v_sub_f32_e32 v49, v89, v48
	v_mul_f32_e32 v50, 0x3fb8aa3b, v49
	v_cmp_ngt_f32_e64 s4, 0xc2ce8ed0, v49
	s_delay_alu instid0(VALU_DEP_2) | instskip(SKIP_1) | instid1(VALU_DEP_1)
	v_fma_f32 v51, 0x3fb8aa3b, v49, -v50
	v_rndne_f32_e32 v52, v50
	v_dual_fmac_f32 v51, 0x32a5705f, v49 :: v_dual_sub_f32 v50, v50, v52
	v_cvt_i32_f32_e32 v52, v52
	s_delay_alu instid0(VALU_DEP_2) | instskip(NEXT) | instid1(VALU_DEP_1)
	v_dual_add_f32 v50, v50, v51 :: v_dual_sub_f32 v51, v88, v48
	v_exp_f32_e32 v50, v50
	s_delay_alu instid0(VALU_DEP_1) | instskip(SKIP_1) | instid1(VALU_DEP_2)
	v_mul_f32_e32 v53, 0x3fb8aa3b, v51
	v_cmp_ngt_f32_e64 s5, 0xc2ce8ed0, v51
	v_fma_f32 v54, 0x3fb8aa3b, v51, -v53
	v_rndne_f32_e32 v55, v53
	s_waitcnt_depctr 0xfff
	v_ldexp_f32 v50, v50, v52
	v_fmac_f32_e32 v54, 0x32a5705f, v51
	v_sub_f32_e32 v53, v53, v55
	s_delay_alu instid0(VALU_DEP_3) | instskip(SKIP_1) | instid1(VALU_DEP_3)
	v_cndmask_b32_e64 v50, 0, v50, s4
	v_cmp_nlt_f32_e64 s4, 0x42b17218, v49
	v_add_f32_e32 v53, v53, v54
	s_delay_alu instid0(VALU_DEP_2) | instskip(NEXT) | instid1(VALU_DEP_2)
	v_cndmask_b32_e64 v50, 0x7f800000, v50, s4
	v_exp_f32_e32 v52, v53
	v_cvt_i32_f32_e32 v53, v55
	s_waitcnt_depctr 0xfff
	v_ldexp_f32 v52, v52, v53
	ds_bpermute_b32 v53, v73, v50
	v_cndmask_b32_e64 v49, 0, v52, s5
	v_cmp_nlt_f32_e64 s5, 0x42b17218, v51
	s_delay_alu instid0(VALU_DEP_1) | instskip(SKIP_4) | instid1(VALU_DEP_2)
	v_cndmask_b32_e64 v49, 0x7f800000, v49, s5
	ds_bpermute_b32 v51, v73, v49
	s_waitcnt lgkmcnt(0)
	v_cndmask_b32_e64 v52, v49, v51, s1
	v_cndmask_b32_e32 v51, v49, v51, vcc_lo
	v_cndmask_b32_e64 v54, v52, v50, s2
	s_delay_alu instid0(VALU_DEP_2) | instskip(SKIP_2) | instid1(VALU_DEP_4)
	v_cndmask_b32_e64 v55, v51, v50, s3
	v_cvt_f16_f32_e32 v52, v52
	v_cvt_f16_f32_e32 v51, v51
	v_cndmask_b32_e64 v54, v54, v53, s1
	s_delay_alu instid0(VALU_DEP_4) | instskip(NEXT) | instid1(VALU_DEP_3)
	v_cndmask_b32_e32 v53, v55, v53, vcc_lo
	v_pack_b32_f16 v60, v52, v51
	v_sub_f32_e32 v51, v87, v48
	s_delay_alu instid0(VALU_DEP_4) | instskip(NEXT) | instid1(VALU_DEP_4)
	v_cvt_f16_f32_e32 v55, v54
	v_cvt_f16_f32_e32 v56, v53
	s_delay_alu instid0(VALU_DEP_3) | instskip(SKIP_1) | instid1(VALU_DEP_3)
	v_mul_f32_e32 v52, 0x3fb8aa3b, v51
	v_cmp_ngt_f32_e64 s4, 0xc2ce8ed0, v51
	v_pack_b32_f16 v61, v55, v56
	s_delay_alu instid0(VALU_DEP_3) | instskip(SKIP_1) | instid1(VALU_DEP_1)
	v_fma_f32 v55, 0x3fb8aa3b, v51, -v52
	v_rndne_f32_e32 v56, v52
	v_dual_fmac_f32 v55, 0x32a5705f, v51 :: v_dual_sub_f32 v52, v52, v56
	s_delay_alu instid0(VALU_DEP_1) | instskip(SKIP_1) | instid1(VALU_DEP_2)
	v_add_f32_e32 v52, v52, v55
	v_cvt_i32_f32_e32 v55, v56
	v_exp_f32_e32 v52, v52
	s_waitcnt_depctr 0xfff
	v_ldexp_f32 v52, v52, v55
	s_delay_alu instid0(VALU_DEP_1) | instskip(SKIP_1) | instid1(VALU_DEP_1)
	v_cndmask_b32_e64 v52, 0, v52, s4
	v_cmp_nlt_f32_e64 s4, 0x42b17218, v51
	v_cndmask_b32_e64 v51, 0x7f800000, v52, s4
	s_delay_alu instid0(VALU_DEP_1) | instskip(SKIP_4) | instid1(VALU_DEP_2)
	v_cndmask_b32_e64 v52, v54, v51, s2
	ds_bpermute_b32 v54, v73, v51
	v_cndmask_b32_e64 v53, v53, v51, s3
	s_waitcnt lgkmcnt(0)
	v_cndmask_b32_e64 v55, v52, v54, s1
	v_cndmask_b32_e32 v53, v53, v54, vcc_lo
	s_delay_alu instid0(VALU_DEP_2) | instskip(NEXT) | instid1(VALU_DEP_2)
	v_cvt_f16_f32_e32 v52, v55
	v_cvt_f16_f32_e32 v54, v53
	s_delay_alu instid0(VALU_DEP_1) | instskip(SKIP_1) | instid1(VALU_DEP_1)
	v_pack_b32_f16 v62, v52, v54
	v_sub_f32_e32 v52, v86, v48
	v_mul_f32_e32 v54, 0x3fb8aa3b, v52
	v_cmp_ngt_f32_e64 s4, 0xc2ce8ed0, v52
	s_delay_alu instid0(VALU_DEP_2) | instskip(SKIP_1) | instid1(VALU_DEP_2)
	v_fma_f32 v56, 0x3fb8aa3b, v52, -v54
	v_rndne_f32_e32 v57, v54
	v_fmac_f32_e32 v56, 0x32a5705f, v52
	s_delay_alu instid0(VALU_DEP_2) | instskip(NEXT) | instid1(VALU_DEP_1)
	v_sub_f32_e32 v54, v54, v57
	v_add_f32_e32 v54, v54, v56
	v_cvt_i32_f32_e32 v56, v57
	s_delay_alu instid0(VALU_DEP_2) | instskip(SKIP_2) | instid1(VALU_DEP_1)
	v_exp_f32_e32 v54, v54
	s_waitcnt_depctr 0xfff
	v_ldexp_f32 v54, v54, v56
	v_cndmask_b32_e64 v54, 0, v54, s4
	v_cmp_nlt_f32_e64 s4, 0x42b17218, v52
	s_delay_alu instid0(VALU_DEP_1) | instskip(NEXT) | instid1(VALU_DEP_1)
	v_cndmask_b32_e64 v52, 0x7f800000, v54, s4
	v_cndmask_b32_e64 v54, v55, v52, s2
	ds_bpermute_b32 v55, v73, v52
	v_cndmask_b32_e64 v53, v53, v52, s3
	s_waitcnt lgkmcnt(0)
	v_cndmask_b32_e64 v54, v54, v55, s1
	s_delay_alu instid0(VALU_DEP_2) | instskip(NEXT) | instid1(VALU_DEP_2)
	v_cndmask_b32_e32 v53, v53, v55, vcc_lo
	v_cvt_f16_f32_e32 v55, v54
	s_delay_alu instid0(VALU_DEP_2) | instskip(NEXT) | instid1(VALU_DEP_1)
	v_cvt_f16_f32_e32 v56, v53
	v_pack_b32_f16 v63, v55, v56
	v_sub_f32_e32 v55, v85, v48
	s_delay_alu instid0(VALU_DEP_1) | instskip(SKIP_1) | instid1(VALU_DEP_2)
	v_mul_f32_e32 v56, 0x3fb8aa3b, v55
	v_cmp_ngt_f32_e64 s4, 0xc2ce8ed0, v55
	v_fma_f32 v57, 0x3fb8aa3b, v55, -v56
	v_rndne_f32_e32 v64, v56
	s_delay_alu instid0(VALU_DEP_1) | instskip(NEXT) | instid1(VALU_DEP_1)
	v_dual_fmac_f32 v57, 0x32a5705f, v55 :: v_dual_sub_f32 v56, v56, v64
	v_add_f32_e32 v56, v56, v57
	v_cvt_i32_f32_e32 v57, v64
	s_delay_alu instid0(VALU_DEP_2) | instskip(SKIP_2) | instid1(VALU_DEP_1)
	v_exp_f32_e32 v56, v56
	s_waitcnt_depctr 0xfff
	v_ldexp_f32 v56, v56, v57
	v_cndmask_b32_e64 v56, 0, v56, s4
	v_cmp_nlt_f32_e64 s4, 0x42b17218, v55
	s_delay_alu instid0(VALU_DEP_1) | instskip(SKIP_4) | instid1(VALU_DEP_2)
	v_cndmask_b32_e64 v114, 0x7f800000, v56, s4
	ds_bpermute_b32 v55, v73, v114
	v_cndmask_b32_e64 v54, v54, v114, s2
	v_cndmask_b32_e64 v53, v53, v114, s3
	s_waitcnt lgkmcnt(0)
	v_cndmask_b32_e64 v54, v54, v55, s1
	s_delay_alu instid0(VALU_DEP_2) | instskip(NEXT) | instid1(VALU_DEP_2)
	v_cndmask_b32_e32 v53, v53, v55, vcc_lo
	v_cvt_f16_f32_e32 v55, v54
	s_delay_alu instid0(VALU_DEP_2) | instskip(NEXT) | instid1(VALU_DEP_1)
	v_cvt_f16_f32_e32 v56, v53
	v_pack_b32_f16 v64, v55, v56
	v_sub_f32_e32 v55, v84, v48
	s_delay_alu instid0(VALU_DEP_1) | instskip(SKIP_1) | instid1(VALU_DEP_2)
	v_mul_f32_e32 v56, 0x3fb8aa3b, v55
	v_cmp_ngt_f32_e64 s4, 0xc2ce8ed0, v55
	v_fma_f32 v57, 0x3fb8aa3b, v55, -v56
	v_rndne_f32_e32 v65, v56
	s_delay_alu instid0(VALU_DEP_1) | instskip(NEXT) | instid1(VALU_DEP_1)
	v_dual_fmac_f32 v57, 0x32a5705f, v55 :: v_dual_sub_f32 v56, v56, v65
	v_add_f32_e32 v56, v56, v57
	v_cvt_i32_f32_e32 v57, v65
	s_delay_alu instid0(VALU_DEP_2) | instskip(SKIP_2) | instid1(VALU_DEP_1)
	v_exp_f32_e32 v56, v56
	s_waitcnt_depctr 0xfff
	v_ldexp_f32 v56, v56, v57
	v_cndmask_b32_e64 v56, 0, v56, s4
	v_cmp_nlt_f32_e64 s4, 0x42b17218, v55
	s_delay_alu instid0(VALU_DEP_1) | instskip(SKIP_4) | instid1(VALU_DEP_2)
	v_cndmask_b32_e64 v138, 0x7f800000, v56, s4
	ds_bpermute_b32 v55, v73, v138
	v_cndmask_b32_e64 v54, v54, v138, s2
	;; [unrolled: 29-line block ×3, first 2 shown]
	v_cndmask_b32_e64 v53, v53, v139, s3
	s_waitcnt lgkmcnt(0)
	v_cndmask_b32_e64 v54, v54, v55, s1
	s_delay_alu instid0(VALU_DEP_2) | instskip(NEXT) | instid1(VALU_DEP_2)
	v_cndmask_b32_e32 v53, v53, v55, vcc_lo
	v_cvt_f16_f32_e32 v55, v54
	s_delay_alu instid0(VALU_DEP_2) | instskip(NEXT) | instid1(VALU_DEP_1)
	v_cvt_f16_f32_e32 v56, v53
	v_pack_b32_f16 v66, v55, v56
	v_sub_f32_e32 v55, v82, v48
	s_delay_alu instid0(VALU_DEP_1) | instskip(SKIP_1) | instid1(VALU_DEP_2)
	v_mul_f32_e32 v56, 0x3fb8aa3b, v55
	v_cmp_ngt_f32_e64 s4, 0xc2ce8ed0, v55
	v_fma_f32 v57, 0x3fb8aa3b, v55, -v56
	v_rndne_f32_e32 v67, v56
	s_delay_alu instid0(VALU_DEP_2) | instskip(NEXT) | instid1(VALU_DEP_2)
	v_fmac_f32_e32 v57, 0x32a5705f, v55
	v_sub_f32_e32 v56, v56, v67
	s_delay_alu instid0(VALU_DEP_1) | instskip(SKIP_1) | instid1(VALU_DEP_2)
	v_add_f32_e32 v56, v56, v57
	v_cvt_i32_f32_e32 v57, v67
	v_exp_f32_e32 v56, v56
	s_waitcnt_depctr 0xfff
	v_ldexp_f32 v56, v56, v57
	s_delay_alu instid0(VALU_DEP_1) | instskip(SKIP_1) | instid1(VALU_DEP_1)
	v_cndmask_b32_e64 v56, 0, v56, s4
	v_cmp_nlt_f32_e64 s4, 0x42b17218, v55
	v_cndmask_b32_e64 v140, 0x7f800000, v56, s4
	ds_bpermute_b32 v55, v73, v140
	v_cndmask_b32_e64 v54, v54, v140, s2
	v_cndmask_b32_e64 v53, v53, v140, s3
	s_waitcnt lgkmcnt(0)
	s_delay_alu instid0(VALU_DEP_2) | instskip(NEXT) | instid1(VALU_DEP_2)
	v_cndmask_b32_e64 v54, v54, v55, s1
	v_cndmask_b32_e32 v53, v53, v55, vcc_lo
	s_delay_alu instid0(VALU_DEP_2) | instskip(NEXT) | instid1(VALU_DEP_2)
	v_cvt_f16_f32_e32 v54, v54
	v_cvt_f16_f32_e32 v53, v53
	s_delay_alu instid0(VALU_DEP_1)
	v_pack_b32_f16 v67, v54, v53
	v_add_nc_u32_e32 v53, 0x2200, v214
	ds_load_2addr_b32 v[53:54], v53 offset0:116 offset1:136
	ds_load_2addr_b32 v[55:56], v161 offset0:176 offset1:196
	;; [unrolled: 1-line block ×12, first 2 shown]
	s_waitcnt lgkmcnt(10)
	v_perm_b32 v82, v56, v58, 0x5040100
	s_waitcnt lgkmcnt(9)
	v_perm_b32 v83, v69, v54, 0x5040100
	;; [unrolled: 2-line block ×8, first 2 shown]
	s_delay_alu instid0(VALU_DEP_1)
	v_wmma_f16_16x16x16_f16 v[24:31], v[82:89], v[60:67], v[24:31]
	v_perm_b32 v82, v56, v58, 0x7060302
	v_perm_b32 v84, v71, v158, 0x7060302
	v_perm_b32 v86, v95, v159, 0x7060302
	v_perm_b32 v88, v110, v160, 0x7060302
	v_perm_b32 v83, v69, v54, 0x7060302
	v_perm_b32 v85, v93, v91, 0x7060302
	v_perm_b32 v87, v108, v106, 0x7060302
	v_perm_b32 v89, v116, v112, 0x7060302
	ds_load_2addr_b32 v[56:57], v161 offset0:144 offset1:160
	ds_load_2addr_b32 v[71:72], v161 offset0:212 offset1:228
	;; [unrolled: 1-line block ×5, first 2 shown]
	ds_load_b32 v54, v247 offset:1088
	ds_load_b32 v58, v247 offset:2176
	;; [unrolled: 1-line block ×5, first 2 shown]
	ds_load_2addr_b32 v[122:123], v124 offset0:40 offset1:56
	ds_load_2addr_b32 v[124:125], v124 offset0:108 offset1:124
	v_wmma_f16_16x16x16_f16 v[24:31], v[82:89], v[60:67], v[24:31] op_sel:[0,0,1]
	v_add_nc_u32_e32 v86, 0x2a00, v214
	ds_load_2addr_b32 v[126:127], v86 offset0:116 offset1:132
	ds_load_2addr_b32 v[128:129], v130 offset0:56 offset1:72
	;; [unrolled: 1-line block ×6, first 2 shown]
	s_waitcnt lgkmcnt(12)
	v_perm_b32 v84, v120, v54, 0x5040100
	v_perm_b32 v82, v71, v56, 0x5040100
	;; [unrolled: 1-line block ×3, first 2 shown]
	s_waitcnt lgkmcnt(6)
	v_perm_b32 v85, v124, v122, 0x5040100
	s_waitcnt lgkmcnt(5)
	v_perm_b32 v86, v126, v58, 0x5040100
	;; [unrolled: 2-line block ×5, first 2 shown]
	s_delay_alu instid0(VALU_DEP_1)
	v_wmma_f16_16x16x16_f16 v[16:23], v[82:89], v[60:67], v[16:23]
	v_perm_b32 v84, v120, v54, 0x7060302
	v_perm_b32 v86, v126, v58, 0x7060302
	;; [unrolled: 1-line block ×8, first 2 shown]
	s_delay_alu instid0(VALU_DEP_1)
	v_wmma_f16_16x16x16_f16 v[16:23], v[82:89], v[60:67], v[16:23] op_sel:[0,0,1]
	v_perm_b32 v82, v72, v57, 0x5040100
	v_perm_b32 v83, v119, v117, 0x5040100
	;; [unrolled: 1-line block ×8, first 2 shown]
	s_delay_alu instid0(VALU_DEP_1)
	v_wmma_f16_16x16x16_f16 v[8:15], v[82:89], v[60:67], v[8:15]
	v_perm_b32 v82, v72, v57, 0x7060302
	v_perm_b32 v84, v121, v45, 0x7060302
	;; [unrolled: 1-line block ×4, first 2 shown]
	ds_load_b32 v47, v184 offset:1088
	ds_load_b32 v54, v184 offset:2176
	;; [unrolled: 1-line block ×6, first 2 shown]
	ds_load_2addr_b32 v[45:46], v141 offset0:172 offset1:192
	v_perm_b32 v83, v119, v117, 0x7060302
	v_perm_b32 v85, v125, v123, 0x7060302
	;; [unrolled: 1-line block ×4, first 2 shown]
	s_delay_alu instid0(VALU_DEP_1)
	v_wmma_f16_16x16x16_f16 v[8:15], v[82:89], v[60:67], v[8:15] op_sel:[0,0,1]
	v_perm_b32 v82, v53, v55, 0x5040100
	v_perm_b32 v83, v70, v68, 0x5040100
	;; [unrolled: 1-line block ×4, first 2 shown]
	s_waitcnt lgkmcnt(6)
	v_perm_b32 v84, v90, v47, 0x5040100
	s_waitcnt lgkmcnt(5)
	v_perm_b32 v86, v105, v54, 0x5040100
	;; [unrolled: 2-line block ×4, first 2 shown]
	s_delay_alu instid0(VALU_DEP_1)
	v_wmma_f16_16x16x16_f16 v[0:7], v[82:89], v[60:67], v[0:7]
	v_perm_b32 v89, v45, v115, 0x7060302
	v_sub_f32_e32 v45, v81, v48
	v_perm_b32 v84, v90, v47, 0x7060302
	v_perm_b32 v82, v53, v55, 0x7060302
	;; [unrolled: 1-line block ×4, first 2 shown]
	v_mul_f32_e32 v47, 0x3fb8aa3b, v45
	v_cmp_ngt_f32_e64 s4, 0xc2ce8ed0, v45
	v_perm_b32 v83, v70, v68, 0x7060302
	v_perm_b32 v85, v94, v92, 0x7060302
	;; [unrolled: 1-line block ×3, first 2 shown]
	v_fma_f32 v53, 0x3fb8aa3b, v45, -v47
	v_rndne_f32_e32 v54, v47
	v_add_nc_u32_e32 v68, 0x3600, v214
	v_add_nc_u32_e32 v111, 0x3400, v214
	v_wmma_f16_16x16x16_f16 v[0:7], v[82:89], v[60:67], v[0:7] op_sel:[0,0,1]
	v_fmac_f32_e32 v53, 0x32a5705f, v45
	v_sub_f32_e32 v47, v47, v54
	v_cvt_i32_f32_e32 v54, v54
	s_delay_alu instid0(VALU_DEP_2) | instskip(SKIP_1) | instid1(VALU_DEP_2)
	v_add_f32_e32 v47, v47, v53
	v_dual_sub_f32 v53, v80, v48 :: v_dual_add_nc_u32 v80, 0x3e00, v214
	v_exp_f32_e32 v47, v47
	s_delay_alu instid0(VALU_DEP_1) | instskip(SKIP_1) | instid1(VALU_DEP_2)
	v_mul_f32_e32 v55, 0x3fb8aa3b, v53
	v_cmp_ngt_f32_e64 s5, 0xc2ce8ed0, v53
	v_fma_f32 v56, 0x3fb8aa3b, v53, -v55
	v_rndne_f32_e32 v57, v55
	s_waitcnt_depctr 0xfff
	v_ldexp_f32 v47, v47, v54
	v_fmac_f32_e32 v56, 0x32a5705f, v53
	v_sub_f32_e32 v55, v55, v57
	s_delay_alu instid0(VALU_DEP_3) | instskip(SKIP_1) | instid1(VALU_DEP_3)
	v_cndmask_b32_e64 v47, 0, v47, s4
	v_cmp_nlt_f32_e64 s4, 0x42b17218, v45
	v_add_f32_e32 v55, v55, v56
	s_delay_alu instid0(VALU_DEP_2) | instskip(NEXT) | instid1(VALU_DEP_2)
	v_cndmask_b32_e64 v47, 0x7f800000, v47, s4
	v_exp_f32_e32 v54, v55
	v_cvt_i32_f32_e32 v55, v57
	v_add_nc_u32_e32 v125, 0x3c00, v214
	s_waitcnt_depctr 0xfff
	v_ldexp_f32 v54, v54, v55
	ds_bpermute_b32 v55, v73, v47
	v_cndmask_b32_e64 v45, 0, v54, s5
	v_cmp_nlt_f32_e64 s5, 0x42b17218, v53
	s_delay_alu instid0(VALU_DEP_1)
	v_cndmask_b32_e64 v45, 0x7f800000, v45, s5
	v_add_nc_u32_e32 v119, 0x3800, v214
	ds_bpermute_b32 v53, v73, v45
	s_waitcnt lgkmcnt(0)
	v_cndmask_b32_e64 v54, v45, v53, s1
	v_cndmask_b32_e32 v53, v45, v53, vcc_lo
	s_delay_alu instid0(VALU_DEP_2) | instskip(NEXT) | instid1(VALU_DEP_2)
	v_cndmask_b32_e64 v56, v54, v47, s2
	v_cndmask_b32_e64 v57, v53, v47, s3
	v_cvt_f16_f32_e32 v54, v54
	v_cvt_f16_f32_e32 v53, v53
	s_delay_alu instid0(VALU_DEP_4) | instskip(NEXT) | instid1(VALU_DEP_4)
	v_cndmask_b32_e64 v56, v56, v55, s1
	v_cndmask_b32_e32 v55, v57, v55, vcc_lo
	s_delay_alu instid0(VALU_DEP_3) | instskip(SKIP_1) | instid1(VALU_DEP_4)
	v_pack_b32_f16 v60, v54, v53
	v_sub_f32_e32 v53, v79, v48
	v_cvt_f16_f32_e32 v57, v56
	s_delay_alu instid0(VALU_DEP_4) | instskip(NEXT) | instid1(VALU_DEP_3)
	v_cvt_f16_f32_e32 v58, v55
	v_mul_f32_e32 v54, 0x3fb8aa3b, v53
	v_cmp_ngt_f32_e64 s4, 0xc2ce8ed0, v53
	s_delay_alu instid0(VALU_DEP_3) | instskip(NEXT) | instid1(VALU_DEP_3)
	v_pack_b32_f16 v61, v57, v58
	v_fma_f32 v57, 0x3fb8aa3b, v53, -v54
	v_rndne_f32_e32 v58, v54
	s_delay_alu instid0(VALU_DEP_1) | instskip(NEXT) | instid1(VALU_DEP_1)
	v_dual_fmac_f32 v57, 0x32a5705f, v53 :: v_dual_sub_f32 v54, v54, v58
	v_add_f32_e32 v54, v54, v57
	v_cvt_i32_f32_e32 v57, v58
	s_delay_alu instid0(VALU_DEP_2) | instskip(SKIP_2) | instid1(VALU_DEP_1)
	v_exp_f32_e32 v54, v54
	s_waitcnt_depctr 0xfff
	v_ldexp_f32 v54, v54, v57
	v_cndmask_b32_e64 v54, 0, v54, s4
	v_cmp_nlt_f32_e64 s4, 0x42b17218, v53
	s_delay_alu instid0(VALU_DEP_1) | instskip(SKIP_1) | instid1(VALU_DEP_2)
	v_cndmask_b32_e64 v135, 0x7f800000, v54, s4
	v_add_nc_u32_e32 v131, 0x4000, v214
	v_cndmask_b32_e64 v53, v55, v135, s3
	ds_bpermute_b32 v55, v73, v135
	v_cndmask_b32_e64 v54, v56, v135, s2
	s_waitcnt lgkmcnt(0)
	s_delay_alu instid0(VALU_DEP_1) | instskip(SKIP_1) | instid1(VALU_DEP_2)
	v_cndmask_b32_e64 v54, v54, v55, s1
	v_cndmask_b32_e32 v53, v53, v55, vcc_lo
	v_cvt_f16_f32_e32 v55, v54
	s_delay_alu instid0(VALU_DEP_2) | instskip(NEXT) | instid1(VALU_DEP_1)
	v_cvt_f16_f32_e32 v56, v53
	v_pack_b32_f16 v62, v55, v56
	v_dual_sub_f32 v55, v78, v48 :: v_dual_add_nc_u32 v78, 0x3a00, v214
	s_delay_alu instid0(VALU_DEP_1) | instskip(SKIP_1) | instid1(VALU_DEP_2)
	v_mul_f32_e32 v56, 0x3fb8aa3b, v55
	v_cmp_ngt_f32_e64 s4, 0xc2ce8ed0, v55
	v_fma_f32 v57, 0x3fb8aa3b, v55, -v56
	v_rndne_f32_e32 v58, v56
	s_delay_alu instid0(VALU_DEP_1) | instskip(NEXT) | instid1(VALU_DEP_1)
	v_dual_fmac_f32 v57, 0x32a5705f, v55 :: v_dual_sub_f32 v56, v56, v58
	v_add_f32_e32 v56, v56, v57
	v_cvt_i32_f32_e32 v57, v58
	s_delay_alu instid0(VALU_DEP_2) | instskip(SKIP_2) | instid1(VALU_DEP_1)
	v_exp_f32_e32 v56, v56
	s_waitcnt_depctr 0xfff
	v_ldexp_f32 v56, v56, v57
	v_cndmask_b32_e64 v56, 0, v56, s4
	v_cmp_nlt_f32_e64 s4, 0x42b17218, v55
	s_delay_alu instid0(VALU_DEP_1) | instskip(SKIP_4) | instid1(VALU_DEP_1)
	v_cndmask_b32_e64 v136, 0x7f800000, v56, s4
	ds_bpermute_b32 v55, v73, v136
	v_cndmask_b32_e64 v53, v53, v136, s3
	v_cndmask_b32_e64 v54, v54, v136, s2
	s_waitcnt lgkmcnt(0)
	v_cndmask_b32_e64 v54, v54, v55, s1
	s_delay_alu instid0(VALU_DEP_3) | instskip(NEXT) | instid1(VALU_DEP_2)
	v_cndmask_b32_e32 v53, v53, v55, vcc_lo
	v_cvt_f16_f32_e32 v55, v54
	s_delay_alu instid0(VALU_DEP_2) | instskip(NEXT) | instid1(VALU_DEP_1)
	v_cvt_f16_f32_e32 v56, v53
	v_pack_b32_f16 v63, v55, v56
	v_sub_f32_e32 v55, v77, v48
	s_delay_alu instid0(VALU_DEP_1) | instskip(SKIP_1) | instid1(VALU_DEP_2)
	v_mul_f32_e32 v56, 0x3fb8aa3b, v55
	v_cmp_ngt_f32_e64 s4, 0xc2ce8ed0, v55
	v_fma_f32 v57, 0x3fb8aa3b, v55, -v56
	v_rndne_f32_e32 v58, v56
	s_delay_alu instid0(VALU_DEP_1) | instskip(NEXT) | instid1(VALU_DEP_1)
	v_dual_fmac_f32 v57, 0x32a5705f, v55 :: v_dual_sub_f32 v56, v56, v58
	v_add_f32_e32 v56, v56, v57
	v_cvt_i32_f32_e32 v57, v58
	s_delay_alu instid0(VALU_DEP_2) | instskip(SKIP_2) | instid1(VALU_DEP_1)
	v_exp_f32_e32 v56, v56
	s_waitcnt_depctr 0xfff
	v_ldexp_f32 v56, v56, v57
	v_cndmask_b32_e64 v56, 0, v56, s4
	v_cmp_nlt_f32_e64 s4, 0x42b17218, v55
	s_delay_alu instid0(VALU_DEP_1) | instskip(SKIP_4) | instid1(VALU_DEP_1)
	v_cndmask_b32_e64 v137, 0x7f800000, v56, s4
	ds_bpermute_b32 v55, v73, v137
	v_cndmask_b32_e64 v53, v53, v137, s3
	v_cndmask_b32_e64 v54, v54, v137, s2
	s_waitcnt lgkmcnt(0)
	v_cndmask_b32_e64 v54, v54, v55, s1
	s_delay_alu instid0(VALU_DEP_3) | instskip(NEXT) | instid1(VALU_DEP_2)
	v_cndmask_b32_e32 v53, v53, v55, vcc_lo
	v_cvt_f16_f32_e32 v55, v54
	s_delay_alu instid0(VALU_DEP_2) | instskip(NEXT) | instid1(VALU_DEP_1)
	v_cvt_f16_f32_e32 v56, v53
	v_pack_b32_f16 v64, v55, v56
	v_sub_f32_e32 v55, v76, v48
	;; [unrolled: 29-line block ×4, first 2 shown]
	s_delay_alu instid0(VALU_DEP_1) | instskip(SKIP_1) | instid1(VALU_DEP_2)
	v_mul_f32_e32 v56, 0x3fb8aa3b, v55
	v_cmp_ngt_f32_e64 s4, 0xc2ce8ed0, v55
	v_fma_f32 v57, 0x3fb8aa3b, v55, -v56
	v_rndne_f32_e32 v58, v56
	s_delay_alu instid0(VALU_DEP_1) | instskip(NEXT) | instid1(VALU_DEP_1)
	v_dual_fmac_f32 v57, 0x32a5705f, v55 :: v_dual_sub_f32 v56, v56, v58
	v_add_f32_e32 v56, v56, v57
	v_cvt_i32_f32_e32 v57, v58
	s_delay_alu instid0(VALU_DEP_2) | instskip(SKIP_2) | instid1(VALU_DEP_1)
	v_exp_f32_e32 v56, v56
	s_waitcnt_depctr 0xfff
	v_ldexp_f32 v56, v56, v57
	v_cndmask_b32_e64 v56, 0, v56, s4
	v_cmp_nlt_f32_e64 s4, 0x42b17218, v55
	s_delay_alu instid0(VALU_DEP_1) | instskip(SKIP_4) | instid1(VALU_DEP_1)
	v_cndmask_b32_e64 v146, 0x7f800000, v56, s4
	ds_bpermute_b32 v55, v73, v146
	v_cndmask_b32_e64 v53, v53, v146, s3
	v_cndmask_b32_e64 v54, v54, v146, s2
	s_waitcnt lgkmcnt(0)
	v_cndmask_b32_e64 v54, v54, v55, s1
	s_delay_alu instid0(VALU_DEP_3) | instskip(NEXT) | instid1(VALU_DEP_2)
	v_cndmask_b32_e32 v53, v53, v55, vcc_lo
	v_cvt_f16_f32_e32 v54, v54
	s_delay_alu instid0(VALU_DEP_2) | instskip(NEXT) | instid1(VALU_DEP_1)
	v_cvt_f16_f32_e32 v53, v53
	v_pack_b32_f16 v67, v54, v53
	v_add_nc_u32_e32 v53, 0x3200, v214
	ds_load_2addr_b32 v[53:54], v53 offset0:112 offset1:132
	ds_load_2addr_b32 v[55:56], v111 offset0:52 offset1:72
	;; [unrolled: 1-line block ×6, first 2 shown]
	ds_load_b32 v147, v227 offset:2176
	ds_load_2addr_b32 v[84:85], v78 offset0:76 offset1:164
	ds_load_2addr_b32 v[86:87], v125 offset0:84 offset1:104
	;; [unrolled: 1-line block ×19, first 2 shown]
	ds_load_b32 v141, v230 offset:2176
	s_waitcnt lgkmcnt(0)
	s_barrier
	buffer_gl0_inv
	v_perm_b32 v74, v54, v46, 0x5040100
	v_perm_b32 v75, v58, v56, 0x5040100
	v_perm_b32 v76, v69, v43, 0x5040100
	v_perm_b32 v77, v83, v71, 0x5040100
	v_perm_b32 v78, v85, v147, 0x5040100
	v_perm_b32 v79, v89, v87, 0x5040100
	v_perm_b32 v80, v91, v59, 0x5040100
	v_perm_b32 v81, v95, v93, 0x5040100
	s_delay_alu instid0(VALU_DEP_1)
	v_wmma_f16_16x16x16_f16 v[24:31], v[74:81], v[60:67], v[24:31]
	v_perm_b32 v74, v107, v105, 0x5040100
	v_perm_b32 v75, v111, v109, 0x5040100
	v_perm_b32 v76, v115, v142, 0x5040100
	v_perm_b32 v77, v119, v117, 0x5040100
	v_perm_b32 v78, v121, v143, 0x5040100
	v_perm_b32 v79, v125, v123, 0x5040100
	v_perm_b32 v80, v127, v40, 0x5040100
	v_perm_b32 v81, v131, v129, 0x5040100
	s_delay_alu instid0(VALU_DEP_1)
	v_wmma_f16_16x16x16_f16 v[16:23], v[74:81], v[60:67], v[16:23]
	;; [unrolled: 10-line block ×4, first 2 shown]
	v_perm_b32 v74, v54, v46, 0x7060302
	v_perm_b32 v76, v69, v43, 0x7060302
	v_perm_b32 v78, v85, v147, 0x7060302
	v_perm_b32 v80, v91, v59, 0x7060302
	v_perm_b32 v75, v58, v56, 0x7060302
	v_perm_b32 v77, v83, v71, 0x7060302
	v_perm_b32 v79, v89, v87, 0x7060302
	v_perm_b32 v81, v95, v93, 0x7060302
	s_delay_alu instid0(VALU_DEP_1)
	v_wmma_f16_16x16x16_f16 v[24:31], v[74:81], v[60:67], v[24:31] op_sel:[0,0,1]
	v_perm_b32 v80, v127, v40, 0x7060302
	v_add_f32_e32 v40, v97, v98
	v_perm_b32 v76, v115, v142, 0x7060302
	v_perm_b32 v78, v121, v143, 0x7060302
	;; [unrolled: 1-line block ×4, first 2 shown]
	v_add_f32_e32 v40, v99, v40
	v_perm_b32 v77, v119, v117, 0x7060302
	v_perm_b32 v79, v125, v123, 0x7060302
	;; [unrolled: 1-line block ×3, first 2 shown]
	s_delay_alu instid0(VALU_DEP_4) | instskip(NEXT) | instid1(VALU_DEP_2)
	v_add_f32_e32 v40, v100, v40
	v_wmma_f16_16x16x16_f16 v[16:23], v[74:81], v[60:67], v[16:23] op_sel:[0,0,1]
	v_perm_b32 v74, v108, v106, 0x7060302
	s_delay_alu instid0(VALU_DEP_3)
	v_add_f32_e32 v40, v101, v40
	v_perm_b32 v75, v112, v110, 0x7060302
	v_perm_b32 v77, v120, v118, 0x7060302
	;; [unrolled: 1-line block ×4, first 2 shown]
	v_add_f32_e32 v40, v102, v40
	v_perm_b32 v76, v116, v41, 0x7060302
	v_perm_b32 v78, v122, v141, 0x7060302
	;; [unrolled: 1-line block ×3, first 2 shown]
	s_delay_alu instid0(VALU_DEP_4) | instskip(NEXT) | instid1(VALU_DEP_2)
	v_add_f32_e32 v40, v103, v40
	v_wmma_f16_16x16x16_f16 v[8:15], v[74:81], v[60:67], v[8:15] op_sel:[0,0,1]
	v_perm_b32 v74, v55, v53, 0x7060302
	s_delay_alu instid0(VALU_DEP_3)
	v_add_f32_e32 v40, v104, v40
	v_perm_b32 v75, v68, v57, 0x7060302
	v_perm_b32 v77, v84, v82, 0x7060302
	;; [unrolled: 1-line block ×4, first 2 shown]
	v_add_f32_e32 v32, v32, v40
	v_perm_b32 v78, v86, v133, 0x7060302
	v_perm_b32 v80, v92, v134, 0x7060302
	;; [unrolled: 1-line block ×3, first 2 shown]
	s_delay_alu instid0(VALU_DEP_4) | instskip(NEXT) | instid1(VALU_DEP_2)
	v_add_f32_e32 v32, v33, v32
	v_wmma_f16_16x16x16_f16 v[0:7], v[74:81], v[60:67], v[0:7] op_sel:[0,0,1]
	s_delay_alu instid0(VALU_DEP_2) | instskip(NEXT) | instid1(VALU_DEP_1)
	v_add_f32_e32 v32, v34, v32
	v_add_f32_e32 v32, v35, v32
	s_delay_alu instid0(VALU_DEP_1) | instskip(NEXT) | instid1(VALU_DEP_1)
	v_add_f32_e32 v32, v36, v32
	v_add_f32_e32 v32, v37, v32
	s_delay_alu instid0(VALU_DEP_1) | instskip(NEXT) | instid1(VALU_DEP_1)
	;; [unrolled: 3-line block ×10, first 2 shown]
	v_add_f32_e32 v32, v145, v32
	v_add_f32_e32 v32, v146, v32
	s_delay_alu instid0(VALU_DEP_1)
	v_fmac_f32_e32 v32, v188, v96
	ds_bpermute_b32 v33, v73, v32
	s_waitcnt lgkmcnt(0)
	v_add_f32_e32 v49, v32, v33
	s_cbranch_scc1 .LBB24_91
; %bb.90:                               ;   in Loop: Header=BB24_14 Depth=1
	scratch_load_b32 v32, off, off offset:656 ; 4-byte Folded Reload
	v_max_f32_e32 v33, v48, v48
	s_waitcnt vmcnt(0)
	v_lshlrev_b32_e32 v32, 2, v32
	global_load_b32 v32, v32, s[72:73]
	s_waitcnt vmcnt(0)
	v_max_f32_e32 v34, v32, v32
	s_delay_alu instid0(VALU_DEP_1) | instskip(NEXT) | instid1(VALU_DEP_1)
	v_max_f32_e32 v33, v33, v34
	v_sub_f32_e32 v34, v48, v33
	v_mov_b32_e32 v48, v33
	s_delay_alu instid0(VALU_DEP_2) | instskip(NEXT) | instid1(VALU_DEP_1)
	v_dual_sub_f32 v32, v32, v33 :: v_dual_mul_f32 v35, 0x3fb8aa3b, v34
	v_fma_f32 v36, 0x3fb8aa3b, v34, -v35
	v_rndne_f32_e32 v37, v35
	s_delay_alu instid0(VALU_DEP_1) | instskip(SKIP_1) | instid1(VALU_DEP_2)
	v_dual_fmac_f32 v36, 0x32a5705f, v34 :: v_dual_sub_f32 v35, v35, v37
	v_cvt_i32_f32_e32 v37, v37
	v_add_f32_e32 v35, v35, v36
	v_cmp_ngt_f32_e32 vcc_lo, 0xc2ce8ed0, v34
	s_delay_alu instid0(VALU_DEP_2) | instskip(SKIP_2) | instid1(VALU_DEP_1)
	v_exp_f32_e32 v35, v35
	s_waitcnt_depctr 0xfff
	v_ldexp_f32 v35, v35, v37
	v_dual_mul_f32 v38, 0x3fb8aa3b, v32 :: v_dual_cndmask_b32 v35, 0, v35
	s_delay_alu instid0(VALU_DEP_1) | instskip(SKIP_2) | instid1(VALU_DEP_2)
	v_fma_f32 v39, 0x3fb8aa3b, v32, -v38
	v_rndne_f32_e32 v40, v38
	v_cmp_nlt_f32_e32 vcc_lo, 0x42b17218, v34
	v_dual_sub_f32 v36, v38, v40 :: v_dual_cndmask_b32 v35, 0x7f800000, v35
	s_delay_alu instid0(VALU_DEP_4) | instskip(SKIP_2) | instid1(VALU_DEP_3)
	v_fmac_f32_e32 v39, 0x32a5705f, v32
	v_cvt_i32_f32_e32 v37, v40
	v_cmp_ngt_f32_e32 vcc_lo, 0xc2ce8ed0, v32
	v_add_f32_e32 v36, v36, v39
	s_delay_alu instid0(VALU_DEP_1) | instskip(SKIP_2) | instid1(VALU_DEP_1)
	v_exp_f32_e32 v36, v36
	s_waitcnt_depctr 0xfff
	v_ldexp_f32 v36, v36, v37
	v_cndmask_b32_e32 v36, 0, v36, vcc_lo
	v_cmp_le_f32_e32 vcc_lo, 0xc1a00000, v34
	v_cndmask_b32_e32 v34, 0, v35, vcc_lo
	v_cmp_nlt_f32_e32 vcc_lo, 0x42b17218, v32
	s_delay_alu instid0(VALU_DEP_2) | instskip(SKIP_1) | instid1(VALU_DEP_2)
	v_cvt_f16_f32_e32 v35, v34
	v_cndmask_b32_e32 v32, 0x7f800000, v36, vcc_lo
	v_pk_mul_f16 v24, v35, v24 op_sel_hi:[0,1]
	s_delay_alu instid0(VALU_DEP_2)
	v_fmac_f32_e32 v32, v49, v34
	v_pk_mul_f16 v25, v35, v25 op_sel_hi:[0,1]
	v_pk_mul_f16 v26, v35, v26 op_sel_hi:[0,1]
	;; [unrolled: 1-line block ×4, first 2 shown]
	v_mov_b32_e32 v49, v32
	v_pk_mul_f16 v29, v35, v29 op_sel_hi:[0,1]
	v_pk_mul_f16 v30, v35, v30 op_sel_hi:[0,1]
	;; [unrolled: 1-line block ×27, first 2 shown]
.LBB24_91:                              ;   in Loop: Header=BB24_14 Depth=1
	s_clause 0x4
	scratch_load_b32 v44, off, off offset:548
	scratch_load_b32 v45, off, off offset:552
	;; [unrolled: 1-line block ×5, first 2 shown]
	s_waitcnt vmcnt(0)
	s_barrier
	buffer_gl0_inv
	s_mov_b32 s1, exec_lo
	s_clause 0xb
	scratch_load_b32 v114, off, off offset:4
	scratch_load_b32 v159, off, off offset:652
	;; [unrolled: 1-line block ×12, first 2 shown]
	s_and_b32 s2, s1, s0
	s_delay_alu instid0(SALU_CYCLE_1)
	s_mov_b32 exec_lo, s2
	s_cbranch_execz .LBB24_93
; %bb.92:                               ;   in Loop: Header=BB24_14 Depth=1
	scratch_load_b64 v[32:33], off, off offset:752 ; 8-byte Folded Reload
	s_waitcnt vmcnt(0)
	global_store_b64 v[32:33], v[48:49], off
.LBB24_93:                              ;   in Loop: Header=BB24_14 Depth=1
	s_or_b32 exec_lo, exec_lo, s1
	scratch_load_b32 v32, off, off offset:648 ; 4-byte Folded Reload
	s_waitcnt vmcnt(0)
	ds_store_2addr_b32 v32, v24, v25 offset1:2
	ds_store_2addr_b32 v32, v26, v27 offset0:4 offset1:6
	ds_store_2addr_b32 v32, v28, v29 offset0:8 offset1:10
	;; [unrolled: 1-line block ×15, first 2 shown]
	s_clause 0x1
	scratch_load_b32 v4, off, off offset:568
	scratch_load_b32 v9, off, off offset:284
	v_mov_b32_e32 v0, 50
	s_waitcnt vmcnt(0) lgkmcnt(0)
	s_waitcnt_vscnt null, 0x0
	s_barrier
	buffer_gl0_inv
	v_cmp_gt_i32_e64 s1, s8, v4
	v_cmp_gt_i32_e64 s2, s76, v9
	v_cmp_le_i32_e32 vcc_lo, s76, v9
	s_delay_alu instid0(VALU_DEP_2) | instskip(NEXT) | instid1(SALU_CYCLE_1)
	s_and_b32 s1, s1, s2
	s_and_saveexec_b32 s2, s1
	s_cbranch_execz .LBB24_95
; %bb.94:                               ;   in Loop: Header=BB24_14 Depth=1
	ds_load_2addr_b32 v[0:1], v196 offset1:32
	v_mad_u64_u32 v[2:3], null, v4, s9, v[162:163]
	s_delay_alu instid0(VALU_DEP_1) | instskip(NEXT) | instid1(VALU_DEP_1)
	v_lshl_add_u32 v2, v2, 6, v169
	v_ashrrev_i32_e32 v3, 31, v2
	s_delay_alu instid0(VALU_DEP_1)
	v_lshlrev_b64 v[2:3], 3, v[2:3]
	s_waitcnt lgkmcnt(0)
	v_lshrrev_b32_e32 v4, 16, v0
	v_lshrrev_b32_e32 v5, 16, v1
	v_cvt_f32_f16_e32 v0, v0
	v_cvt_f32_f16_e32 v6, v1
	v_add_co_u32 v1, s1, s49, v2
	v_cvt_f32_f16_e32 v4, v4
	v_cvt_f32_f16_e32 v7, v5
	v_add_co_ci_u32_e64 v2, s1, s67, v3, s1
	v_add_f32_e32 v3, 0, v0
	s_delay_alu instid0(VALU_DEP_4)
	v_dual_add_f32 v5, 0, v6 :: v_dual_add_f32 v4, 0, v4
	v_mov_b32_e32 v0, 0
	v_add_f32_e32 v6, 0, v7
	s_clause 0x1
	global_store_b64 v[1:2], v[3:4], off
	global_store_b64 v[1:2], v[5:6], off offset:256
.LBB24_95:                              ;   in Loop: Header=BB24_14 Depth=1
	s_or_b32 exec_lo, exec_lo, s2
	s_mov_b32 s4, -1
	s_mov_b32 s2, exec_lo
	v_cmpx_gt_i32_e32 50, v0
; %bb.96:                               ;   in Loop: Header=BB24_14 Depth=1
	v_cmp_eq_u32_e64 s1, 0, v0
	s_delay_alu instid0(VALU_DEP_1)
	s_or_not1_b32 s4, s1, exec_lo
; %bb.97:                               ;   in Loop: Header=BB24_14 Depth=1
	s_or_b32 exec_lo, exec_lo, s2
	s_mov_b32 s2, 0
	s_mov_b32 s75, 0
                                        ; implicit-def: $vgpr1
                                        ; implicit-def: $vgpr2
	s_and_saveexec_b32 s3, s4
	s_cbranch_execz .LBB24_185
; %bb.98:                               ;   in Loop: Header=BB24_14 Depth=1
	v_cmp_gt_i32_e64 s1, s8, v50
	v_mov_b32_e32 v0, 50
	s_xor_b32 s5, vcc_lo, -1
	s_delay_alu instid0(VALU_DEP_2) | instid1(SALU_CYCLE_1)
	s_and_b32 s4, s1, s5
	s_delay_alu instid0(SALU_CYCLE_1)
	s_and_saveexec_b32 s1, s4
	s_cbranch_execz .LBB24_100
; %bb.99:                               ;   in Loop: Header=BB24_14 Depth=1
	ds_load_2addr_b32 v[0:1], v205 offset1:32
	v_mad_u64_u32 v[2:3], null, v50, s9, v[162:163]
	s_delay_alu instid0(VALU_DEP_1) | instskip(NEXT) | instid1(VALU_DEP_1)
	v_lshl_add_u32 v2, v2, 6, v169
	v_ashrrev_i32_e32 v3, 31, v2
	s_delay_alu instid0(VALU_DEP_1)
	v_lshlrev_b64 v[2:3], 3, v[2:3]
	s_waitcnt lgkmcnt(0)
	v_lshrrev_b32_e32 v4, 16, v0
	v_lshrrev_b32_e32 v5, 16, v1
	v_cvt_f32_f16_e32 v0, v0
	v_cvt_f32_f16_e32 v6, v1
	v_add_co_u32 v1, vcc_lo, s49, v2
	v_cvt_f32_f16_e32 v4, v4
	v_cvt_f32_f16_e32 v7, v5
	v_add_co_ci_u32_e32 v2, vcc_lo, s67, v3, vcc_lo
	v_add_f32_e32 v3, 0, v0
	s_delay_alu instid0(VALU_DEP_4)
	v_dual_add_f32 v5, 0, v6 :: v_dual_add_f32 v4, 0, v4
	v_mov_b32_e32 v0, 0
	v_add_f32_e32 v6, 0, v7
	s_clause 0x1
	global_store_b64 v[1:2], v[3:4], off
	global_store_b64 v[1:2], v[5:6], off offset:256
.LBB24_100:                             ;   in Loop: Header=BB24_14 Depth=1
	s_or_b32 exec_lo, exec_lo, s1
	s_mov_b32 s14, -1
	s_mov_b32 s1, exec_lo
	v_cmpx_gt_i32_e32 50, v0
; %bb.101:                              ;   in Loop: Header=BB24_14 Depth=1
	v_cmp_eq_u32_e32 vcc_lo, 0, v0
	s_or_not1_b32 s14, vcc_lo, exec_lo
; %bb.102:                              ;   in Loop: Header=BB24_14 Depth=1
	s_or_b32 exec_lo, exec_lo, s1
	s_mov_b32 s4, 0
                                        ; implicit-def: $vgpr1
                                        ; implicit-def: $vgpr2
	s_and_saveexec_b32 s1, s14
	s_cbranch_execz .LBB24_184
; %bb.103:                              ;   in Loop: Header=BB24_14 Depth=1
	v_cmp_gt_i32_e32 vcc_lo, s8, v47
	v_mov_b32_e32 v0, 50
	s_and_b32 s14, vcc_lo, s5
	s_delay_alu instid0(SALU_CYCLE_1)
	s_and_saveexec_b32 s4, s14
	s_cbranch_execz .LBB24_105
; %bb.104:                              ;   in Loop: Header=BB24_14 Depth=1
	scratch_load_b32 v0, off, off offset:452 ; 4-byte Folded Reload
	v_mad_u64_u32 v[2:3], null, v47, s9, v[162:163]
	s_delay_alu instid0(VALU_DEP_1) | instskip(NEXT) | instid1(VALU_DEP_1)
	v_lshl_add_u32 v2, v2, 6, v169
	v_ashrrev_i32_e32 v3, 31, v2
	s_delay_alu instid0(VALU_DEP_1)
	v_lshlrev_b64 v[2:3], 3, v[2:3]
	s_waitcnt vmcnt(0)
	ds_load_2addr_b32 v[0:1], v0 offset1:32
	s_waitcnt lgkmcnt(0)
	v_lshrrev_b32_e32 v4, 16, v0
	v_lshrrev_b32_e32 v5, 16, v1
	v_cvt_f32_f16_e32 v0, v0
	v_cvt_f32_f16_e32 v6, v1
	v_add_co_u32 v1, vcc_lo, s49, v2
	v_cvt_f32_f16_e32 v4, v4
	v_cvt_f32_f16_e32 v7, v5
	v_add_co_ci_u32_e32 v2, vcc_lo, s67, v3, vcc_lo
	v_add_f32_e32 v3, 0, v0
	s_delay_alu instid0(VALU_DEP_4)
	v_dual_add_f32 v5, 0, v6 :: v_dual_add_f32 v4, 0, v4
	v_mov_b32_e32 v0, 0
	v_add_f32_e32 v6, 0, v7
	s_clause 0x1
	global_store_b64 v[1:2], v[3:4], off
	global_store_b64 v[1:2], v[5:6], off offset:256
.LBB24_105:                             ;   in Loop: Header=BB24_14 Depth=1
	s_or_b32 exec_lo, exec_lo, s4
	s_mov_b32 s54, -1
	s_mov_b32 s4, exec_lo
	v_cmpx_gt_i32_e32 50, v0
; %bb.106:                              ;   in Loop: Header=BB24_14 Depth=1
	v_cmp_eq_u32_e32 vcc_lo, 0, v0
	s_or_not1_b32 s54, vcc_lo, exec_lo
; %bb.107:                              ;   in Loop: Header=BB24_14 Depth=1
	s_or_b32 exec_lo, exec_lo, s4
	s_mov_b32 s14, 0
                                        ; implicit-def: $vgpr1
                                        ; implicit-def: $vgpr2
	s_and_saveexec_b32 s4, s54
	s_cbranch_execz .LBB24_183
; %bb.108:                              ;   in Loop: Header=BB24_14 Depth=1
	v_cmp_gt_i32_e32 vcc_lo, s8, v46
	v_mov_b32_e32 v0, 50
	s_and_b32 s54, vcc_lo, s5
	s_delay_alu instid0(SALU_CYCLE_1)
	s_and_saveexec_b32 s14, s54
	s_cbranch_execz .LBB24_110
; %bb.109:                              ;   in Loop: Header=BB24_14 Depth=1
	scratch_load_b32 v0, off, off offset:456 ; 4-byte Folded Reload
	v_mad_u64_u32 v[2:3], null, v46, s9, v[162:163]
	s_delay_alu instid0(VALU_DEP_1) | instskip(NEXT) | instid1(VALU_DEP_1)
	v_lshl_add_u32 v2, v2, 6, v169
	v_ashrrev_i32_e32 v3, 31, v2
	s_delay_alu instid0(VALU_DEP_1)
	v_lshlrev_b64 v[2:3], 3, v[2:3]
	s_waitcnt vmcnt(0)
	ds_load_2addr_b32 v[0:1], v0 offset1:32
	s_waitcnt lgkmcnt(0)
	v_lshrrev_b32_e32 v4, 16, v0
	v_lshrrev_b32_e32 v5, 16, v1
	v_cvt_f32_f16_e32 v0, v0
	v_cvt_f32_f16_e32 v6, v1
	v_add_co_u32 v1, vcc_lo, s49, v2
	v_cvt_f32_f16_e32 v4, v4
	v_cvt_f32_f16_e32 v7, v5
	v_add_co_ci_u32_e32 v2, vcc_lo, s67, v3, vcc_lo
	v_add_f32_e32 v3, 0, v0
	s_delay_alu instid0(VALU_DEP_4)
	v_dual_add_f32 v5, 0, v6 :: v_dual_add_f32 v4, 0, v4
	v_mov_b32_e32 v0, 0
	v_add_f32_e32 v6, 0, v7
	s_clause 0x1
	global_store_b64 v[1:2], v[3:4], off
	global_store_b64 v[1:2], v[5:6], off offset:256
.LBB24_110:                             ;   in Loop: Header=BB24_14 Depth=1
	;; [unrolled: 49-line block ×3, first 2 shown]
	s_or_b32 exec_lo, exec_lo, s54
	s_mov_b32 s66, -1
	s_mov_b32 s54, exec_lo
	v_cmpx_gt_i32_e32 50, v0
; %bb.116:                              ;   in Loop: Header=BB24_14 Depth=1
	v_cmp_eq_u32_e32 vcc_lo, 0, v0
	s_or_not1_b32 s66, vcc_lo, exec_lo
; %bb.117:                              ;   in Loop: Header=BB24_14 Depth=1
	s_or_b32 exec_lo, exec_lo, s54
	s_mov_b32 s61, 0
                                        ; implicit-def: $vgpr1
                                        ; implicit-def: $vgpr2
	s_and_saveexec_b32 s54, s66
	s_cbranch_execz .LBB24_181
; %bb.118:                              ;   in Loop: Header=BB24_14 Depth=1
	v_cmp_gt_i32_e32 vcc_lo, s8, v44
	v_mov_b32_e32 v0, 50
	s_and_b32 s66, vcc_lo, s5
	s_delay_alu instid0(SALU_CYCLE_1)
	s_and_saveexec_b32 s61, s66
	s_cbranch_execz .LBB24_120
; %bb.119:                              ;   in Loop: Header=BB24_14 Depth=1
	scratch_load_b32 v0, off, off offset:456 ; 4-byte Folded Reload
	v_mad_u64_u32 v[2:3], null, v44, s9, v[162:163]
	s_delay_alu instid0(VALU_DEP_1) | instskip(NEXT) | instid1(VALU_DEP_1)
	v_lshl_add_u32 v2, v2, 6, v169
	v_ashrrev_i32_e32 v3, 31, v2
	s_delay_alu instid0(VALU_DEP_1)
	v_lshlrev_b64 v[2:3], 3, v[2:3]
	s_waitcnt vmcnt(0)
	v_add_nc_u32_e32 v0, 0x800, v0
	ds_load_2addr_b32 v[0:1], v0 offset0:32 offset1:64
	s_waitcnt lgkmcnt(0)
	v_lshrrev_b32_e32 v4, 16, v0
	v_lshrrev_b32_e32 v5, 16, v1
	v_cvt_f32_f16_e32 v0, v0
	v_cvt_f32_f16_e32 v6, v1
	v_add_co_u32 v1, vcc_lo, s49, v2
	v_cvt_f32_f16_e32 v4, v4
	v_cvt_f32_f16_e32 v7, v5
	s_delay_alu instid0(VALU_DEP_4) | instskip(SKIP_1) | instid1(VALU_DEP_3)
	v_add_f32_e32 v5, 0, v6
	v_add_co_ci_u32_e32 v2, vcc_lo, s67, v3, vcc_lo
	v_dual_add_f32 v3, 0, v0 :: v_dual_add_f32 v6, 0, v7
	v_add_f32_e32 v4, 0, v4
	v_mov_b32_e32 v0, 0
	s_clause 0x1
	global_store_b64 v[1:2], v[3:4], off
	global_store_b64 v[1:2], v[5:6], off offset:256
.LBB24_120:                             ;   in Loop: Header=BB24_14 Depth=1
	s_or_b32 exec_lo, exec_lo, s61
	s_mov_b32 s74, -1
	s_mov_b32 s61, exec_lo
	v_cmpx_gt_i32_e32 50, v0
; %bb.121:                              ;   in Loop: Header=BB24_14 Depth=1
	v_cmp_eq_u32_e32 vcc_lo, 0, v0
	s_or_not1_b32 s74, vcc_lo, exec_lo
; %bb.122:                              ;   in Loop: Header=BB24_14 Depth=1
	s_or_b32 exec_lo, exec_lo, s61
	s_mov_b32 s66, 0
                                        ; implicit-def: $vgpr1
                                        ; implicit-def: $vgpr2
	s_and_saveexec_b32 s61, s74
	s_cbranch_execz .LBB24_180
; %bb.123:                              ;   in Loop: Header=BB24_14 Depth=1
	v_cmp_gt_i32_e32 vcc_lo, s8, v43
	v_mov_b32_e32 v0, 50
	s_and_b32 s74, vcc_lo, s5
	s_delay_alu instid0(SALU_CYCLE_1)
	s_and_saveexec_b32 s66, s74
	s_cbranch_execz .LBB24_125
; %bb.124:                              ;   in Loop: Header=BB24_14 Depth=1
	scratch_load_b32 v0, off, off offset:456 ; 4-byte Folded Reload
	v_mad_u64_u32 v[2:3], null, v43, s9, v[162:163]
	s_delay_alu instid0(VALU_DEP_1) | instskip(NEXT) | instid1(VALU_DEP_1)
	v_lshl_add_u32 v2, v2, 6, v169
	v_ashrrev_i32_e32 v3, 31, v2
	s_delay_alu instid0(VALU_DEP_1)
	v_lshlrev_b64 v[2:3], 3, v[2:3]
	s_waitcnt vmcnt(0)
	v_add_nc_u32_e32 v0, 0xc00, v0
	ds_load_2addr_b32 v[0:1], v0 offset0:48 offset1:80
	s_waitcnt lgkmcnt(0)
	v_lshrrev_b32_e32 v4, 16, v0
	v_lshrrev_b32_e32 v5, 16, v1
	v_cvt_f32_f16_e32 v0, v0
	v_cvt_f32_f16_e32 v6, v1
	v_add_co_u32 v1, vcc_lo, s49, v2
	v_cvt_f32_f16_e32 v4, v4
	v_cvt_f32_f16_e32 v7, v5
	s_delay_alu instid0(VALU_DEP_4) | instskip(SKIP_1) | instid1(VALU_DEP_3)
	v_add_f32_e32 v5, 0, v6
	v_add_co_ci_u32_e32 v2, vcc_lo, s67, v3, vcc_lo
	v_dual_add_f32 v3, 0, v0 :: v_dual_add_f32 v6, 0, v7
	v_add_f32_e32 v4, 0, v4
	v_mov_b32_e32 v0, 0
	s_clause 0x1
	global_store_b64 v[1:2], v[3:4], off
	global_store_b64 v[1:2], v[5:6], off offset:256
.LBB24_125:                             ;   in Loop: Header=BB24_14 Depth=1
	;; [unrolled: 50-line block ×3, first 2 shown]
	s_or_b32 exec_lo, exec_lo, s74
	s_mov_b32 s77, -1
	s_mov_b32 s74, exec_lo
	v_cmpx_gt_i32_e32 50, v0
; %bb.131:                              ;   in Loop: Header=BB24_14 Depth=1
	v_cmp_eq_u32_e32 vcc_lo, 0, v0
	s_or_not1_b32 s77, vcc_lo, exec_lo
; %bb.132:                              ;   in Loop: Header=BB24_14 Depth=1
	s_or_b32 exec_lo, exec_lo, s74
	s_mov_b32 s75, 0
                                        ; implicit-def: $vgpr1
                                        ; implicit-def: $vgpr2
	s_and_saveexec_b32 s74, s77
	s_cbranch_execz .LBB24_178
; %bb.133:                              ;   in Loop: Header=BB24_14 Depth=1
	v_cmp_gt_i32_e32 vcc_lo, s8, v41
	v_mov_b32_e32 v0, 50
	s_and_b32 s77, vcc_lo, s5
	s_delay_alu instid0(SALU_CYCLE_1)
	s_and_saveexec_b32 s75, s77
	s_cbranch_execz .LBB24_135
; %bb.134:                              ;   in Loop: Header=BB24_14 Depth=1
	scratch_load_b32 v0, off, off offset:900 ; 4-byte Folded Reload
	v_mad_u64_u32 v[2:3], null, v41, s9, v[162:163]
	s_delay_alu instid0(VALU_DEP_1) | instskip(NEXT) | instid1(VALU_DEP_1)
	v_lshl_add_u32 v2, v2, 6, v169
	v_ashrrev_i32_e32 v3, 31, v2
	s_delay_alu instid0(VALU_DEP_1)
	v_lshlrev_b64 v[2:3], 3, v[2:3]
	s_waitcnt vmcnt(0)
	ds_load_2addr_b32 v[0:1], v0 offset1:32
	s_waitcnt lgkmcnt(0)
	v_lshrrev_b32_e32 v4, 16, v0
	v_lshrrev_b32_e32 v5, 16, v1
	v_cvt_f32_f16_e32 v0, v0
	v_cvt_f32_f16_e32 v6, v1
	v_add_co_u32 v1, vcc_lo, s49, v2
	v_cvt_f32_f16_e32 v4, v4
	v_cvt_f32_f16_e32 v7, v5
	v_add_co_ci_u32_e32 v2, vcc_lo, s67, v3, vcc_lo
	v_add_f32_e32 v3, 0, v0
	s_delay_alu instid0(VALU_DEP_4)
	v_dual_add_f32 v5, 0, v6 :: v_dual_add_f32 v4, 0, v4
	v_mov_b32_e32 v0, 0
	v_add_f32_e32 v6, 0, v7
	s_clause 0x1
	global_store_b64 v[1:2], v[3:4], off
	global_store_b64 v[1:2], v[5:6], off offset:256
.LBB24_135:                             ;   in Loop: Header=BB24_14 Depth=1
	s_or_b32 exec_lo, exec_lo, s75
	s_mov_b32 s79, -1
	s_mov_b32 s75, exec_lo
	v_cmpx_gt_i32_e32 50, v0
; %bb.136:                              ;   in Loop: Header=BB24_14 Depth=1
	v_cmp_eq_u32_e32 vcc_lo, 0, v0
	s_or_not1_b32 s79, vcc_lo, exec_lo
; %bb.137:                              ;   in Loop: Header=BB24_14 Depth=1
	s_or_b32 exec_lo, exec_lo, s75
	s_mov_b32 s77, 0
                                        ; implicit-def: $vgpr1
                                        ; implicit-def: $vgpr2
	s_and_saveexec_b32 s75, s79
	s_cbranch_execz .LBB24_177
; %bb.138:                              ;   in Loop: Header=BB24_14 Depth=1
	v_cmp_gt_i32_e32 vcc_lo, s8, v40
	v_mov_b32_e32 v0, 50
	s_and_b32 s79, vcc_lo, s5
	s_delay_alu instid0(SALU_CYCLE_1)
	s_and_saveexec_b32 s77, s79
	s_cbranch_execz .LBB24_140
; %bb.139:                              ;   in Loop: Header=BB24_14 Depth=1
	scratch_load_b32 v0, off, off offset:456 ; 4-byte Folded Reload
	v_mad_u64_u32 v[2:3], null, v40, s9, v[162:163]
	s_delay_alu instid0(VALU_DEP_1) | instskip(NEXT) | instid1(VALU_DEP_1)
	v_lshl_add_u32 v2, v2, 6, v169
	v_ashrrev_i32_e32 v3, 31, v2
	s_delay_alu instid0(VALU_DEP_1)
	v_lshlrev_b64 v[2:3], 3, v[2:3]
	s_waitcnt vmcnt(0)
	v_add_nc_u32_e32 v0, 0x1800, v0
	ds_load_2addr_b32 v[0:1], v0 offset0:96 offset1:128
	s_waitcnt lgkmcnt(0)
	v_lshrrev_b32_e32 v4, 16, v0
	v_lshrrev_b32_e32 v5, 16, v1
	v_cvt_f32_f16_e32 v0, v0
	v_cvt_f32_f16_e32 v6, v1
	v_add_co_u32 v1, vcc_lo, s49, v2
	v_cvt_f32_f16_e32 v4, v4
	v_cvt_f32_f16_e32 v7, v5
	s_delay_alu instid0(VALU_DEP_4) | instskip(SKIP_1) | instid1(VALU_DEP_3)
	v_add_f32_e32 v5, 0, v6
	v_add_co_ci_u32_e32 v2, vcc_lo, s67, v3, vcc_lo
	v_dual_add_f32 v3, 0, v0 :: v_dual_add_f32 v6, 0, v7
	v_add_f32_e32 v4, 0, v4
	v_mov_b32_e32 v0, 0
	s_clause 0x1
	global_store_b64 v[1:2], v[3:4], off
	global_store_b64 v[1:2], v[5:6], off offset:256
.LBB24_140:                             ;   in Loop: Header=BB24_14 Depth=1
	s_or_b32 exec_lo, exec_lo, s77
	s_mov_b32 s80, -1
	s_mov_b32 s77, exec_lo
	v_cmpx_gt_i32_e32 50, v0
; %bb.141:                              ;   in Loop: Header=BB24_14 Depth=1
	v_cmp_eq_u32_e32 vcc_lo, 0, v0
	s_or_not1_b32 s80, vcc_lo, exec_lo
; %bb.142:                              ;   in Loop: Header=BB24_14 Depth=1
	s_or_b32 exec_lo, exec_lo, s77
	s_mov_b32 s79, 0
                                        ; implicit-def: $vgpr1
                                        ; implicit-def: $vgpr2
	s_and_saveexec_b32 s77, s80
	s_cbranch_execz .LBB24_176
; %bb.143:                              ;   in Loop: Header=BB24_14 Depth=1
	v_cmp_gt_i32_e32 vcc_lo, s8, v39
	v_mov_b32_e32 v0, 50
	s_and_b32 s80, vcc_lo, s5
	s_delay_alu instid0(SALU_CYCLE_1)
	s_and_saveexec_b32 s79, s80
	s_cbranch_execz .LBB24_145
; %bb.144:                              ;   in Loop: Header=BB24_14 Depth=1
	scratch_load_b32 v0, off, off offset:456 ; 4-byte Folded Reload
	v_mad_u64_u32 v[2:3], null, v39, s9, v[162:163]
	s_delay_alu instid0(VALU_DEP_1) | instskip(NEXT) | instid1(VALU_DEP_1)
	v_lshl_add_u32 v2, v2, 6, v169
	v_ashrrev_i32_e32 v3, 31, v2
	s_delay_alu instid0(VALU_DEP_1)
	v_lshlrev_b64 v[2:3], 3, v[2:3]
	s_waitcnt vmcnt(0)
	v_add_nc_u32_e32 v0, 0x1c00, v0
	ds_load_2addr_b32 v[0:1], v0 offset0:112 offset1:144
	s_waitcnt lgkmcnt(0)
	v_lshrrev_b32_e32 v4, 16, v0
	v_lshrrev_b32_e32 v5, 16, v1
	v_cvt_f32_f16_e32 v0, v0
	v_cvt_f32_f16_e32 v6, v1
	v_add_co_u32 v1, vcc_lo, s49, v2
	v_cvt_f32_f16_e32 v4, v4
	v_cvt_f32_f16_e32 v7, v5
	s_delay_alu instid0(VALU_DEP_4) | instskip(SKIP_1) | instid1(VALU_DEP_3)
	v_add_f32_e32 v5, 0, v6
	v_add_co_ci_u32_e32 v2, vcc_lo, s67, v3, vcc_lo
	v_dual_add_f32 v3, 0, v0 :: v_dual_add_f32 v6, 0, v7
	v_add_f32_e32 v4, 0, v4
	v_mov_b32_e32 v0, 0
	s_clause 0x1
	global_store_b64 v[1:2], v[3:4], off
	global_store_b64 v[1:2], v[5:6], off offset:256
.LBB24_145:                             ;   in Loop: Header=BB24_14 Depth=1
	;; [unrolled: 50-line block ×3, first 2 shown]
	s_or_b32 exec_lo, exec_lo, s80
	s_mov_b32 s89, -1
	s_mov_b32 s80, exec_lo
	v_cmpx_gt_i32_e32 50, v0
; %bb.151:                              ;   in Loop: Header=BB24_14 Depth=1
	v_cmp_eq_u32_e32 vcc_lo, 0, v0
	s_or_not1_b32 s89, vcc_lo, exec_lo
; %bb.152:                              ;   in Loop: Header=BB24_14 Depth=1
	s_or_b32 exec_lo, exec_lo, s80
	s_mov_b32 s88, 0
                                        ; implicit-def: $vgpr1
                                        ; implicit-def: $vgpr2
	s_and_saveexec_b32 s80, s89
	s_cbranch_execz .LBB24_174
; %bb.153:                              ;   in Loop: Header=BB24_14 Depth=1
	v_cmp_gt_i32_e32 vcc_lo, s8, v37
	v_mov_b32_e32 v0, 50
	s_and_b32 s89, vcc_lo, s5
	s_delay_alu instid0(SALU_CYCLE_1)
	s_and_saveexec_b32 s88, s89
	s_cbranch_execz .LBB24_155
; %bb.154:                              ;   in Loop: Header=BB24_14 Depth=1
	scratch_load_b32 v0, off, off offset:908 ; 4-byte Folded Reload
	v_mad_u64_u32 v[2:3], null, v37, s9, v[162:163]
	s_delay_alu instid0(VALU_DEP_1) | instskip(NEXT) | instid1(VALU_DEP_1)
	v_lshl_add_u32 v2, v2, 6, v169
	v_ashrrev_i32_e32 v3, 31, v2
	s_delay_alu instid0(VALU_DEP_1)
	v_lshlrev_b64 v[2:3], 3, v[2:3]
	s_waitcnt vmcnt(0)
	ds_load_2addr_b32 v[0:1], v0 offset1:32
	s_waitcnt lgkmcnt(0)
	v_lshrrev_b32_e32 v4, 16, v0
	v_lshrrev_b32_e32 v5, 16, v1
	v_cvt_f32_f16_e32 v0, v0
	v_cvt_f32_f16_e32 v6, v1
	v_add_co_u32 v1, vcc_lo, s49, v2
	v_cvt_f32_f16_e32 v4, v4
	v_cvt_f32_f16_e32 v7, v5
	v_add_co_ci_u32_e32 v2, vcc_lo, s67, v3, vcc_lo
	v_add_f32_e32 v3, 0, v0
	s_delay_alu instid0(VALU_DEP_4)
	v_dual_add_f32 v5, 0, v6 :: v_dual_add_f32 v4, 0, v4
	v_mov_b32_e32 v0, 0
	v_add_f32_e32 v6, 0, v7
	s_clause 0x1
	global_store_b64 v[1:2], v[3:4], off
	global_store_b64 v[1:2], v[5:6], off offset:256
.LBB24_155:                             ;   in Loop: Header=BB24_14 Depth=1
	s_or_b32 exec_lo, exec_lo, s88
	s_mov_b32 s90, -1
	s_mov_b32 s88, exec_lo
	v_cmpx_gt_i32_e32 50, v0
; %bb.156:                              ;   in Loop: Header=BB24_14 Depth=1
	v_cmp_eq_u32_e32 vcc_lo, 0, v0
	s_or_not1_b32 s90, vcc_lo, exec_lo
; %bb.157:                              ;   in Loop: Header=BB24_14 Depth=1
	s_or_b32 exec_lo, exec_lo, s88
	s_mov_b32 s89, 0
                                        ; implicit-def: $vgpr1
                                        ; implicit-def: $vgpr2
	s_and_saveexec_b32 s88, s90
	s_cbranch_execz .LBB24_173
; %bb.158:                              ;   in Loop: Header=BB24_14 Depth=1
	v_cmp_gt_i32_e32 vcc_lo, s8, v36
	v_mov_b32_e32 v0, 50
	s_and_b32 s90, vcc_lo, s5
	s_delay_alu instid0(SALU_CYCLE_1)
	s_and_saveexec_b32 s89, s90
	s_cbranch_execz .LBB24_160
; %bb.159:                              ;   in Loop: Header=BB24_14 Depth=1
	scratch_load_b32 v0, off, off offset:456 ; 4-byte Folded Reload
	v_mad_u64_u32 v[2:3], null, v36, s9, v[162:163]
	s_delay_alu instid0(VALU_DEP_1) | instskip(NEXT) | instid1(VALU_DEP_1)
	v_lshl_add_u32 v2, v2, 6, v169
	v_ashrrev_i32_e32 v3, 31, v2
	s_delay_alu instid0(VALU_DEP_1)
	v_lshlrev_b64 v[2:3], 3, v[2:3]
	s_waitcnt vmcnt(0)
	v_add_nc_u32_e32 v0, 0x2800, v0
	ds_load_2addr_b32 v[0:1], v0 offset0:160 offset1:192
	s_waitcnt lgkmcnt(0)
	v_lshrrev_b32_e32 v4, 16, v0
	v_lshrrev_b32_e32 v5, 16, v1
	v_cvt_f32_f16_e32 v0, v0
	v_cvt_f32_f16_e32 v6, v1
	v_add_co_u32 v1, vcc_lo, s49, v2
	v_cvt_f32_f16_e32 v4, v4
	v_cvt_f32_f16_e32 v7, v5
	s_delay_alu instid0(VALU_DEP_4) | instskip(SKIP_1) | instid1(VALU_DEP_3)
	v_add_f32_e32 v5, 0, v6
	v_add_co_ci_u32_e32 v2, vcc_lo, s67, v3, vcc_lo
	v_dual_add_f32 v3, 0, v0 :: v_dual_add_f32 v6, 0, v7
	v_add_f32_e32 v4, 0, v4
	v_mov_b32_e32 v0, 0
	s_clause 0x1
	global_store_b64 v[1:2], v[3:4], off
	global_store_b64 v[1:2], v[5:6], off offset:256
.LBB24_160:                             ;   in Loop: Header=BB24_14 Depth=1
	s_or_b32 exec_lo, exec_lo, s89
	s_mov_b32 s91, -1
	s_mov_b32 s89, exec_lo
	v_cmpx_gt_i32_e32 50, v0
; %bb.161:                              ;   in Loop: Header=BB24_14 Depth=1
	v_cmp_eq_u32_e32 vcc_lo, 0, v0
	s_or_not1_b32 s91, vcc_lo, exec_lo
; %bb.162:                              ;   in Loop: Header=BB24_14 Depth=1
	s_or_b32 exec_lo, exec_lo, s89
	s_mov_b32 s90, 0
                                        ; implicit-def: $vgpr1
                                        ; implicit-def: $vgpr2
	s_and_saveexec_b32 s89, s91
	s_cbranch_execz .LBB24_172
; %bb.163:                              ;   in Loop: Header=BB24_14 Depth=1
	v_cmp_gt_i32_e32 vcc_lo, s8, v35
	v_mov_b32_e32 v0, 50
	s_and_b32 s91, vcc_lo, s5
	s_delay_alu instid0(SALU_CYCLE_1)
	s_and_saveexec_b32 s90, s91
	s_cbranch_execz .LBB24_165
; %bb.164:                              ;   in Loop: Header=BB24_14 Depth=1
	scratch_load_b32 v0, off, off offset:456 ; 4-byte Folded Reload
	v_mad_u64_u32 v[2:3], null, v35, s9, v[162:163]
	s_delay_alu instid0(VALU_DEP_1) | instskip(NEXT) | instid1(VALU_DEP_1)
	v_lshl_add_u32 v2, v2, 6, v169
	v_ashrrev_i32_e32 v3, 31, v2
	s_delay_alu instid0(VALU_DEP_1)
	v_lshlrev_b64 v[2:3], 3, v[2:3]
	s_waitcnt vmcnt(0)
	v_add_nc_u32_e32 v0, 0x2c00, v0
	ds_load_2addr_b32 v[0:1], v0 offset0:176 offset1:208
	s_waitcnt lgkmcnt(0)
	v_lshrrev_b32_e32 v4, 16, v0
	v_lshrrev_b32_e32 v5, 16, v1
	v_cvt_f32_f16_e32 v0, v0
	v_cvt_f32_f16_e32 v6, v1
	v_add_co_u32 v1, vcc_lo, s49, v2
	v_cvt_f32_f16_e32 v4, v4
	v_cvt_f32_f16_e32 v7, v5
	s_delay_alu instid0(VALU_DEP_4) | instskip(SKIP_1) | instid1(VALU_DEP_3)
	v_add_f32_e32 v5, 0, v6
	v_add_co_ci_u32_e32 v2, vcc_lo, s67, v3, vcc_lo
	v_dual_add_f32 v3, 0, v0 :: v_dual_add_f32 v6, 0, v7
	v_add_f32_e32 v4, 0, v4
	v_mov_b32_e32 v0, 0
	s_clause 0x1
	global_store_b64 v[1:2], v[3:4], off
	global_store_b64 v[1:2], v[5:6], off offset:256
.LBB24_165:                             ;   in Loop: Header=BB24_14 Depth=1
	s_or_b32 exec_lo, exec_lo, s90
	s_mov_b32 s92, -1
	s_mov_b32 s90, exec_lo
	v_cmpx_gt_i32_e32 50, v0
; %bb.166:                              ;   in Loop: Header=BB24_14 Depth=1
	v_cmp_eq_u32_e32 vcc_lo, 0, v0
	s_or_not1_b32 s92, vcc_lo, exec_lo
; %bb.167:                              ;   in Loop: Header=BB24_14 Depth=1
	s_or_b32 exec_lo, exec_lo, s90
	s_mov_b32 s91, 0
                                        ; implicit-def: $vgpr1
                                        ; implicit-def: $vgpr2
	s_and_saveexec_b32 s90, s92
	s_cbranch_execz .LBB24_171
; %bb.168:                              ;   in Loop: Header=BB24_14 Depth=1
	v_cmp_gt_i32_e32 vcc_lo, s8, v34
                                        ; implicit-def: $vgpr1
                                        ; implicit-def: $vgpr2
	s_and_b32 s91, vcc_lo, s5
	s_mov_b32 s5, 0
	s_and_saveexec_b32 s92, s91
	s_delay_alu instid0(SALU_CYCLE_1)
	s_xor_b32 s91, exec_lo, s92
	s_cbranch_execz .LBB24_170
; %bb.169:                              ;   in Loop: Header=BB24_14 Depth=1
	scratch_load_b32 v0, off, off offset:456 ; 4-byte Folded Reload
	v_mul_lo_u32 v2, v34, s9
	s_mov_b32 s5, exec_lo
	s_delay_alu instid0(VALU_DEP_1)
	v_add_lshl_u32 v2, v2, v162, 6
	s_waitcnt vmcnt(0)
	v_add_nc_u32_e32 v0, 0x3000, v0
	ds_load_2addr_b32 v[0:1], v0 offset0:192 offset1:224
	s_waitcnt lgkmcnt(0)
	v_lshrrev_b32_e32 v5, 16, v0
	v_lshrrev_b32_e32 v6, 16, v1
	v_cvt_f32_f16_e32 v0, v0
	v_cvt_f32_f16_e32 v1, v1
	s_delay_alu instid0(VALU_DEP_4) | instskip(SKIP_2) | instid1(VALU_DEP_4)
	v_cvt_f32_f16_e32 v7, v5
	v_add_nc_u32_e32 v3, v169, v2
	v_cvt_f32_f16_e32 v8, v6
	v_dual_add_f32 v5, 0, v0 :: v_dual_add_f32 v0, 0, v1
	s_delay_alu instid0(VALU_DEP_4) | instskip(NEXT) | instid1(VALU_DEP_4)
	v_add_f32_e32 v6, 0, v7
	v_ashrrev_i32_e32 v4, 31, v3
	s_delay_alu instid0(VALU_DEP_4) | instskip(NEXT) | instid1(VALU_DEP_2)
	v_add_f32_e32 v1, 0, v8
	v_lshlrev_b64 v[3:4], 3, v[3:4]
	s_delay_alu instid0(VALU_DEP_1) | instskip(NEXT) | instid1(VALU_DEP_2)
	v_add_co_u32 v3, vcc_lo, s49, v3
	v_add_co_ci_u32_e32 v4, vcc_lo, s67, v4, vcc_lo
	global_store_b64 v[3:4], v[5:6], off
.LBB24_170:                             ;   in Loop: Header=BB24_14 Depth=1
	s_or_b32 exec_lo, exec_lo, s91
	s_delay_alu instid0(SALU_CYCLE_1)
	s_and_b32 s91, s5, exec_lo
.LBB24_171:                             ;   in Loop: Header=BB24_14 Depth=1
	s_or_b32 exec_lo, exec_lo, s90
	s_delay_alu instid0(SALU_CYCLE_1)
	s_and_b32 s90, s91, exec_lo
.LBB24_172:                             ;   in Loop: Header=BB24_14 Depth=1
	s_or_b32 exec_lo, exec_lo, s89
	s_delay_alu instid0(SALU_CYCLE_1)
	s_and_b32 s89, s90, exec_lo
.LBB24_173:                             ;   in Loop: Header=BB24_14 Depth=1
	s_or_b32 exec_lo, exec_lo, s88
	s_delay_alu instid0(SALU_CYCLE_1)
	s_and_b32 s88, s89, exec_lo
.LBB24_174:                             ;   in Loop: Header=BB24_14 Depth=1
	s_or_b32 exec_lo, exec_lo, s80
	s_delay_alu instid0(SALU_CYCLE_1)
	s_and_b32 s80, s88, exec_lo
.LBB24_175:                             ;   in Loop: Header=BB24_14 Depth=1
	s_or_b32 exec_lo, exec_lo, s79
	s_delay_alu instid0(SALU_CYCLE_1)
	s_and_b32 s79, s80, exec_lo
.LBB24_176:                             ;   in Loop: Header=BB24_14 Depth=1
	s_or_b32 exec_lo, exec_lo, s77
	s_delay_alu instid0(SALU_CYCLE_1)
	s_and_b32 s77, s79, exec_lo
.LBB24_177:                             ;   in Loop: Header=BB24_14 Depth=1
	s_or_b32 exec_lo, exec_lo, s75
	s_delay_alu instid0(SALU_CYCLE_1)
	s_and_b32 s75, s77, exec_lo
.LBB24_178:                             ;   in Loop: Header=BB24_14 Depth=1
	s_or_b32 exec_lo, exec_lo, s74
	s_delay_alu instid0(SALU_CYCLE_1)
	s_and_b32 s74, s75, exec_lo
.LBB24_179:                             ;   in Loop: Header=BB24_14 Depth=1
	s_or_b32 exec_lo, exec_lo, s66
	s_delay_alu instid0(SALU_CYCLE_1)
	s_and_b32 s66, s74, exec_lo
.LBB24_180:                             ;   in Loop: Header=BB24_14 Depth=1
	s_or_b32 exec_lo, exec_lo, s61
	s_delay_alu instid0(SALU_CYCLE_1)
	s_and_b32 s61, s66, exec_lo
.LBB24_181:                             ;   in Loop: Header=BB24_14 Depth=1
	s_or_b32 exec_lo, exec_lo, s54
	s_delay_alu instid0(SALU_CYCLE_1)
	s_and_b32 s54, s61, exec_lo
.LBB24_182:                             ;   in Loop: Header=BB24_14 Depth=1
	s_or_b32 exec_lo, exec_lo, s14
	s_delay_alu instid0(SALU_CYCLE_1)
	s_and_b32 s14, s54, exec_lo
.LBB24_183:                             ;   in Loop: Header=BB24_14 Depth=1
	s_or_b32 exec_lo, exec_lo, s4
	s_delay_alu instid0(SALU_CYCLE_1)
	s_and_b32 s4, s14, exec_lo
.LBB24_184:                             ;   in Loop: Header=BB24_14 Depth=1
	s_or_b32 exec_lo, exec_lo, s1
	s_delay_alu instid0(SALU_CYCLE_1)
	s_and_b32 s75, s4, exec_lo
.LBB24_185:                             ;   in Loop: Header=BB24_14 Depth=1
	s_or_b32 exec_lo, exec_lo, s3
	s_delay_alu instid0(SALU_CYCLE_1)
	s_and_b32 vcc_lo, exec_lo, s2
	s_cbranch_vccz .LBB24_354
.LBB24_186:                             ;   in Loop: Header=BB24_14 Depth=1
	s_lshl_b32 s4, s78, 4
	v_cmp_gt_i32_e32 vcc_lo, s76, v9
	v_add_nc_u32_e32 v16, s4, v164
	s_delay_alu instid0(VALU_DEP_1) | instskip(NEXT) | instid1(VALU_DEP_1)
	v_cmp_gt_i32_e64 s1, s8, v16
	s_and_b32 s66, s1, vcc_lo
	s_delay_alu instid0(SALU_CYCLE_1) | instskip(NEXT) | instid1(SALU_CYCLE_1)
	s_xor_b32 s1, s66, -1
	s_and_saveexec_b32 s2, s1
	s_delay_alu instid0(SALU_CYCLE_1)
	s_xor_b32 s1, exec_lo, s2
	s_cbranch_execz .LBB24_188
; %bb.187:                              ;   in Loop: Header=BB24_14 Depth=1
	ds_store_2addr_b32 v196, v166, v166 offset1:32
.LBB24_188:                             ;   in Loop: Header=BB24_14 Depth=1
	s_and_not1_saveexec_b32 s2, s1
	s_cbranch_execz .LBB24_190
; %bb.189:                              ;   in Loop: Header=BB24_14 Depth=1
	v_mul_lo_u32 v0, v16, s33
	s_delay_alu instid0(VALU_DEP_1) | instskip(NEXT) | instid1(VALU_DEP_1)
	v_add3_u32 v0, v0, v200, v169
	v_ashrrev_i32_e32 v1, 31, v0
	s_delay_alu instid0(VALU_DEP_1) | instskip(NEXT) | instid1(VALU_DEP_1)
	v_lshlrev_b64 v[0:1], 3, v[0:1]
	v_add_co_u32 v0, s1, s46, v0
	s_delay_alu instid0(VALU_DEP_1)
	v_add_co_ci_u32_e64 v1, s1, s55, v1, s1
	s_clause 0x1
	global_load_b64 v[2:3], v[0:1], off
	global_load_b64 v[0:1], v[0:1], off offset:256
	s_waitcnt vmcnt(1)
	v_cvt_f16_f32_e32 v2, v2
	v_cvt_f16_f32_e32 v3, v3
	s_waitcnt vmcnt(0)
	v_cvt_f16_f32_e32 v0, v0
	v_cvt_f16_f32_e32 v1, v1
	s_delay_alu instid0(VALU_DEP_3) | instskip(NEXT) | instid1(VALU_DEP_2)
	v_pack_b32_f16 v2, v2, v3
	v_pack_b32_f16 v0, v0, v1
	s_delay_alu instid0(VALU_DEP_2) | instskip(NEXT) | instid1(VALU_DEP_2)
	v_pk_mul_f16 v1, v163, v2
	v_pk_mul_f16 v0, v163, v0
	ds_store_2addr_b32 v196, v1, v0 offset1:32
.LBB24_190:                             ;   in Loop: Header=BB24_14 Depth=1
	s_or_b32 exec_lo, exec_lo, s2
	v_add_nc_u32_e32 v15, s4, v203
	s_delay_alu instid0(VALU_DEP_1) | instskip(NEXT) | instid1(VALU_DEP_1)
	v_cmp_gt_i32_e64 s1, s8, v15
	s_and_b32 s94, s1, vcc_lo
	s_delay_alu instid0(SALU_CYCLE_1) | instskip(NEXT) | instid1(SALU_CYCLE_1)
	s_xor_b32 s1, s94, -1
	s_and_saveexec_b32 s2, s1
	s_delay_alu instid0(SALU_CYCLE_1)
	s_xor_b32 s1, exec_lo, s2
	s_cbranch_execz .LBB24_192
; %bb.191:                              ;   in Loop: Header=BB24_14 Depth=1
	ds_store_2addr_b32 v205, v166, v166 offset1:32
.LBB24_192:                             ;   in Loop: Header=BB24_14 Depth=1
	s_and_not1_saveexec_b32 s2, s1
	s_cbranch_execz .LBB24_194
; %bb.193:                              ;   in Loop: Header=BB24_14 Depth=1
	v_mul_lo_u32 v0, v15, s33
	s_delay_alu instid0(VALU_DEP_1) | instskip(NEXT) | instid1(VALU_DEP_1)
	v_add3_u32 v0, v0, v200, v169
	v_ashrrev_i32_e32 v1, 31, v0
	s_delay_alu instid0(VALU_DEP_1) | instskip(NEXT) | instid1(VALU_DEP_1)
	v_lshlrev_b64 v[0:1], 3, v[0:1]
	v_add_co_u32 v0, s1, s46, v0
	s_delay_alu instid0(VALU_DEP_1)
	v_add_co_ci_u32_e64 v1, s1, s55, v1, s1
	s_clause 0x1
	global_load_b64 v[2:3], v[0:1], off
	global_load_b64 v[0:1], v[0:1], off offset:256
	s_waitcnt vmcnt(1)
	v_cvt_f16_f32_e32 v2, v2
	v_cvt_f16_f32_e32 v3, v3
	s_waitcnt vmcnt(0)
	v_cvt_f16_f32_e32 v0, v0
	v_cvt_f16_f32_e32 v1, v1
	s_delay_alu instid0(VALU_DEP_3) | instskip(NEXT) | instid1(VALU_DEP_2)
	v_pack_b32_f16 v2, v2, v3
	v_pack_b32_f16 v0, v0, v1
	s_delay_alu instid0(VALU_DEP_2) | instskip(NEXT) | instid1(VALU_DEP_2)
	v_pk_mul_f16 v1, v163, v2
	v_pk_mul_f16 v0, v163, v0
	ds_store_2addr_b32 v205, v1, v0 offset1:32
.LBB24_194:                             ;   in Loop: Header=BB24_14 Depth=1
	s_or_b32 exec_lo, exec_lo, s2
	scratch_load_b32 v0, off, off offset:572 ; 4-byte Folded Reload
	s_waitcnt vmcnt(0)
	v_add_nc_u32_e32 v14, s4, v0
	s_delay_alu instid0(VALU_DEP_1) | instskip(NEXT) | instid1(VALU_DEP_1)
	v_cmp_gt_i32_e64 s1, s8, v14
	s_and_b32 s93, s1, vcc_lo
	s_delay_alu instid0(SALU_CYCLE_1) | instskip(NEXT) | instid1(SALU_CYCLE_1)
	s_xor_b32 s1, s93, -1
	s_and_saveexec_b32 s2, s1
	s_delay_alu instid0(SALU_CYCLE_1)
	s_xor_b32 s1, exec_lo, s2
	s_cbranch_execz .LBB24_196
; %bb.195:                              ;   in Loop: Header=BB24_14 Depth=1
	scratch_load_b32 v0, off, off offset:452 ; 4-byte Folded Reload
	s_waitcnt vmcnt(0)
	ds_store_2addr_b32 v0, v166, v166 offset1:32
.LBB24_196:                             ;   in Loop: Header=BB24_14 Depth=1
	s_and_not1_saveexec_b32 s2, s1
	s_cbranch_execz .LBB24_198
; %bb.197:                              ;   in Loop: Header=BB24_14 Depth=1
	v_mul_lo_u32 v0, v14, s33
	s_delay_alu instid0(VALU_DEP_1) | instskip(NEXT) | instid1(VALU_DEP_1)
	v_add3_u32 v0, v0, v200, v169
	v_ashrrev_i32_e32 v1, 31, v0
	s_delay_alu instid0(VALU_DEP_1) | instskip(NEXT) | instid1(VALU_DEP_1)
	v_lshlrev_b64 v[0:1], 3, v[0:1]
	v_add_co_u32 v0, s1, s46, v0
	s_delay_alu instid0(VALU_DEP_1)
	v_add_co_ci_u32_e64 v1, s1, s55, v1, s1
	s_clause 0x1
	global_load_b64 v[2:3], v[0:1], off
	global_load_b64 v[0:1], v[0:1], off offset:256
	s_waitcnt vmcnt(1)
	v_cvt_f16_f32_e32 v2, v2
	v_cvt_f16_f32_e32 v3, v3
	s_waitcnt vmcnt(0)
	v_cvt_f16_f32_e32 v0, v0
	v_cvt_f16_f32_e32 v1, v1
	s_delay_alu instid0(VALU_DEP_3) | instskip(NEXT) | instid1(VALU_DEP_2)
	v_pack_b32_f16 v2, v2, v3
	v_pack_b32_f16 v0, v0, v1
	s_delay_alu instid0(VALU_DEP_2)
	v_pk_mul_f16 v1, v163, v2
	scratch_load_b32 v2, off, off offset:452 ; 4-byte Folded Reload
	v_pk_mul_f16 v0, v163, v0
	s_waitcnt vmcnt(0)
	ds_store_2addr_b32 v2, v1, v0 offset1:32
.LBB24_198:                             ;   in Loop: Header=BB24_14 Depth=1
	s_or_b32 exec_lo, exec_lo, s2
	scratch_load_b32 v0, off, off offset:576 ; 4-byte Folded Reload
	s_waitcnt vmcnt(0)
	v_add_nc_u32_e32 v13, s4, v0
	s_delay_alu instid0(VALU_DEP_1) | instskip(NEXT) | instid1(VALU_DEP_1)
	v_cmp_gt_i32_e64 s1, s8, v13
	s_and_b32 s92, s1, vcc_lo
	s_delay_alu instid0(SALU_CYCLE_1) | instskip(NEXT) | instid1(SALU_CYCLE_1)
	s_xor_b32 s1, s92, -1
	s_and_saveexec_b32 s2, s1
	s_delay_alu instid0(SALU_CYCLE_1)
	s_xor_b32 s1, exec_lo, s2
	s_cbranch_execz .LBB24_200
; %bb.199:                              ;   in Loop: Header=BB24_14 Depth=1
	scratch_load_b32 v0, off, off offset:456 ; 4-byte Folded Reload
	s_waitcnt vmcnt(0)
	ds_store_2addr_b32 v0, v166, v166 offset1:32
.LBB24_200:                             ;   in Loop: Header=BB24_14 Depth=1
	s_and_not1_saveexec_b32 s2, s1
	s_cbranch_execz .LBB24_202
; %bb.201:                              ;   in Loop: Header=BB24_14 Depth=1
	v_mul_lo_u32 v0, v13, s33
	s_delay_alu instid0(VALU_DEP_1) | instskip(NEXT) | instid1(VALU_DEP_1)
	v_add3_u32 v0, v0, v200, v169
	v_ashrrev_i32_e32 v1, 31, v0
	s_delay_alu instid0(VALU_DEP_1) | instskip(NEXT) | instid1(VALU_DEP_1)
	v_lshlrev_b64 v[0:1], 3, v[0:1]
	v_add_co_u32 v0, s1, s46, v0
	s_delay_alu instid0(VALU_DEP_1)
	v_add_co_ci_u32_e64 v1, s1, s55, v1, s1
	s_clause 0x1
	global_load_b64 v[2:3], v[0:1], off
	global_load_b64 v[0:1], v[0:1], off offset:256
	s_waitcnt vmcnt(1)
	v_cvt_f16_f32_e32 v2, v2
	v_cvt_f16_f32_e32 v3, v3
	s_waitcnt vmcnt(0)
	v_cvt_f16_f32_e32 v0, v0
	v_cvt_f16_f32_e32 v1, v1
	s_delay_alu instid0(VALU_DEP_3) | instskip(NEXT) | instid1(VALU_DEP_2)
	v_pack_b32_f16 v2, v2, v3
	v_pack_b32_f16 v0, v0, v1
	s_delay_alu instid0(VALU_DEP_2)
	v_pk_mul_f16 v1, v163, v2
	scratch_load_b32 v2, off, off offset:456 ; 4-byte Folded Reload
	v_pk_mul_f16 v0, v163, v0
	s_waitcnt vmcnt(0)
	ds_store_2addr_b32 v2, v1, v0 offset1:32
.LBB24_202:                             ;   in Loop: Header=BB24_14 Depth=1
	;; [unrolled: 49-line block ×7, first 2 shown]
	s_or_b32 exec_lo, exec_lo, s2
	scratch_load_b32 v0, off, off offset:620 ; 4-byte Folded Reload
	s_waitcnt vmcnt(0)
	v_add_nc_u32_e32 v7, s4, v0
	s_delay_alu instid0(VALU_DEP_1) | instskip(NEXT) | instid1(VALU_DEP_1)
	v_cmp_gt_i32_e64 s1, s8, v7
	s_and_b32 s54, s1, vcc_lo
	s_delay_alu instid0(SALU_CYCLE_1) | instskip(NEXT) | instid1(SALU_CYCLE_1)
	s_xor_b32 s1, s54, -1
	s_and_saveexec_b32 s2, s1
	s_delay_alu instid0(SALU_CYCLE_1)
	s_xor_b32 s1, exec_lo, s2
	s_cbranch_execz .LBB24_224
; %bb.223:                              ;   in Loop: Header=BB24_14 Depth=1
	ds_store_2addr_b32 v159, v166, v166 offset1:32
.LBB24_224:                             ;   in Loop: Header=BB24_14 Depth=1
	s_and_not1_saveexec_b32 s2, s1
	s_cbranch_execz .LBB24_226
; %bb.225:                              ;   in Loop: Header=BB24_14 Depth=1
	v_mul_lo_u32 v0, v7, s33
	s_delay_alu instid0(VALU_DEP_1) | instskip(NEXT) | instid1(VALU_DEP_1)
	v_add3_u32 v0, v0, v200, v169
	v_ashrrev_i32_e32 v1, 31, v0
	s_delay_alu instid0(VALU_DEP_1) | instskip(NEXT) | instid1(VALU_DEP_1)
	v_lshlrev_b64 v[0:1], 3, v[0:1]
	v_add_co_u32 v0, s1, s46, v0
	s_delay_alu instid0(VALU_DEP_1)
	v_add_co_ci_u32_e64 v1, s1, s55, v1, s1
	s_clause 0x1
	global_load_b64 v[2:3], v[0:1], off
	global_load_b64 v[0:1], v[0:1], off offset:256
	s_waitcnt vmcnt(1)
	v_cvt_f16_f32_e32 v2, v2
	v_cvt_f16_f32_e32 v3, v3
	s_waitcnt vmcnt(0)
	v_cvt_f16_f32_e32 v0, v0
	v_cvt_f16_f32_e32 v1, v1
	s_delay_alu instid0(VALU_DEP_3) | instskip(NEXT) | instid1(VALU_DEP_2)
	v_pack_b32_f16 v2, v2, v3
	v_pack_b32_f16 v0, v0, v1
	s_delay_alu instid0(VALU_DEP_2) | instskip(NEXT) | instid1(VALU_DEP_2)
	v_pk_mul_f16 v1, v163, v2
	v_pk_mul_f16 v0, v163, v0
	ds_store_2addr_b32 v159, v1, v0 offset1:32
.LBB24_226:                             ;   in Loop: Header=BB24_14 Depth=1
	s_or_b32 exec_lo, exec_lo, s2
	scratch_load_b32 v0, off, off offset:624 ; 4-byte Folded Reload
	s_waitcnt vmcnt(0)
	v_add_nc_u32_e32 v6, s4, v0
	s_delay_alu instid0(VALU_DEP_1) | instskip(NEXT) | instid1(VALU_DEP_1)
	v_cmp_gt_i32_e64 s1, s8, v6
	s_and_b32 s77, s1, vcc_lo
	s_delay_alu instid0(SALU_CYCLE_1) | instskip(NEXT) | instid1(SALU_CYCLE_1)
	s_xor_b32 s1, s77, -1
	s_and_saveexec_b32 s2, s1
	s_delay_alu instid0(SALU_CYCLE_1)
	s_xor_b32 s1, exec_lo, s2
	s_cbranch_execz .LBB24_228
; %bb.227:                              ;   in Loop: Header=BB24_14 Depth=1
	v_add_nc_u32_e32 v0, 0x400, v159
	ds_store_2addr_b32 v0, v166, v166 offset0:16 offset1:48
.LBB24_228:                             ;   in Loop: Header=BB24_14 Depth=1
	s_and_not1_saveexec_b32 s2, s1
	s_cbranch_execz .LBB24_230
; %bb.229:                              ;   in Loop: Header=BB24_14 Depth=1
	v_mul_lo_u32 v0, v6, s33
	s_delay_alu instid0(VALU_DEP_1) | instskip(NEXT) | instid1(VALU_DEP_1)
	v_add3_u32 v0, v0, v200, v169
	v_ashrrev_i32_e32 v1, 31, v0
	s_delay_alu instid0(VALU_DEP_1) | instskip(NEXT) | instid1(VALU_DEP_1)
	v_lshlrev_b64 v[0:1], 3, v[0:1]
	v_add_co_u32 v0, s1, s46, v0
	s_delay_alu instid0(VALU_DEP_1)
	v_add_co_ci_u32_e64 v1, s1, s55, v1, s1
	s_clause 0x1
	global_load_b64 v[2:3], v[0:1], off
	global_load_b64 v[0:1], v[0:1], off offset:256
	s_waitcnt vmcnt(1)
	v_cvt_f16_f32_e32 v2, v2
	v_cvt_f16_f32_e32 v3, v3
	s_waitcnt vmcnt(0)
	v_cvt_f16_f32_e32 v0, v0
	v_cvt_f16_f32_e32 v1, v1
	s_delay_alu instid0(VALU_DEP_3) | instskip(NEXT) | instid1(VALU_DEP_2)
	v_pack_b32_f16 v2, v2, v3
	v_pack_b32_f16 v0, v0, v1
	s_delay_alu instid0(VALU_DEP_2) | instskip(SKIP_1) | instid1(VALU_DEP_3)
	v_pk_mul_f16 v1, v163, v2
	v_add_nc_u32_e32 v2, 0x400, v159
	v_pk_mul_f16 v0, v163, v0
	ds_store_2addr_b32 v2, v1, v0 offset0:16 offset1:48
.LBB24_230:                             ;   in Loop: Header=BB24_14 Depth=1
	s_or_b32 exec_lo, exec_lo, s2
	scratch_load_b32 v0, off, off offset:628 ; 4-byte Folded Reload
	s_waitcnt vmcnt(0)
	v_add_nc_u32_e32 v5, s4, v0
	s_delay_alu instid0(VALU_DEP_1) | instskip(NEXT) | instid1(VALU_DEP_1)
	v_cmp_gt_i32_e64 s1, s8, v5
	s_and_b32 s80, s1, vcc_lo
	s_delay_alu instid0(SALU_CYCLE_1) | instskip(NEXT) | instid1(SALU_CYCLE_1)
	s_xor_b32 s1, s80, -1
	s_and_saveexec_b32 s2, s1
	s_delay_alu instid0(SALU_CYCLE_1)
	s_xor_b32 s1, exec_lo, s2
	s_cbranch_execz .LBB24_232
; %bb.231:                              ;   in Loop: Header=BB24_14 Depth=1
	v_add_nc_u32_e32 v0, 0x800, v159
	ds_store_2addr_b32 v0, v166, v166 offset0:32 offset1:64
.LBB24_232:                             ;   in Loop: Header=BB24_14 Depth=1
	s_and_not1_saveexec_b32 s2, s1
	s_cbranch_execz .LBB24_234
; %bb.233:                              ;   in Loop: Header=BB24_14 Depth=1
	v_mul_lo_u32 v0, v5, s33
	s_delay_alu instid0(VALU_DEP_1) | instskip(NEXT) | instid1(VALU_DEP_1)
	v_add3_u32 v0, v0, v200, v169
	v_ashrrev_i32_e32 v1, 31, v0
	s_delay_alu instid0(VALU_DEP_1) | instskip(NEXT) | instid1(VALU_DEP_1)
	v_lshlrev_b64 v[0:1], 3, v[0:1]
	v_add_co_u32 v0, s1, s46, v0
	s_delay_alu instid0(VALU_DEP_1)
	v_add_co_ci_u32_e64 v1, s1, s55, v1, s1
	s_clause 0x1
	global_load_b64 v[2:3], v[0:1], off
	global_load_b64 v[0:1], v[0:1], off offset:256
	s_waitcnt vmcnt(1)
	v_cvt_f16_f32_e32 v2, v2
	v_cvt_f16_f32_e32 v3, v3
	s_waitcnt vmcnt(0)
	v_cvt_f16_f32_e32 v0, v0
	v_cvt_f16_f32_e32 v1, v1
	s_delay_alu instid0(VALU_DEP_3) | instskip(NEXT) | instid1(VALU_DEP_2)
	v_pack_b32_f16 v2, v2, v3
	v_pack_b32_f16 v0, v0, v1
	s_delay_alu instid0(VALU_DEP_2) | instskip(SKIP_1) | instid1(VALU_DEP_3)
	v_pk_mul_f16 v1, v163, v2
	v_add_nc_u32_e32 v2, 0x800, v159
	v_pk_mul_f16 v0, v163, v0
	ds_store_2addr_b32 v2, v1, v0 offset0:32 offset1:64
.LBB24_234:                             ;   in Loop: Header=BB24_14 Depth=1
	s_or_b32 exec_lo, exec_lo, s2
	scratch_load_b32 v0, off, off offset:632 ; 4-byte Folded Reload
	s_waitcnt vmcnt(0)
	v_add_nc_u32_e32 v4, s4, v0
	s_delay_alu instid0(VALU_DEP_1) | instskip(NEXT) | instid1(VALU_DEP_1)
	v_cmp_gt_i32_e64 s1, s8, v4
	s_and_b32 s79, s1, vcc_lo
	s_delay_alu instid0(SALU_CYCLE_1) | instskip(NEXT) | instid1(SALU_CYCLE_1)
	s_xor_b32 s1, s79, -1
	s_and_saveexec_b32 s2, s1
	s_delay_alu instid0(SALU_CYCLE_1)
	s_xor_b32 s1, exec_lo, s2
	s_cbranch_execz .LBB24_236
; %bb.235:                              ;   in Loop: Header=BB24_14 Depth=1
	v_add_nc_u32_e32 v0, 0xc00, v159
	ds_store_2addr_b32 v0, v166, v166 offset0:48 offset1:80
.LBB24_236:                             ;   in Loop: Header=BB24_14 Depth=1
	s_and_not1_saveexec_b32 s2, s1
	s_cbranch_execz .LBB24_238
; %bb.237:                              ;   in Loop: Header=BB24_14 Depth=1
	v_mul_lo_u32 v0, v4, s33
	s_delay_alu instid0(VALU_DEP_1) | instskip(NEXT) | instid1(VALU_DEP_1)
	v_add3_u32 v0, v0, v200, v169
	v_ashrrev_i32_e32 v1, 31, v0
	s_delay_alu instid0(VALU_DEP_1) | instskip(NEXT) | instid1(VALU_DEP_1)
	v_lshlrev_b64 v[0:1], 3, v[0:1]
	v_add_co_u32 v0, s1, s46, v0
	s_delay_alu instid0(VALU_DEP_1)
	v_add_co_ci_u32_e64 v1, s1, s55, v1, s1
	s_clause 0x1
	global_load_b64 v[2:3], v[0:1], off
	global_load_b64 v[0:1], v[0:1], off offset:256
	s_waitcnt vmcnt(1)
	v_cvt_f16_f32_e32 v2, v2
	v_cvt_f16_f32_e32 v3, v3
	s_waitcnt vmcnt(0)
	v_cvt_f16_f32_e32 v0, v0
	v_cvt_f16_f32_e32 v1, v1
	s_delay_alu instid0(VALU_DEP_3) | instskip(NEXT) | instid1(VALU_DEP_2)
	v_pack_b32_f16 v2, v2, v3
	v_pack_b32_f16 v0, v0, v1
	s_delay_alu instid0(VALU_DEP_2) | instskip(SKIP_1) | instid1(VALU_DEP_3)
	v_pk_mul_f16 v1, v163, v2
	v_add_nc_u32_e32 v2, 0xc00, v159
	v_pk_mul_f16 v0, v163, v0
	ds_store_2addr_b32 v2, v1, v0 offset0:48 offset1:80
.LBB24_238:                             ;   in Loop: Header=BB24_14 Depth=1
	s_or_b32 exec_lo, exec_lo, s2
	scratch_load_b32 v0, off, off offset:636 ; 4-byte Folded Reload
	s_waitcnt vmcnt(0)
	v_add_nc_u32_e32 v190, s4, v0
	s_delay_alu instid0(VALU_DEP_1) | instskip(NEXT) | instid1(VALU_DEP_1)
	v_cmp_gt_i32_e64 s1, s8, v190
	s_and_b32 s78, s1, vcc_lo
	s_delay_alu instid0(SALU_CYCLE_1) | instskip(NEXT) | instid1(SALU_CYCLE_1)
	s_xor_b32 s1, s78, -1
	s_and_saveexec_b32 s2, s1
	s_delay_alu instid0(SALU_CYCLE_1)
	s_xor_b32 s1, exec_lo, s2
	s_cbranch_execz .LBB24_240
; %bb.239:                              ;   in Loop: Header=BB24_14 Depth=1
	v_add_nc_u32_e32 v0, 0x1000, v159
	ds_store_2addr_b32 v0, v166, v166 offset0:64 offset1:96
.LBB24_240:                             ;   in Loop: Header=BB24_14 Depth=1
	s_and_not1_saveexec_b32 s2, s1
	s_cbranch_execz .LBB24_242
; %bb.241:                              ;   in Loop: Header=BB24_14 Depth=1
	v_mul_lo_u32 v0, v190, s33
	s_delay_alu instid0(VALU_DEP_1) | instskip(NEXT) | instid1(VALU_DEP_1)
	v_add3_u32 v0, v0, v200, v169
	v_ashrrev_i32_e32 v1, 31, v0
	s_delay_alu instid0(VALU_DEP_1) | instskip(NEXT) | instid1(VALU_DEP_1)
	v_lshlrev_b64 v[0:1], 3, v[0:1]
	v_add_co_u32 v0, s1, s46, v0
	s_delay_alu instid0(VALU_DEP_1)
	v_add_co_ci_u32_e64 v1, s1, s55, v1, s1
	s_clause 0x1
	global_load_b64 v[2:3], v[0:1], off
	global_load_b64 v[0:1], v[0:1], off offset:256
	s_waitcnt vmcnt(1)
	v_cvt_f16_f32_e32 v2, v2
	v_cvt_f16_f32_e32 v3, v3
	s_waitcnt vmcnt(0)
	v_cvt_f16_f32_e32 v0, v0
	v_cvt_f16_f32_e32 v1, v1
	s_delay_alu instid0(VALU_DEP_3) | instskip(NEXT) | instid1(VALU_DEP_2)
	v_pack_b32_f16 v2, v2, v3
	v_pack_b32_f16 v0, v0, v1
	s_delay_alu instid0(VALU_DEP_2) | instskip(SKIP_1) | instid1(VALU_DEP_3)
	v_pk_mul_f16 v1, v163, v2
	v_add_nc_u32_e32 v2, 0x1000, v159
	v_pk_mul_f16 v0, v163, v0
	ds_store_2addr_b32 v2, v1, v0 offset0:64 offset1:96
.LBB24_242:                             ;   in Loop: Header=BB24_14 Depth=1
	s_or_b32 exec_lo, exec_lo, s2
	scratch_load_b32 v0, off, off offset:640 ; 4-byte Folded Reload
	s_waitcnt vmcnt(0)
	v_add_nc_u32_e32 v161, s4, v0
	s_delay_alu instid0(VALU_DEP_1) | instskip(NEXT) | instid1(VALU_DEP_1)
	v_cmp_gt_i32_e64 s1, s8, v161
	s_and_b32 s74, s1, vcc_lo
	s_delay_alu instid0(SALU_CYCLE_1) | instskip(NEXT) | instid1(SALU_CYCLE_1)
	s_xor_b32 s1, s74, -1
	s_and_saveexec_b32 s2, s1
	s_delay_alu instid0(SALU_CYCLE_1)
	s_xor_b32 s1, exec_lo, s2
	s_cbranch_execz .LBB24_244
; %bb.243:                              ;   in Loop: Header=BB24_14 Depth=1
	v_add_nc_u32_e32 v0, 0x1400, v159
	ds_store_2addr_b32 v0, v166, v166 offset0:80 offset1:112
.LBB24_244:                             ;   in Loop: Header=BB24_14 Depth=1
	s_and_not1_saveexec_b32 s2, s1
	s_cbranch_execz .LBB24_246
; %bb.245:                              ;   in Loop: Header=BB24_14 Depth=1
	v_mul_lo_u32 v0, v161, s33
	s_delay_alu instid0(VALU_DEP_1) | instskip(NEXT) | instid1(VALU_DEP_1)
	v_add3_u32 v0, v0, v200, v169
	v_ashrrev_i32_e32 v1, 31, v0
	s_delay_alu instid0(VALU_DEP_1) | instskip(NEXT) | instid1(VALU_DEP_1)
	v_lshlrev_b64 v[0:1], 3, v[0:1]
	v_add_co_u32 v0, s1, s46, v0
	s_delay_alu instid0(VALU_DEP_1)
	v_add_co_ci_u32_e64 v1, s1, s55, v1, s1
	s_clause 0x1
	global_load_b64 v[2:3], v[0:1], off
	global_load_b64 v[0:1], v[0:1], off offset:256
	s_waitcnt vmcnt(1)
	v_cvt_f16_f32_e32 v2, v2
	v_cvt_f16_f32_e32 v3, v3
	s_waitcnt vmcnt(0)
	v_cvt_f16_f32_e32 v0, v0
	v_cvt_f16_f32_e32 v1, v1
	s_delay_alu instid0(VALU_DEP_3) | instskip(NEXT) | instid1(VALU_DEP_2)
	v_pack_b32_f16 v2, v2, v3
	v_pack_b32_f16 v0, v0, v1
	s_delay_alu instid0(VALU_DEP_2) | instskip(SKIP_1) | instid1(VALU_DEP_3)
	v_pk_mul_f16 v1, v163, v2
	v_add_nc_u32_e32 v2, 0x1400, v159
	v_pk_mul_f16 v0, v163, v0
	ds_store_2addr_b32 v2, v1, v0 offset0:80 offset1:112
.LBB24_246:                             ;   in Loop: Header=BB24_14 Depth=1
	s_or_b32 exec_lo, exec_lo, s2
	scratch_load_b32 v0, off, off offset:644 ; 4-byte Folded Reload
	s_waitcnt vmcnt(0)
	v_add_nc_u32_e32 v160, s4, v0
	s_delay_alu instid0(VALU_DEP_1) | instskip(NEXT) | instid1(VALU_DEP_1)
	v_cmp_gt_i32_e64 s1, s8, v160
	s_and_b32 s14, s1, vcc_lo
	s_delay_alu instid0(SALU_CYCLE_1) | instskip(NEXT) | instid1(SALU_CYCLE_1)
	s_xor_b32 s1, s14, -1
	s_and_saveexec_b32 s2, s1
	s_delay_alu instid0(SALU_CYCLE_1)
	s_xor_b32 s1, exec_lo, s2
	s_cbranch_execz .LBB24_248
; %bb.247:                              ;   in Loop: Header=BB24_14 Depth=1
	v_add_nc_u32_e32 v0, 0x1800, v159
	ds_store_2addr_b32 v0, v166, v166 offset0:96 offset1:128
.LBB24_248:                             ;   in Loop: Header=BB24_14 Depth=1
	s_and_not1_saveexec_b32 s1, s1
	s_cbranch_execz .LBB24_250
; %bb.249:                              ;   in Loop: Header=BB24_14 Depth=1
	v_mul_lo_u32 v0, v160, s33
	s_delay_alu instid0(VALU_DEP_1) | instskip(NEXT) | instid1(VALU_DEP_1)
	v_add3_u32 v0, v0, v200, v169
	v_ashrrev_i32_e32 v1, 31, v0
	s_delay_alu instid0(VALU_DEP_1) | instskip(NEXT) | instid1(VALU_DEP_1)
	v_lshlrev_b64 v[0:1], 3, v[0:1]
	v_add_co_u32 v0, vcc_lo, s46, v0
	s_delay_alu instid0(VALU_DEP_2)
	v_add_co_ci_u32_e32 v1, vcc_lo, s55, v1, vcc_lo
	s_clause 0x1
	global_load_b64 v[2:3], v[0:1], off
	global_load_b64 v[0:1], v[0:1], off offset:256
	s_waitcnt vmcnt(1)
	v_cvt_f16_f32_e32 v2, v2
	v_cvt_f16_f32_e32 v3, v3
	s_waitcnt vmcnt(0)
	v_cvt_f16_f32_e32 v0, v0
	v_cvt_f16_f32_e32 v1, v1
	s_delay_alu instid0(VALU_DEP_3) | instskip(NEXT) | instid1(VALU_DEP_2)
	v_pack_b32_f16 v2, v2, v3
	v_pack_b32_f16 v0, v0, v1
	s_delay_alu instid0(VALU_DEP_2) | instskip(SKIP_1) | instid1(VALU_DEP_3)
	v_pk_mul_f16 v1, v163, v2
	v_add_nc_u32_e32 v2, 0x1800, v159
	v_pk_mul_f16 v0, v163, v0
	ds_store_2addr_b32 v2, v1, v0 offset0:96 offset1:128
.LBB24_250:                             ;   in Loop: Header=BB24_14 Depth=1
	s_or_b32 exec_lo, exec_lo, s1
	s_waitcnt lgkmcnt(0)
	s_waitcnt_vscnt null, 0x0
	s_barrier
	buffer_gl0_inv
	ds_load_b128 v[88:91], v192
	ds_load_b128 v[92:95], v192 offset:16
	ds_load_b128 v[80:83], v192 offset:32
	;; [unrolled: 1-line block ×15, first 2 shown]
	s_cmp_gt_i32 s101, 1
	s_waitcnt lgkmcnt(0)
	s_barrier
	buffer_gl0_inv
	s_clause 0x10
	scratch_store_b32 off, v4, off offset:672
	scratch_store_b32 off, v5, off offset:568
	;; [unrolled: 1-line block ×13, first 2 shown]
	scratch_store_b128 off, v[17:20], off offset:460
	scratch_store_b128 off, v[21:24], off offset:476
	;; [unrolled: 1-line block ×4, first 2 shown]
	s_cbranch_scc1 .LBB24_252
; %bb.251:                              ;   in Loop: Header=BB24_14 Depth=1
	v_dual_mov_b32 v157, 32 :: v_dual_add_nc_u32 v0, s4, v193
	v_add_nc_u32_e32 v1, s4, v189
	v_add_nc_u32_e32 v2, s4, v187
	;; [unrolled: 1-line block ×3, first 2 shown]
	s_delay_alu instid0(VALU_DEP_4)
	v_mul_hi_u32 v4, s34, v0
	s_mov_b32 s1, 0
	v_mul_hi_u32 v5, s34, v1
	v_mul_hi_u32 v6, s34, v2
	;; [unrolled: 1-line block ×3, first 2 shown]
	s_mov_b32 s5, 0xfeffffff
	s_mov_b64 s[2:3], 0
	s_delay_alu instid0(VALU_DEP_4) | instskip(NEXT) | instid1(VALU_DEP_4)
	v_add_nc_u32_e32 v4, v0, v4
	v_add_nc_u32_e32 v5, v1, v5
	s_delay_alu instid0(VALU_DEP_4) | instskip(NEXT) | instid1(VALU_DEP_4)
	v_add_nc_u32_e32 v6, v2, v6
	v_add_nc_u32_e32 v7, v3, v7
	s_delay_alu instid0(VALU_DEP_4) | instskip(NEXT) | instid1(VALU_DEP_4)
	v_lshrrev_b32_e32 v4, s35, v4
	v_lshrrev_b32_e32 v5, s35, v5
	s_delay_alu instid0(VALU_DEP_4) | instskip(NEXT) | instid1(VALU_DEP_4)
	v_lshrrev_b32_e32 v6, s35, v6
	v_lshrrev_b32_e32 v7, s35, v7
	s_delay_alu instid0(VALU_DEP_4) | instskip(NEXT) | instid1(VALU_DEP_4)
	v_mul_lo_u32 v4, v4, s8
	v_mul_lo_u32 v5, v5, s8
	s_delay_alu instid0(VALU_DEP_4) | instskip(NEXT) | instid1(VALU_DEP_4)
	v_mul_lo_u32 v6, v6, s8
	v_mul_lo_u32 v7, v7, s8
	s_delay_alu instid0(VALU_DEP_4) | instskip(NEXT) | instid1(VALU_DEP_4)
	v_sub_nc_u32_e32 v0, v0, v4
	v_sub_nc_u32_e32 v1, v1, v5
	s_delay_alu instid0(VALU_DEP_4) | instskip(NEXT) | instid1(VALU_DEP_4)
	v_sub_nc_u32_e32 v2, v2, v6
	v_sub_nc_u32_e32 v3, v3, v7
	s_delay_alu instid0(VALU_DEP_4)
	v_mad_i64_i32 v[102:103], null, v0, s48, 0
	scratch_load_b32 v0, off, off offset:448 ; 4-byte Folded Reload
	v_mad_i64_i32 v[100:101], null, v1, s48, 0
	v_mad_i64_i32 v[98:99], null, v2, s48, 0
	v_mad_i64_i32 v[96:97], null, v3, s48, 0
	s_waitcnt vmcnt(0)
	v_xor_b32_e32 v156, 16, v0
	s_branch .LBB24_253
.LBB24_252:                             ;   in Loop: Header=BB24_14 Depth=1
	s_mov_b32 s1, -1
                                        ; implicit-def: $sgpr2_sgpr3
                                        ; implicit-def: $sgpr5
                                        ; implicit-def: $vgpr102_vgpr103
                                        ; implicit-def: $vgpr100_vgpr101
                                        ; implicit-def: $vgpr98_vgpr99
                                        ; implicit-def: $vgpr96_vgpr97
                                        ; implicit-def: $vgpr156
                                        ; implicit-def: $vgpr157
.LBB24_253:                             ;   in Loop: Header=BB24_14 Depth=1
	s_delay_alu instid0(SALU_CYCLE_1) | instskip(SKIP_2) | instid1(VALU_DEP_3)
	v_cndmask_b32_e64 v0, 0, 1, s1
	v_dual_mov_b32 v31, s1 :: v_dual_mov_b32 v186, s1
	v_dual_mov_b32 v188, s5 :: v_dual_mov_b32 v29, s1
	v_cmp_ne_u32_e32 vcc_lo, 1, v0
	v_dual_mov_b32 v30, s1 :: v_dual_mov_b32 v27, s1
	v_dual_mov_b32 v28, s1 :: v_dual_mov_b32 v25, s1
	;; [unrolled: 1-line block ×14, first 2 shown]
	v_mov_b32_e32 v2, s1
	v_mov_b32_e32 v0, s1
	s_cbranch_vccnz .LBB24_257
; %bb.254:                              ;   in Loop: Header=BB24_14 Depth=1
	s_clause 0x2
	scratch_store_b32 off, v190, off offset:728
	scratch_store_b32 off, v161, off offset:724
	;; [unrolled: 1-line block ×3, first 2 shown]
	s_clause 0x1
	scratch_load_b32 v9, off, off offset:448
	scratch_load_b32 v32, off, off offset:764
	s_add_i32 s46, s101, -1
	s_add_u32 s2, s22, s60
	s_addc_u32 s3, s23, vcc_hi
	s_add_u32 s1, s7, s15
	v_dual_mov_b32 v188, 0xfeffffff :: v_dual_add_nc_u32 v1, s4, v193
	v_mov_b32_e32 v186, 0
	s_delay_alu instid0(VALU_DEP_2) | instskip(NEXT) | instid1(VALU_DEP_1)
	v_mul_hi_u32 v0, s34, v1
	v_add_nc_u32_e32 v8, v1, v0
	v_dual_mov_b32 v0, 0 :: v_dual_add_nc_u32 v3, s4, v187
	s_delay_alu instid0(VALU_DEP_1)
	v_dual_mov_b32 v11, v0 :: v_dual_add_nc_u32 v4, s4, v183
	v_mov_b32_e32 v12, v0
	v_mov_b32_e32 v13, v0
	;; [unrolled: 1-line block ×20, first 2 shown]
	s_waitcnt vmcnt(1)
	v_xor_b32_e32 v10, 16, v9
	s_delay_alu instid0(VALU_DEP_1)
	v_cmp_gt_i32_e32 vcc_lo, 32, v10
	v_add_nc_u32_e32 v2, s4, v189
	s_addc_u32 s4, s6, s59
	s_add_u32 s5, s64, s103
	s_addc_u32 s7, s102, s104
	v_cndmask_b32_e32 v9, v9, v10, vcc_lo
	s_waitcnt vmcnt(0)
	v_add_co_u32 v196, vcc_lo, v32, s1
	scratch_load_b32 v32, off, off offset:768 ; 4-byte Folded Reload
	v_mul_hi_u32 v5, s34, v2
	v_dual_mov_b32 v9, v0 :: v_dual_lshlrev_b32 v192, 2, v9
	s_mov_b32 s6, s46
	s_delay_alu instid0(VALU_DEP_2) | instskip(NEXT) | instid1(VALU_DEP_1)
	v_add_nc_u32_e32 v5, v2, v5
	v_lshrrev_b32_e32 v5, s35, v5
	s_delay_alu instid0(VALU_DEP_1) | instskip(NEXT) | instid1(VALU_DEP_1)
	v_mul_lo_u32 v5, v5, s8
	v_sub_nc_u32_e32 v35, v2, v5
	v_mov_b32_e32 v2, v0
	v_mul_hi_u32 v6, s34, v3
	s_delay_alu instid0(VALU_DEP_1) | instskip(NEXT) | instid1(VALU_DEP_1)
	v_dual_mov_b32 v5, v0 :: v_dual_add_nc_u32 v6, v3, v6
	v_lshrrev_b32_e32 v6, s35, v6
	s_delay_alu instid0(VALU_DEP_1) | instskip(NEXT) | instid1(VALU_DEP_1)
	v_mul_lo_u32 v6, v6, s8
	v_sub_nc_u32_e32 v34, v3, v6
	v_mov_b32_e32 v3, v0
	v_lshrrev_b32_e32 v8, s35, v8
	v_mov_b32_e32 v6, v0
	s_delay_alu instid0(VALU_DEP_2) | instskip(NEXT) | instid1(VALU_DEP_1)
	v_mul_lo_u32 v8, v8, s8
	v_sub_nc_u32_e32 v36, v1, v8
	v_mov_b32_e32 v1, v0
	v_mul_hi_u32 v7, s34, v4
	v_mov_b32_e32 v8, v0
	s_delay_alu instid0(VALU_DEP_2) | instskip(NEXT) | instid1(VALU_DEP_1)
	v_add_nc_u32_e32 v7, v4, v7
	v_lshrrev_b32_e32 v7, s35, v7
	s_delay_alu instid0(VALU_DEP_1) | instskip(NEXT) | instid1(VALU_DEP_1)
	v_mul_lo_u32 v7, v7, s8
	v_sub_nc_u32_e32 v33, v4, v7
	s_clause 0x4
	scratch_store_b32 off, v10, off offset:732
	scratch_store_b32 off, v36, off offset:748
	;; [unrolled: 1-line block ×5, first 2 shown]
	v_mov_b32_e32 v4, v0
	v_mov_b32_e32 v7, v0
	v_mov_b32_e32 v10, v0
	s_waitcnt vmcnt(0)
	v_add_co_ci_u32_e32 v203, vcc_lo, s4, v32, vcc_lo
	scratch_load_b32 v32, off, off offset:772 ; 4-byte Folded Reload
	s_waitcnt vmcnt(0)
	v_add_co_u32 v233, vcc_lo, v32, s1
	scratch_load_b32 v32, off, off offset:776 ; 4-byte Folded Reload
	s_waitcnt vmcnt(0)
	v_add_co_ci_u32_e32 v254, vcc_lo, s4, v32, vcc_lo
	scratch_load_b32 v32, off, off offset:780 ; 4-byte Folded Reload
	s_waitcnt vmcnt(0)
	v_add_co_u32 v252, vcc_lo, v32, s1
	scratch_load_b32 v32, off, off offset:784 ; 4-byte Folded Reload
	;; [unrolled: 6-line block ×15, first 2 shown]
	s_clause 0x5
	scratch_store_b128 off, v[80:83], off offset:284
	scratch_store_b128 off, v[84:87], off offset:300
	;; [unrolled: 1-line block ×6, first 2 shown]
	s_clause 0x3
	scratch_load_b128 v[56:59], off, off offset:460
	scratch_load_b128 v[60:63], off, off offset:476
	;; [unrolled: 1-line block ×4, first 2 shown]
	v_readlane_b32 s4, v255, 20
	v_readlane_b32 s5, v255, 21
	s_delay_alu instid0(VALU_DEP_2)
	v_mad_i64_i32 v[147:148], null, s4, v36, s[2:3]
	v_mad_i64_i32 v[149:150], null, s4, v35, s[2:3]
	;; [unrolled: 1-line block ×4, first 2 shown]
	s_waitcnt vmcnt(4)
	v_add_co_ci_u32_e32 v191, vcc_lo, s7, v32, vcc_lo
.LBB24_255:                             ;   Parent Loop BB24_14 Depth=1
                                        ; =>  This Inner Loop Header: Depth=2
	v_add_co_u32 v96, vcc_lo, v147, v168
	v_add_co_ci_u32_e32 v97, vcc_lo, 0, v148, vcc_lo
	v_add_nc_u32_e32 v34, v204, v167
	v_dual_mov_b32 v138, s43 :: v_dual_mov_b32 v133, s38
	global_load_b32 v32, v[96:97], off
	v_add_co_u32 v96, vcc_lo, v149, v168
	v_add_co_ci_u32_e32 v97, vcc_lo, 0, v150, vcc_lo
	v_mov_b32_e32 v137, s42
	v_dual_mov_b32 v136, s41 :: v_dual_add_nc_u32 v35, 0x4400, v34
	global_load_b32 v33, v[96:97], off
	v_add_co_u32 v96, vcc_lo, v151, v168
	v_add_co_ci_u32_e32 v97, vcc_lo, 0, v152, vcc_lo
	v_dual_mov_b32 v135, s40 :: v_dual_add_nc_u32 v34, 0x4800, v34
	v_dual_mov_b32 v134, s39 :: v_dual_mov_b32 v131, s36
	v_mov_b32_e32 v132, s37
	v_cmp_eq_u32_e64 s2, 1, v202
	v_cmp_eq_u32_e64 s3, 0, v202
	s_add_i32 s6, s6, -1
	s_delay_alu instid0(SALU_CYCLE_1)
	s_cmp_lg_u32 s6, 0
	s_waitcnt vmcnt(0)
	ds_store_2addr_b32 v35, v32, v33 offset1:144
	global_load_b32 v32, v[96:97], off
	v_add_co_u32 v96, vcc_lo, v153, v168
	v_add_co_ci_u32_e32 v97, vcc_lo, 0, v154, vcc_lo
	global_load_b32 v33, v[96:97], off
	v_add_co_u32 v96, vcc_lo, v237, v216
	v_add_co_ci_u32_e32 v97, vcc_lo, 0, v236, vcc_lo
	v_add_co_u32 v100, vcc_lo, v232, v216
	v_add_co_ci_u32_e32 v101, vcc_lo, 0, v235, vcc_lo
	s_waitcnt vmcnt(0)
	ds_store_2addr_b32 v34, v32, v33 offset0:32 offset1:176
	global_load_b128 v[96:99], v[96:97], off
	global_load_b128 v[100:103], v[100:101], off
	scratch_load_b32 v53, off, off offset:408 ; 4-byte Folded Reload
	s_waitcnt vmcnt(2)
	ds_store_b128 v208, v[96:99]
	v_add_co_u32 v96, vcc_lo, v231, v216
	s_waitcnt vmcnt(0)
	ds_store_b128 v53, v[100:103]
	v_add_co_ci_u32_e32 v97, vcc_lo, 0, v201, vcc_lo
	v_add_co_u32 v100, vcc_lo, v184, v216
	v_add_co_ci_u32_e32 v101, vcc_lo, 0, v185, vcc_lo
	global_load_b128 v[96:99], v[96:97], off
	global_load_b128 v[100:103], v[100:101], off
	s_clause 0x1
	scratch_load_b32 v54, off, off offset:444
	scratch_load_b32 v52, off, off offset:392
	s_waitcnt vmcnt(1)
	ds_store_b128 v54, v[96:99]
	s_waitcnt vmcnt(0)
	ds_store_b128 v52, v[100:103]
	v_add_co_u32 v96, vcc_lo, v194, v216
	v_add_co_ci_u32_e32 v97, vcc_lo, 0, v195, vcc_lo
	global_load_b128 v[96:99], v[96:97], off
	scratch_load_b32 v50, off, off offset:16 ; 4-byte Folded Reload
	s_waitcnt vmcnt(0)
	ds_store_b128 v50, v[96:99]
	v_add_co_u32 v96, vcc_lo, v187, v216
	v_add_co_ci_u32_e32 v97, vcc_lo, 0, v189, vcc_lo
	global_load_b128 v[96:99], v[96:97], off
	scratch_load_b32 v55, off, off offset:12 ; 4-byte Folded Reload
	s_waitcnt vmcnt(0)
	ds_store_b128 v55, v[96:99]
	v_add_co_u32 v96, vcc_lo, v112, v216
	v_add_co_ci_u32_e32 v97, vcc_lo, 0, v234, vcc_lo
	global_load_b128 v[96:99], v[96:97], off
	scratch_load_b32 v51, off, off offset:4 ; 4-byte Folded Reload
	s_waitcnt vmcnt(0)
	ds_store_b128 v51, v[96:99]
	v_add_co_u32 v96, vcc_lo, v193, v216
	v_add_co_ci_u32_e32 v97, vcc_lo, 0, v191, vcc_lo
	global_load_b128 v[96:99], v[96:97], off
	scratch_load_b32 v80, off, off offset:8 ; 4-byte Folded Reload
	s_waitcnt vmcnt(0)
	ds_store_b128 v80, v[96:99]
	s_waitcnt lgkmcnt(0)
	s_waitcnt_vscnt null, 0x0
	s_barrier
	buffer_gl0_inv
	ds_load_b128 v[96:99], v209
	ds_load_b128 v[100:103], v209 offset:16
	ds_load_b128 v[104:107], v209 offset:4352
	;; [unrolled: 1-line block ×7, first 2 shown]
	s_waitcnt lgkmcnt(6)
	v_wmma_f32_16x16x16_f16 v[139:146], v[96:103], v[88:95], v[131:138]
	ds_load_b128 v[96:99], v209 offset:32
	ds_load_b128 v[100:103], v209 offset:48
	s_clause 0x1
	scratch_load_b128 v[32:35], off, off offset:284
	scratch_load_b128 v[36:39], off, off offset:300
	s_waitcnt lgkmcnt(6)
	v_wmma_f32_16x16x16_f16 v[155:162], v[104:111], v[88:95], v[131:138]
	s_waitcnt lgkmcnt(4)
	v_wmma_f32_16x16x16_f16 v[104:111], v[115:122], v[88:95], v[131:138]
	;; [unrolled: 2-line block ×3, first 2 shown]
	s_waitcnt vmcnt(0) lgkmcnt(0)
	v_wmma_f32_16x16x16_f16 v[139:146], v[96:103], v[32:39], v[139:146]
	ds_load_b128 v[96:99], v209 offset:4384
	ds_load_b128 v[100:103], v209 offset:4400
	s_waitcnt lgkmcnt(0)
	v_wmma_f32_16x16x16_f16 v[155:162], v[96:103], v[32:39], v[155:162]
	ds_load_b128 v[96:99], v209 offset:8736
	ds_load_b128 v[100:103], v209 offset:8752
	s_waitcnt lgkmcnt(0)
	;; [unrolled: 4-line block ×7, first 2 shown]
	v_wmma_f32_16x16x16_f16 v[163:170], v[96:103], v[72:79], v[163:170]
	ds_load_b128 v[96:99], v209 offset:96
	ds_load_b128 v[100:103], v209 offset:112
	s_clause 0x1
	scratch_load_b128 v[32:35], off, off offset:348
	scratch_load_b128 v[36:39], off, off offset:364
	s_waitcnt vmcnt(0) lgkmcnt(0)
	v_wmma_f32_16x16x16_f16 v[139:146], v[96:103], v[32:39], v[139:146]
	ds_load_b128 v[96:99], v209 offset:4448
	ds_load_b128 v[100:103], v209 offset:4464
	s_waitcnt lgkmcnt(0)
	v_wmma_f32_16x16x16_f16 v[155:162], v[96:103], v[32:39], v[155:162]
	ds_load_b128 v[96:99], v209 offset:8800
	ds_load_b128 v[100:103], v209 offset:8816
	s_waitcnt lgkmcnt(0)
	;; [unrolled: 4-line block ×3, first 2 shown]
	v_wmma_f32_16x16x16_f16 v[163:170], v[96:103], v[32:39], v[163:170]
	ds_load_b128 v[96:99], v209 offset:128
	ds_load_b128 v[100:103], v209 offset:144
	s_clause 0x1
	scratch_load_b128 v[32:35], off, off offset:316
	scratch_load_b128 v[36:39], off, off offset:332
	s_waitcnt vmcnt(0) lgkmcnt(0)
	v_wmma_f32_16x16x16_f16 v[139:146], v[96:103], v[32:39], v[139:146]
	ds_load_b128 v[96:99], v209 offset:4480
	ds_load_b128 v[100:103], v209 offset:4496
	s_waitcnt lgkmcnt(0)
	v_wmma_f32_16x16x16_f16 v[155:162], v[96:103], v[32:39], v[155:162]
	ds_load_b128 v[96:99], v209 offset:8832
	ds_load_b128 v[100:103], v209 offset:8848
	s_waitcnt lgkmcnt(0)
	;; [unrolled: 4-line block ×15, first 2 shown]
	s_barrier
	buffer_gl0_inv
	ds_load_u16 v32, v213
	ds_load_u16 v33, v213 offset:4
	ds_load_u16 v34, v213 offset:8
	;; [unrolled: 1-line block ×7, first 2 shown]
	s_waitcnt lgkmcnt(7)
	v_cvt_f32_f16_e32 v32, v32
	s_waitcnt lgkmcnt(6)
	v_cvt_f32_f16_e32 v33, v33
	;; [unrolled: 2-line block ×8, first 2 shown]
	v_wmma_f32_16x16x16_f16 v[163:170], v[96:103], v[64:71], v[163:170]
	v_dual_add_f32 v32, v139, v32 :: v_dual_add_f32 v99, v142, v35
	v_dual_add_f32 v98, v141, v34 :: v_dual_add_f32 v101, v144, v37
	s_delay_alu instid0(VALU_DEP_4)
	v_dual_add_f32 v100, v143, v36 :: v_dual_add_f32 v103, v146, v39
	v_add_f32_e32 v102, v145, v38
	ds_load_u16 v34, v213 offset:32
	ds_load_u16 v35, v213 offset:36
	;; [unrolled: 1-line block ×8, first 2 shown]
	v_add_co_u32 v96, vcc_lo, v196, v216
	v_add_co_ci_u32_e32 v97, vcc_lo, 0, v203, vcc_lo
	v_dual_add_f32 v33, v140, v33 :: v_dual_add_nc_u32 v142, 0xc00, v214
	v_add_nc_u32_e32 v141, 0x800, v214
	s_waitcnt lgkmcnt(7)
	v_cvt_f32_f16_e32 v34, v34
	s_waitcnt lgkmcnt(6)
	v_cvt_f32_f16_e32 v35, v35
	;; [unrolled: 2-line block ×8, first 2 shown]
	v_dual_add_f32 v138, v155, v34 :: v_dual_add_f32 v137, v157, v36
	v_dual_add_f32 v139, v156, v35 :: v_dual_add_f32 v136, v158, v37
	;; [unrolled: 1-line block ×3, first 2 shown]
	s_delay_alu instid0(VALU_DEP_4)
	v_dual_add_f32 v133, v161, v40 :: v_dual_add_f32 v132, v162, v41
	ds_load_u16 v34, v213 offset:64
	ds_load_u16 v35, v213 offset:68
	;; [unrolled: 1-line block ×8, first 2 shown]
	s_waitcnt lgkmcnt(7)
	v_cvt_f32_f16_e32 v34, v34
	s_waitcnt lgkmcnt(6)
	v_cvt_f32_f16_e32 v35, v35
	;; [unrolled: 2-line block ×6, first 2 shown]
	v_add_f32_e32 v129, v105, v35
	s_waitcnt lgkmcnt(1)
	v_cvt_f32_f16_e32 v40, v40
	s_waitcnt lgkmcnt(0)
	v_cvt_f32_f16_e32 v41, v41
	v_dual_add_f32 v128, v104, v34 :: v_dual_add_f32 v125, v106, v36
	v_dual_add_f32 v123, v107, v37 :: v_dual_add_f32 v122, v108, v38
	s_delay_alu instid0(VALU_DEP_3)
	v_dual_add_f32 v120, v109, v39 :: v_dual_add_f32 v115, v111, v41
	v_add_f32_e32 v118, v110, v40
	ds_load_u16 v34, v213 offset:96
	ds_load_u16 v35, v213 offset:100
	;; [unrolled: 1-line block ×8, first 2 shown]
	v_add_co_u32 v108, vcc_lo, v233, v216
	v_add_co_ci_u32_e32 v109, vcc_lo, 0, v254, vcc_lo
	s_waitcnt lgkmcnt(7)
	v_cvt_f32_f16_e32 v34, v34
	s_waitcnt lgkmcnt(6)
	v_cvt_f32_f16_e32 v35, v35
	;; [unrolled: 2-line block ×5, first 2 shown]
	v_add_f32_e32 v207, v163, v34
	s_waitcnt lgkmcnt(2)
	v_cvt_f32_f16_e32 v39, v39
	s_waitcnt lgkmcnt(1)
	v_cvt_f32_f16_e32 v40, v40
	;; [unrolled: 2-line block ×3, first 2 shown]
	v_dual_add_f32 v183, v165, v36 :: v_dual_add_f32 v190, v167, v38
	s_delay_alu instid0(VALU_DEP_3) | instskip(NEXT) | instid1(VALU_DEP_3)
	v_dual_add_f32 v206, v168, v39 :: v_dual_add_f32 v39, v169, v40
	v_dual_add_f32 v38, v170, v41 :: v_dual_add_f32 v211, v164, v35
	;; [unrolled: 1-line block ×3, first 2 shown]
	s_clause 0x1
	scratch_store_b32 off, v39, off offset:148
	scratch_store_b32 off, v38, off offset:144
	global_load_b128 v[104:107], v[96:97], off
	global_load_b128 v[108:111], v[108:109], off
	v_add_co_u32 v96, vcc_lo, v252, v216
	v_add_co_ci_u32_e32 v97, vcc_lo, 0, v205, vcc_lo
	s_waitcnt vmcnt(1)
	ds_store_b128 v208, v[104:107]
	s_waitcnt vmcnt(0)
	ds_store_b128 v53, v[108:111]
	v_add_co_u32 v108, vcc_lo, v200, v216
	v_add_co_ci_u32_e32 v109, vcc_lo, 0, v230, vcc_lo
	global_load_b128 v[104:107], v[96:97], off
	global_load_b128 v[108:111], v[108:109], off
	v_add_co_u32 v96, vcc_lo, v249, v216
	v_add_co_ci_u32_e32 v97, vcc_lo, 0, v113, vcc_lo
	s_waitcnt vmcnt(1)
	ds_store_b128 v54, v[104:107]
	s_waitcnt vmcnt(0)
	ds_store_b128 v52, v[108:111]
	global_load_b128 v[104:107], v[96:97], off
	v_add_co_u32 v96, vcc_lo, v114, v216
	v_add_co_ci_u32_e32 v97, vcc_lo, 0, v197, vcc_lo
	v_dual_mov_b32 v34, v188 :: v_dual_add_f32 v37, 0x40051340, v99
	v_add_f32_e32 v36, 0x40051340, v33
	s_delay_alu instid0(VALU_DEP_1) | instskip(SKIP_1) | instid1(VALU_DEP_1)
	v_max3_f32 v35, v34, v35, v36
	v_add_f32_e32 v36, 0x40051340, v98
	v_max3_f32 v35, v35, v36, v37
	v_dual_add_f32 v37, 0x40051340, v101 :: v_dual_add_f32 v36, 0x40051340, v100
	s_delay_alu instid0(VALU_DEP_1) | instskip(SKIP_1) | instid1(VALU_DEP_1)
	v_max3_f32 v35, v35, v36, v37
	v_dual_add_f32 v36, 0x40051340, v102 :: v_dual_add_f32 v37, 0x40051340, v103
	v_max3_f32 v35, v35, v36, v37
	v_dual_add_f32 v36, 0x40051340, v138 :: v_dual_add_f32 v37, 0x40051340, v139
	s_delay_alu instid0(VALU_DEP_1) | instskip(SKIP_1) | instid1(VALU_DEP_1)
	v_max3_f32 v35, v35, v36, v37
	v_dual_add_f32 v36, 0x40051340, v137 :: v_dual_add_f32 v37, 0x40051340, v136
	;; [unrolled: 5-line block ×5, first 2 shown]
	v_max3_f32 v35, v35, v36, v37
	v_add_f32_e32 v36, 0x40051340, v207
	v_add_f32_e32 v37, 0x40051340, v211
	s_delay_alu instid0(VALU_DEP_1) | instskip(SKIP_1) | instid1(VALU_DEP_1)
	v_max3_f32 v35, v35, v36, v37
	v_dual_add_f32 v37, 0x40051340, v210 :: v_dual_add_f32 v36, 0x40051340, v183
	v_max3_f32 v35, v35, v36, v37
	v_add_f32_e32 v37, 0x40051340, v206
	v_add_f32_e32 v36, 0x40051340, v190
	s_delay_alu instid0(VALU_DEP_1) | instskip(SKIP_1) | instid1(VALU_DEP_1)
	v_max3_f32 v35, v35, v36, v37
	v_dual_add_f32 v36, 0x40051340, v39 :: v_dual_add_f32 v37, 0x40051340, v38
	v_max3_f32 v35, v35, v36, v37
	ds_bpermute_b32 v36, v192, v35
	s_waitcnt lgkmcnt(0)
	v_max_f32_e32 v36, v36, v36
	s_delay_alu instid0(VALU_DEP_1) | instskip(NEXT) | instid1(VALU_DEP_1)
	v_max_f32_e32 v188, v35, v36
	v_sub_f32_e32 v33, v33, v188
	s_delay_alu instid0(VALU_DEP_1) | instskip(NEXT) | instid1(VALU_DEP_1)
	v_mul_f32_e32 v35, 0x3fb8aa3b, v33
	v_fma_f32 v36, 0x3fb8aa3b, v33, -v35
	v_rndne_f32_e32 v37, v35
	s_delay_alu instid0(VALU_DEP_2) | instskip(NEXT) | instid1(VALU_DEP_2)
	v_fmac_f32_e32 v36, 0x32a5705f, v33
	v_sub_f32_e32 v35, v35, v37
	v_cvt_i32_f32_e32 v37, v37
	s_delay_alu instid0(VALU_DEP_2) | instskip(NEXT) | instid1(VALU_DEP_1)
	v_add_f32_e32 v35, v35, v36
	v_exp_f32_e32 v35, v35
	s_waitcnt_depctr 0xfff
	v_ldexp_f32 v35, v35, v37
	s_waitcnt vmcnt(0)
	ds_store_b128 v50, v[104:107]
	global_load_b128 v[104:107], v[96:97], off
	v_add_co_u32 v96, vcc_lo, v198, v216
	v_add_co_ci_u32_e32 v97, vcc_lo, 0, v199, vcc_lo
	s_waitcnt vmcnt(0)
	ds_store_b128 v55, v[104:107]
	global_load_b128 v[104:107], v[96:97], off
	v_add_co_u32 v96, vcc_lo, v251, v216
	v_add_co_ci_u32_e32 v97, vcc_lo, 0, v253, vcc_lo
	v_cmp_ngt_f32_e32 vcc_lo, 0xc2ce8ed0, v33
	v_cndmask_b32_e32 v35, 0, v35, vcc_lo
	v_cmp_nlt_f32_e32 vcc_lo, 0x42b17218, v33
	s_delay_alu instid0(VALU_DEP_2) | instskip(NEXT) | instid1(VALU_DEP_1)
	v_dual_sub_f32 v32, v32, v188 :: v_dual_cndmask_b32 v117, 0x7f800000, v35
	v_cmp_ngt_f32_e64 s1, 0xc2ce8ed0, v32
	ds_bpermute_b32 v35, v192, v117
	v_mul_f32_e32 v36, 0x3fb8aa3b, v32
	s_delay_alu instid0(VALU_DEP_1) | instskip(SKIP_1) | instid1(VALU_DEP_2)
	v_fma_f32 v38, 0x3fb8aa3b, v32, -v36
	v_rndne_f32_e32 v39, v36
	v_fmac_f32_e32 v38, 0x32a5705f, v32
	s_delay_alu instid0(VALU_DEP_2) | instskip(SKIP_1) | instid1(VALU_DEP_2)
	v_sub_f32_e32 v36, v36, v39
	v_cvt_i32_f32_e32 v37, v39
	v_add_f32_e32 v36, v36, v38
	s_delay_alu instid0(VALU_DEP_1) | instskip(SKIP_2) | instid1(VALU_DEP_1)
	v_exp_f32_e32 v36, v36
	s_waitcnt_depctr 0xfff
	v_ldexp_f32 v36, v36, v37
	v_cndmask_b32_e64 v33, 0, v36, s1
	v_cmp_nlt_f32_e64 s1, 0x42b17218, v32
	s_delay_alu instid0(VALU_DEP_1)
	v_cndmask_b32_e64 v116, 0x7f800000, v33, s1
	scratch_load_b32 v33, off, off offset:388 ; 4-byte Folded Reload
	ds_bpermute_b32 v32, v192, v116
	s_waitcnt vmcnt(1)
	ds_store_b128 v51, v[104:107]
	global_load_b128 v[104:107], v[96:97], off
	s_waitcnt vmcnt(1)
	v_cmp_eq_u32_e64 s1, 0, v33
	v_cmp_eq_u32_e32 vcc_lo, 1, v33
	s_waitcnt lgkmcnt(1)
	v_cndmask_b32_e32 v33, v116, v32, vcc_lo
	s_delay_alu instid0(VALU_DEP_3) | instskip(NEXT) | instid1(VALU_DEP_2)
	v_cndmask_b32_e64 v32, v116, v32, s1
	v_cndmask_b32_e64 v37, v33, v117, s2
	s_delay_alu instid0(VALU_DEP_2) | instskip(SKIP_2) | instid1(VALU_DEP_3)
	v_cndmask_b32_e64 v36, v32, v117, s3
	v_cvt_f16_f32_e32 v32, v32
	v_cvt_f16_f32_e32 v33, v33
	v_cndmask_b32_e64 v36, v36, v35, s1
	v_cndmask_b32_e32 v35, v37, v35, vcc_lo
	s_delay_alu instid0(VALU_DEP_3) | instskip(SKIP_1) | instid1(VALU_DEP_4)
	v_pack_b32_f16 v96, v32, v33
	v_sub_f32_e32 v32, v98, v188
	v_cvt_f16_f32_e32 v37, v36
	s_delay_alu instid0(VALU_DEP_4) | instskip(NEXT) | instid1(VALU_DEP_3)
	v_cvt_f16_f32_e32 v38, v35
	v_mul_f32_e32 v33, 0x3fb8aa3b, v32
	s_delay_alu instid0(VALU_DEP_2) | instskip(NEXT) | instid1(VALU_DEP_2)
	v_pack_b32_f16 v97, v37, v38
	v_fma_f32 v37, 0x3fb8aa3b, v32, -v33
	v_rndne_f32_e32 v38, v33
	s_delay_alu instid0(VALU_DEP_1) | instskip(NEXT) | instid1(VALU_DEP_3)
	v_sub_f32_e32 v33, v33, v38
	v_fmac_f32_e32 v37, 0x32a5705f, v32
	v_cmp_ngt_f32_e64 s4, 0xc2ce8ed0, v32
	s_delay_alu instid0(VALU_DEP_2) | instskip(SKIP_1) | instid1(VALU_DEP_2)
	v_add_f32_e32 v33, v33, v37
	v_cvt_i32_f32_e32 v37, v38
	v_exp_f32_e32 v33, v33
	s_waitcnt_depctr 0xfff
	v_ldexp_f32 v33, v33, v37
	s_delay_alu instid0(VALU_DEP_1) | instskip(SKIP_1) | instid1(VALU_DEP_1)
	v_cndmask_b32_e64 v33, 0, v33, s4
	v_cmp_nlt_f32_e64 s4, 0x42b17218, v32
	v_cndmask_b32_e64 v119, 0x7f800000, v33, s4
	s_delay_alu instid0(VALU_DEP_1) | instskip(SKIP_4) | instid1(VALU_DEP_2)
	v_cndmask_b32_e64 v32, v35, v119, s2
	ds_bpermute_b32 v35, v192, v119
	v_cndmask_b32_e64 v33, v36, v119, s3
	s_waitcnt lgkmcnt(0)
	v_cndmask_b32_e32 v32, v32, v35, vcc_lo
	v_cndmask_b32_e64 v33, v33, v35, s1
	s_delay_alu instid0(VALU_DEP_2) | instskip(NEXT) | instid1(VALU_DEP_2)
	v_cvt_f16_f32_e32 v36, v32
	v_cvt_f16_f32_e32 v35, v33
	s_delay_alu instid0(VALU_DEP_1) | instskip(SKIP_1) | instid1(VALU_DEP_1)
	v_pack_b32_f16 v98, v35, v36
	v_sub_f32_e32 v35, v99, v188
	v_mul_f32_e32 v36, 0x3fb8aa3b, v35
	s_delay_alu instid0(VALU_DEP_1) | instskip(SKIP_1) | instid1(VALU_DEP_1)
	v_fma_f32 v37, 0x3fb8aa3b, v35, -v36
	v_rndne_f32_e32 v38, v36
	v_dual_sub_f32 v36, v36, v38 :: v_dual_fmac_f32 v37, 0x32a5705f, v35
	v_cmp_ngt_f32_e64 s4, 0xc2ce8ed0, v35
	s_delay_alu instid0(VALU_DEP_2) | instskip(SKIP_1) | instid1(VALU_DEP_2)
	v_add_f32_e32 v36, v36, v37
	v_cvt_i32_f32_e32 v37, v38
	v_exp_f32_e32 v36, v36
	s_waitcnt_depctr 0xfff
	v_ldexp_f32 v36, v36, v37
	s_delay_alu instid0(VALU_DEP_1) | instskip(SKIP_1) | instid1(VALU_DEP_1)
	v_cndmask_b32_e64 v36, 0, v36, s4
	v_cmp_nlt_f32_e64 s4, 0x42b17218, v35
	v_cndmask_b32_e64 v121, 0x7f800000, v36, s4
	ds_bpermute_b32 v35, v192, v121
	v_cndmask_b32_e64 v32, v32, v121, s2
	v_cndmask_b32_e64 v33, v33, v121, s3
	s_waitcnt lgkmcnt(0)
	s_delay_alu instid0(VALU_DEP_1) | instskip(NEXT) | instid1(VALU_DEP_3)
	v_cndmask_b32_e64 v33, v33, v35, s1
	v_cndmask_b32_e32 v32, v32, v35, vcc_lo
	s_delay_alu instid0(VALU_DEP_2) | instskip(NEXT) | instid1(VALU_DEP_2)
	v_cvt_f16_f32_e32 v35, v33
	v_cvt_f16_f32_e32 v36, v32
	s_delay_alu instid0(VALU_DEP_1) | instskip(SKIP_1) | instid1(VALU_DEP_1)
	v_pack_b32_f16 v99, v35, v36
	v_sub_f32_e32 v35, v100, v188
	v_mul_f32_e32 v36, 0x3fb8aa3b, v35
	v_cmp_ngt_f32_e64 s4, 0xc2ce8ed0, v35
	s_delay_alu instid0(VALU_DEP_2) | instskip(SKIP_1) | instid1(VALU_DEP_1)
	v_fma_f32 v37, 0x3fb8aa3b, v35, -v36
	v_rndne_f32_e32 v38, v36
	v_dual_fmac_f32 v37, 0x32a5705f, v35 :: v_dual_sub_f32 v36, v36, v38
	s_delay_alu instid0(VALU_DEP_1) | instskip(SKIP_1) | instid1(VALU_DEP_2)
	v_add_f32_e32 v36, v36, v37
	v_cvt_i32_f32_e32 v37, v38
	v_exp_f32_e32 v36, v36
	s_waitcnt_depctr 0xfff
	v_ldexp_f32 v36, v36, v37
	s_delay_alu instid0(VALU_DEP_1) | instskip(SKIP_1) | instid1(VALU_DEP_1)
	v_cndmask_b32_e64 v36, 0, v36, s4
	v_cmp_nlt_f32_e64 s4, 0x42b17218, v35
	v_cndmask_b32_e64 v124, 0x7f800000, v36, s4
	ds_bpermute_b32 v35, v192, v124
	v_cndmask_b32_e64 v32, v32, v124, s2
	v_cndmask_b32_e64 v33, v33, v124, s3
	s_waitcnt vmcnt(0)
	ds_store_b128 v80, v[104:107]
	v_dual_mov_b32 v80, v88 :: v_dual_mov_b32 v81, v89
	v_dual_mov_b32 v82, v90 :: v_dual_add_nc_u32 v107, 0x400, v214
	v_mov_b32_e32 v84, v92
	v_mov_b32_e32 v86, v94
	s_waitcnt lgkmcnt(1)
	v_cndmask_b32_e64 v33, v33, v35, s1
	v_cndmask_b32_e32 v32, v32, v35, vcc_lo
	s_waitcnt lgkmcnt(0)
	s_waitcnt_vscnt null, 0x0
	s_barrier
	buffer_gl0_inv
	v_cvt_f16_f32_e32 v35, v33
	v_cvt_f16_f32_e32 v36, v32
	ds_load_2addr_b32 v[165:166], v214 offset1:16
	ds_load_2addr_b32 v[167:168], v214 offset0:68 offset1:84
	ds_load_2addr_b32 v[169:170], v214 offset0:136 offset1:152
	;; [unrolled: 1-line block ×8, first 2 shown]
	v_pack_b32_f16 v100, v35, v36
	v_sub_f32_e32 v35, v101, v188
	ds_load_2addr_b32 v[175:176], v141 offset0:168 offset1:184
	ds_load_2addr_b32 v[177:178], v141 offset0:236 offset1:252
	v_mov_b32_e32 v83, v91
	v_mov_b32_e32 v85, v93
	v_dual_mov_b32 v87, v95 :: v_dual_mul_f32 v36, 0x3fb8aa3b, v35
	v_cmp_ngt_f32_e64 s4, 0xc2ce8ed0, v35
	v_mov_b32_e32 v95, v79
	v_mov_b32_e32 v89, v73
	ds_load_2addr_b32 v[181:182], v142 offset0:48 offset1:116
	v_fma_f32 v37, 0x3fb8aa3b, v35, -v36
	v_rndne_f32_e32 v38, v36
	ds_load_2addr_b32 v[161:162], v142 offset0:164 offset1:184
	ds_load_2addr_b32 v[163:164], v142 offset0:232 offset1:252
	ds_load_b32 v143, v212 offset:2176
	ds_load_b32 v144, v212 offset:3264
	;; [unrolled: 1-line block ×7, first 2 shown]
	ds_load_2addr_b32 v[215:216], v107 offset0:100 offset1:116
	v_add_nc_u32_e32 v212, 0x1000, v214
	v_dual_fmac_f32 v37, 0x32a5705f, v35 :: v_dual_sub_f32 v36, v36, v38
	ds_load_2addr_b32 v[217:218], v107 offset0:168 offset1:184
	ds_load_2addr_b32 v[219:220], v107 offset0:236 offset1:252
	;; [unrolled: 1-line block ×3, first 2 shown]
	v_mov_b32_e32 v94, v78
	v_mov_b32_e32 v92, v76
	v_add_f32_e32 v36, v36, v37
	v_cvt_i32_f32_e32 v37, v38
	v_mov_b32_e32 v90, v74
	v_mov_b32_e32 v88, v72
	s_waitcnt lgkmcnt(23)
	v_perm_b32 v104, v168, v166, 0x5040100
	v_exp_f32_e32 v36, v36
	s_waitcnt lgkmcnt(21)
	v_perm_b32 v105, v172, v170, 0x5040100
	s_waitcnt lgkmcnt(14)
	v_perm_b32 v109, v178, v176, 0x5040100
	v_perm_b32 v241, v167, v165, 0x5040100
	;; [unrolled: 1-line block ×7, first 2 shown]
	v_mov_b32_e32 v93, v77
	v_ldexp_f32 v36, v36, v37
	s_waitcnt lgkmcnt(10)
	v_perm_b32 v108, v174, v143, 0x5040100
	s_waitcnt lgkmcnt(3)
	v_perm_b32 v106, v215, v202, 0x5040100
	;; [unrolled: 2-line block ×4, first 2 shown]
	v_cndmask_b32_e64 v36, 0, v36, s4
	v_cmp_nlt_f32_e64 s4, 0x42b17218, v35
	v_perm_b32 v247, v182, v181, 0x5040100
	v_perm_b32 v248, v164, v162, 0x5040100
	v_mov_b32_e32 v91, v75
	v_mov_b32_e32 v79, v49
	v_cndmask_b32_e64 v126, 0x7f800000, v36, s4
	ds_load_2addr_b32 v[223:224], v142 offset0:200 offset1:216
	ds_load_2addr_b32 v[225:226], v212 offset0:12 offset1:28
	v_dual_mov_b32 v78, v48 :: v_dual_mov_b32 v77, v47
	v_mov_b32_e32 v76, v46
	ds_bpermute_b32 v35, v192, v126
	v_cndmask_b32_e64 v32, v32, v126, s2
	v_cndmask_b32_e64 v33, v33, v126, s3
	v_dual_mov_b32 v75, v45 :: v_dual_mov_b32 v74, v44
	v_dual_mov_b32 v73, v43 :: v_dual_mov_b32 v72, v42
	s_waitcnt lgkmcnt(1)
	v_perm_b32 v111, v225, v223, 0x5040100
	s_waitcnt lgkmcnt(0)
	v_cndmask_b32_e64 v33, v33, v35, s1
	v_cndmask_b32_e32 v32, v32, v35, vcc_lo
	s_delay_alu instid0(VALU_DEP_2) | instskip(NEXT) | instid1(VALU_DEP_2)
	v_cvt_f16_f32_e32 v35, v33
	v_cvt_f16_f32_e32 v36, v32
	s_delay_alu instid0(VALU_DEP_1) | instskip(SKIP_1) | instid1(VALU_DEP_1)
	v_pack_b32_f16 v101, v35, v36
	v_sub_f32_e32 v35, v102, v188
	v_mul_f32_e32 v36, 0x3fb8aa3b, v35
	v_cmp_ngt_f32_e64 s4, 0xc2ce8ed0, v35
	s_delay_alu instid0(VALU_DEP_2) | instskip(SKIP_1) | instid1(VALU_DEP_1)
	v_fma_f32 v37, 0x3fb8aa3b, v35, -v36
	v_rndne_f32_e32 v38, v36
	v_dual_fmac_f32 v37, 0x32a5705f, v35 :: v_dual_sub_f32 v36, v36, v38
	s_delay_alu instid0(VALU_DEP_1) | instskip(SKIP_1) | instid1(VALU_DEP_2)
	v_add_f32_e32 v36, v36, v37
	v_cvt_i32_f32_e32 v37, v38
	v_exp_f32_e32 v36, v36
	s_waitcnt_depctr 0xfff
	v_ldexp_f32 v36, v36, v37
	s_delay_alu instid0(VALU_DEP_1) | instskip(SKIP_1) | instid1(VALU_DEP_1)
	v_cndmask_b32_e64 v36, 0, v36, s4
	v_cmp_nlt_f32_e64 s4, 0x42b17218, v35
	v_cndmask_b32_e64 v127, 0x7f800000, v36, s4
	ds_bpermute_b32 v35, v192, v127
	v_cndmask_b32_e64 v33, v33, v127, s3
	v_cndmask_b32_e64 v32, v32, v127, s2
	s_waitcnt lgkmcnt(0)
	s_delay_alu instid0(VALU_DEP_2) | instskip(NEXT) | instid1(VALU_DEP_2)
	v_cndmask_b32_e64 v33, v33, v35, s1
	v_cndmask_b32_e32 v32, v32, v35, vcc_lo
	s_delay_alu instid0(VALU_DEP_2) | instskip(NEXT) | instid1(VALU_DEP_2)
	v_cvt_f16_f32_e32 v35, v33
	v_cvt_f16_f32_e32 v36, v32
	s_delay_alu instid0(VALU_DEP_1) | instskip(SKIP_1) | instid1(VALU_DEP_1)
	v_pack_b32_f16 v102, v35, v36
	v_sub_f32_e32 v35, v103, v188
	v_mul_f32_e32 v36, 0x3fb8aa3b, v35
	v_cmp_ngt_f32_e64 s4, 0xc2ce8ed0, v35
	s_delay_alu instid0(VALU_DEP_2) | instskip(SKIP_1) | instid1(VALU_DEP_1)
	v_fma_f32 v37, 0x3fb8aa3b, v35, -v36
	v_rndne_f32_e32 v38, v36
	v_dual_fmac_f32 v37, 0x32a5705f, v35 :: v_dual_sub_f32 v36, v36, v38
	s_delay_alu instid0(VALU_DEP_1) | instskip(SKIP_1) | instid1(VALU_DEP_2)
	v_add_f32_e32 v36, v36, v37
	v_cvt_i32_f32_e32 v37, v38
	v_exp_f32_e32 v36, v36
	s_waitcnt_depctr 0xfff
	v_ldexp_f32 v36, v36, v37
	s_delay_alu instid0(VALU_DEP_1) | instskip(SKIP_1) | instid1(VALU_DEP_1)
	v_cndmask_b32_e64 v36, 0, v36, s4
	v_cmp_nlt_f32_e64 s4, 0x42b17218, v35
	v_cndmask_b32_e64 v130, 0x7f800000, v36, s4
	ds_bpermute_b32 v35, v192, v130
	v_cndmask_b32_e64 v33, v33, v130, s3
	v_cndmask_b32_e64 v32, v32, v130, s2
	s_waitcnt lgkmcnt(0)
	s_delay_alu instid0(VALU_DEP_2) | instskip(NEXT) | instid1(VALU_DEP_2)
	v_cndmask_b32_e64 v33, v33, v35, s1
	v_cndmask_b32_e32 v32, v32, v35, vcc_lo
	s_delay_alu instid0(VALU_DEP_2) | instskip(NEXT) | instid1(VALU_DEP_2)
	v_cvt_f16_f32_e32 v33, v33
	v_cvt_f16_f32_e32 v32, v32
	s_delay_alu instid0(VALU_DEP_1) | instskip(SKIP_1) | instid1(VALU_DEP_1)
	v_pack_b32_f16 v103, v33, v32
	v_sub_f32_e32 v32, v34, v188
	v_mul_f32_e32 v33, 0x3fb8aa3b, v32
	v_cmp_ngt_f32_e64 s4, 0xc2ce8ed0, v32
	s_delay_alu instid0(VALU_DEP_2) | instskip(SKIP_1) | instid1(VALU_DEP_1)
	v_fma_f32 v34, 0x3fb8aa3b, v32, -v33
	v_rndne_f32_e32 v35, v33
	v_dual_fmac_f32 v34, 0x32a5705f, v32 :: v_dual_sub_f32 v33, v33, v35
	s_delay_alu instid0(VALU_DEP_1) | instskip(SKIP_1) | instid1(VALU_DEP_2)
	v_add_f32_e32 v33, v33, v34
	v_cvt_i32_f32_e32 v34, v35
	v_exp_f32_e32 v33, v33
	s_waitcnt_depctr 0xfff
	v_ldexp_f32 v33, v33, v34
	s_delay_alu instid0(VALU_DEP_1) | instskip(SKIP_1) | instid1(VALU_DEP_1)
	v_cndmask_b32_e64 v33, 0, v33, s4
	v_cmp_nlt_f32_e64 s4, 0x42b17218, v32
	v_cndmask_b32_e64 v33, 0x7f800000, v33, s4
	v_cmp_le_f32_e64 s4, 0xc1a00000, v32
	s_delay_alu instid0(VALU_DEP_1)
	v_cndmask_b32_e64 v131, 0, v33, s4
	ds_load_2addr_b32 v[227:228], v214 offset0:32 offset1:48
	ds_load_2addr_b32 v[238:239], v214 offset0:100 offset1:116
	;; [unrolled: 1-line block ×4, first 2 shown]
	scratch_load_b32 v40, off, off offset:404 ; 4-byte Folded Reload
	s_waitcnt vmcnt(0)
	ds_load_b32 v42, v40 offset:1088
	ds_load_b32 v43, v40 offset:2176
	scratch_load_b32 v240, off, off offset:428 ; 4-byte Folded Reload
	v_cvt_f16_f32_e64 v140, v131
	ds_load_2addr_b32 v[36:37], v141 offset0:132 offset1:148
	v_pk_mul_f16 v16, v140, v16 op_sel_hi:[0,1]
	v_pk_mul_f16 v17, v140, v17 op_sel_hi:[0,1]
	;; [unrolled: 1-line block ×12, first 2 shown]
	v_wmma_f16_16x16x16_f16 v[16:23], v[104:111], v[96:103], v[16:23]
	v_pk_mul_f16 v28, v140, v28 op_sel_hi:[0,1]
	v_pk_mul_f16 v29, v140, v29 op_sel_hi:[0,1]
	v_pk_mul_f16 v30, v140, v30 op_sel_hi:[0,1]
	v_pk_mul_f16 v31, v140, v31 op_sel_hi:[0,1]
	v_pk_mul_f16 v8, v140, v8 op_sel_hi:[0,1]
	v_pk_mul_f16 v9, v140, v9 op_sel_hi:[0,1]
	v_pk_mul_f16 v10, v140, v10 op_sel_hi:[0,1]
	v_pk_mul_f16 v11, v140, v11 op_sel_hi:[0,1]
	v_wmma_f16_16x16x16_f16 v[24:31], v[241:248], v[96:103], v[24:31]
	v_pk_mul_f16 v12, v140, v12 op_sel_hi:[0,1]
	v_pk_mul_f16 v13, v140, v13 op_sel_hi:[0,1]
	;; [unrolled: 1-line block ×4, first 2 shown]
	s_waitcnt lgkmcnt(5)
	v_perm_b32 v241, v238, v227, 0x5040100
	s_waitcnt lgkmcnt(3)
	v_perm_b32 v242, v34, v32, 0x5040100
	;; [unrolled: 2-line block ×3, first 2 shown]
	v_perm_b32 v244, v220, v218, 0x5040100
	s_waitcnt lgkmcnt(0)
	v_perm_b32 v245, v36, v43, 0x5040100
	v_perm_b32 v248, v226, v224, 0x5040100
	v_pk_mul_f16 v0, v140, v0 op_sel_hi:[0,1]
	v_pk_mul_f16 v1, v140, v1 op_sel_hi:[0,1]
	;; [unrolled: 1-line block ×8, first 2 shown]
	s_waitcnt vmcnt(0)
	ds_load_b32 v104, v240 offset:3264
	ds_load_2addr_b32 v[38:39], v141 offset0:200 offset1:216
	ds_load_2addr_b32 v[141:142], v142 offset0:12 offset1:28
	ds_load_b32 v44, v40 offset:3264
	scratch_load_b32 v40, off, off offset:420 ; 4-byte Folded Reload
	s_waitcnt vmcnt(0)
	ds_load_b32 v229, v40 offset:1088
	ds_load_b32 v48, v40 offset:2176
	;; [unrolled: 1-line block ×3, first 2 shown]
	scratch_load_b32 v40, off, off offset:440 ; 4-byte Folded Reload
	s_waitcnt lgkmcnt(4)
	v_perm_b32 v246, v141, v38, 0x5040100
	s_waitcnt lgkmcnt(3)
	v_perm_b32 v247, v222, v44, 0x5040100
	s_waitcnt vmcnt(0)
	ds_load_b32 v108, v40 offset:1088
	ds_load_b32 v109, v40 offset:2176
	;; [unrolled: 1-line block ×3, first 2 shown]
	s_clause 0x1
	scratch_load_b32 v250, off, off offset:400
	scratch_load_b32 v40, off, off offset:424
	v_wmma_f16_16x16x16_f16 v[8:15], v[241:248], v[96:103], v[8:15]
	v_perm_b32 v241, v239, v228, 0x5040100
	v_perm_b32 v242, v35, v33, 0x5040100
	;; [unrolled: 1-line block ×4, first 2 shown]
	s_waitcnt vmcnt(1)
	ds_load_b32 v105, v250 offset:1088
	s_waitcnt vmcnt(0)
	ds_load_b32 v45, v40 offset:1088
	ds_load_b32 v46, v40 offset:2176
	ds_load_b32 v47, v40 offset:3264
	scratch_load_b32 v40, off, off offset:412 ; 4-byte Folded Reload
	s_waitcnt vmcnt(0)
	ds_load_b32 v50, v40 offset:1088
	ds_load_b32 v51, v40 offset:2176
	;; [unrolled: 1-line block ×4, first 2 shown]
	ds_load_2addr_b32 v[40:41], v212 offset0:44 offset1:64
	s_waitcnt lgkmcnt(7)
	v_perm_b32 v243, v155, v45, 0x5040100
	s_waitcnt lgkmcnt(6)
	v_perm_b32 v245, v37, v46, 0x5040100
	;; [unrolled: 2-line block ×4, first 2 shown]
	s_delay_alu instid0(VALU_DEP_1)
	v_wmma_f16_16x16x16_f16 v[0:7], v[241:248], v[96:103], v[0:7]
	v_perm_b32 v241, v167, v165, 0x7060302
	v_perm_b32 v242, v171, v169, 0x7060302
	;; [unrolled: 1-line block ×15, first 2 shown]
	v_wmma_f16_16x16x16_f16 v[16:23], v[164:171], v[96:103], v[16:23] op_sel:[0,0,1]
	v_perm_b32 v167, v220, v218, 0x7060302
	v_perm_b32 v171, v226, v224, 0x7060302
	;; [unrolled: 1-line block ×8, first 2 shown]
	v_sub_f32_e32 v32, v139, v188
	v_perm_b32 v246, v177, v175, 0x7060302
	v_add_nc_u32_e32 v215, 0x1800, v214
	v_add_nc_u32_e32 v221, 0x1c00, v214
	v_wmma_f16_16x16x16_f16 v[8:15], v[164:171], v[96:103], v[8:15] op_sel:[0,0,1]
	v_perm_b32 v165, v35, v33, 0x7060302
	v_mul_f32_e32 v33, 0x3fb8aa3b, v32
	v_perm_b32 v168, v37, v46, 0x7060302
	v_cmp_ngt_f32_e64 s4, 0xc2ce8ed0, v32
	v_perm_b32 v164, v239, v228, 0x7060302
	v_perm_b32 v167, v159, v157, 0x7060302
	v_fma_f32 v34, 0x3fb8aa3b, v32, -v33
	v_rndne_f32_e32 v35, v33
	v_perm_b32 v169, v142, v39, 0x7060302
	v_perm_b32 v166, v155, v45, 0x7060302
	;; [unrolled: 1-line block ×3, first 2 shown]
	s_delay_alu instid0(VALU_DEP_4)
	v_dual_fmac_f32 v34, 0x32a5705f, v32 :: v_dual_sub_f32 v33, v33, v35
	v_cvt_i32_f32_e32 v35, v35
	v_perm_b32 v171, v40, v163, 0x7060302
	v_wmma_f16_16x16x16_f16 v[24:31], v[241:248], v[96:103], v[24:31] op_sel:[0,0,1]
	s_clause 0x1
	scratch_load_b32 v247, off, off offset:140
	scratch_load_b32 v248, off, off offset:92
	v_dual_add_f32 v33, v33, v34 :: v_dual_sub_f32 v34, v138, v188
	v_wmma_f16_16x16x16_f16 v[0:7], v[164:171], v[96:103], v[0:7] op_sel:[0,0,1]
	v_add_nc_u32_e32 v40, 0x1400, v214
	v_add_nc_u32_e32 v239, 0x2000, v214
	s_delay_alu instid0(VALU_DEP_4) | instskip(SKIP_2) | instid1(VALU_DEP_2)
	v_exp_f32_e32 v33, v33
	v_mul_f32_e32 v36, 0x3fb8aa3b, v34
	v_cmp_ngt_f32_e64 s5, 0xc2ce8ed0, v34
	v_fma_f32 v37, 0x3fb8aa3b, v34, -v36
	v_rndne_f32_e32 v38, v36
	s_waitcnt_depctr 0xfff
	v_ldexp_f32 v33, v33, v35
	v_fmac_f32_e32 v37, 0x32a5705f, v34
	v_sub_f32_e32 v36, v36, v38
	v_cvt_i32_f32_e32 v35, v38
	s_delay_alu instid0(VALU_DEP_4) | instskip(SKIP_1) | instid1(VALU_DEP_4)
	v_cndmask_b32_e64 v33, 0, v33, s4
	v_cmp_nlt_f32_e64 s4, 0x42b17218, v32
	v_add_f32_e32 v36, v36, v37
	s_delay_alu instid0(VALU_DEP_2) | instskip(NEXT) | instid1(VALU_DEP_2)
	v_cndmask_b32_e64 v97, 0x7f800000, v33, s4
	v_exp_f32_e32 v36, v36
	s_waitcnt_depctr 0xfff
	v_ldexp_f32 v35, v36, v35
	s_delay_alu instid0(VALU_DEP_1)
	v_cndmask_b32_e64 v32, 0, v35, s5
	v_cmp_nlt_f32_e64 s5, 0x42b17218, v34
	ds_bpermute_b32 v34, v192, v97
	v_cndmask_b32_e64 v96, 0x7f800000, v32, s5
	ds_bpermute_b32 v32, v192, v96
	s_waitcnt lgkmcnt(0)
	v_cndmask_b32_e32 v33, v96, v32, vcc_lo
	v_cndmask_b32_e64 v32, v96, v32, s1
	s_delay_alu instid0(VALU_DEP_2) | instskip(NEXT) | instid1(VALU_DEP_2)
	v_cndmask_b32_e64 v36, v33, v97, s2
	v_cndmask_b32_e64 v35, v32, v97, s3
	v_cvt_f16_f32_e32 v32, v32
	v_cvt_f16_f32_e32 v33, v33
	s_delay_alu instid0(VALU_DEP_3) | instskip(SKIP_1) | instid1(VALU_DEP_3)
	v_cndmask_b32_e64 v35, v35, v34, s1
	v_cndmask_b32_e32 v34, v36, v34, vcc_lo
	v_pack_b32_f16 v155, v32, v33
	v_sub_f32_e32 v32, v137, v188
	s_delay_alu instid0(VALU_DEP_4) | instskip(NEXT) | instid1(VALU_DEP_4)
	v_cvt_f16_f32_e32 v36, v35
	v_cvt_f16_f32_e32 v37, v34
	s_delay_alu instid0(VALU_DEP_3) | instskip(SKIP_1) | instid1(VALU_DEP_3)
	v_mul_f32_e32 v33, 0x3fb8aa3b, v32
	v_cmp_ngt_f32_e64 s4, 0xc2ce8ed0, v32
	v_pack_b32_f16 v156, v36, v37
	s_delay_alu instid0(VALU_DEP_3) | instskip(SKIP_1) | instid1(VALU_DEP_1)
	v_fma_f32 v36, 0x3fb8aa3b, v32, -v33
	v_rndne_f32_e32 v37, v33
	v_dual_fmac_f32 v36, 0x32a5705f, v32 :: v_dual_sub_f32 v33, v33, v37
	s_delay_alu instid0(VALU_DEP_1) | instskip(SKIP_1) | instid1(VALU_DEP_2)
	v_add_f32_e32 v33, v33, v36
	v_cvt_i32_f32_e32 v36, v37
	v_exp_f32_e32 v33, v33
	s_waitcnt_depctr 0xfff
	v_ldexp_f32 v33, v33, v36
	s_delay_alu instid0(VALU_DEP_1) | instskip(SKIP_1) | instid1(VALU_DEP_1)
	v_cndmask_b32_e64 v33, 0, v33, s4
	v_cmp_nlt_f32_e64 s4, 0x42b17218, v32
	v_cndmask_b32_e64 v98, 0x7f800000, v33, s4
	s_delay_alu instid0(VALU_DEP_1) | instskip(SKIP_3) | instid1(VALU_DEP_1)
	v_cndmask_b32_e64 v32, v34, v98, s2
	ds_bpermute_b32 v34, v192, v98
	v_cndmask_b32_e64 v33, v35, v98, s3
	s_waitcnt lgkmcnt(0)
	v_cndmask_b32_e64 v33, v33, v34, s1
	v_cndmask_b32_e32 v32, v32, v34, vcc_lo
	s_delay_alu instid0(VALU_DEP_2) | instskip(NEXT) | instid1(VALU_DEP_2)
	v_cvt_f16_f32_e32 v34, v33
	v_cvt_f16_f32_e32 v35, v32
	s_delay_alu instid0(VALU_DEP_1) | instskip(SKIP_1) | instid1(VALU_DEP_1)
	v_pack_b32_f16 v157, v34, v35
	v_sub_f32_e32 v34, v136, v188
	v_mul_f32_e32 v35, 0x3fb8aa3b, v34
	v_cmp_ngt_f32_e64 s4, 0xc2ce8ed0, v34
	s_delay_alu instid0(VALU_DEP_2) | instskip(SKIP_1) | instid1(VALU_DEP_1)
	v_fma_f32 v36, 0x3fb8aa3b, v34, -v35
	v_rndne_f32_e32 v37, v35
	v_dual_fmac_f32 v36, 0x32a5705f, v34 :: v_dual_sub_f32 v35, v35, v37
	s_delay_alu instid0(VALU_DEP_1) | instskip(SKIP_1) | instid1(VALU_DEP_2)
	v_add_f32_e32 v35, v35, v36
	v_cvt_i32_f32_e32 v36, v37
	v_exp_f32_e32 v35, v35
	s_waitcnt_depctr 0xfff
	v_ldexp_f32 v35, v35, v36
	s_delay_alu instid0(VALU_DEP_1) | instskip(SKIP_1) | instid1(VALU_DEP_1)
	v_cndmask_b32_e64 v35, 0, v35, s4
	v_cmp_nlt_f32_e64 s4, 0x42b17218, v34
	v_cndmask_b32_e64 v99, 0x7f800000, v35, s4
	ds_bpermute_b32 v34, v192, v99
	v_cndmask_b32_e64 v32, v32, v99, s2
	v_cndmask_b32_e64 v33, v33, v99, s3
	s_waitcnt lgkmcnt(0)
	s_delay_alu instid0(VALU_DEP_1) | instskip(NEXT) | instid1(VALU_DEP_3)
	v_cndmask_b32_e64 v33, v33, v34, s1
	v_cndmask_b32_e32 v32, v32, v34, vcc_lo
	s_delay_alu instid0(VALU_DEP_2) | instskip(NEXT) | instid1(VALU_DEP_2)
	v_cvt_f16_f32_e32 v34, v33
	v_cvt_f16_f32_e32 v35, v32
	s_delay_alu instid0(VALU_DEP_1) | instskip(SKIP_1) | instid1(VALU_DEP_1)
	v_pack_b32_f16 v158, v34, v35
	v_sub_f32_e32 v34, v135, v188
	v_mul_f32_e32 v35, 0x3fb8aa3b, v34
	v_cmp_ngt_f32_e64 s4, 0xc2ce8ed0, v34
	s_delay_alu instid0(VALU_DEP_2) | instskip(SKIP_1) | instid1(VALU_DEP_1)
	v_fma_f32 v36, 0x3fb8aa3b, v34, -v35
	v_rndne_f32_e32 v37, v35
	v_dual_fmac_f32 v36, 0x32a5705f, v34 :: v_dual_sub_f32 v35, v35, v37
	s_delay_alu instid0(VALU_DEP_1) | instskip(SKIP_1) | instid1(VALU_DEP_2)
	v_add_f32_e32 v35, v35, v36
	v_cvt_i32_f32_e32 v36, v37
	v_exp_f32_e32 v35, v35
	s_waitcnt_depctr 0xfff
	v_ldexp_f32 v35, v35, v36
	s_delay_alu instid0(VALU_DEP_1) | instskip(SKIP_1) | instid1(VALU_DEP_1)
	v_cndmask_b32_e64 v35, 0, v35, s4
	v_cmp_nlt_f32_e64 s4, 0x42b17218, v34
	v_cndmask_b32_e64 v100, 0x7f800000, v35, s4
	ds_bpermute_b32 v34, v192, v100
	v_cndmask_b32_e64 v32, v32, v100, s2
	v_cndmask_b32_e64 v33, v33, v100, s3
	s_waitcnt lgkmcnt(0)
	s_delay_alu instid0(VALU_DEP_1) | instskip(NEXT) | instid1(VALU_DEP_3)
	;; [unrolled: 29-line block ×3, first 2 shown]
	v_cndmask_b32_e64 v33, v33, v34, s1
	v_cndmask_b32_e32 v32, v32, v34, vcc_lo
	s_delay_alu instid0(VALU_DEP_2) | instskip(NEXT) | instid1(VALU_DEP_2)
	v_cvt_f16_f32_e32 v34, v33
	v_cvt_f16_f32_e32 v35, v32
	s_delay_alu instid0(VALU_DEP_1) | instskip(SKIP_1) | instid1(VALU_DEP_1)
	v_pack_b32_f16 v160, v34, v35
	v_sub_f32_e32 v34, v133, v188
	v_mul_f32_e32 v35, 0x3fb8aa3b, v34
	v_cmp_ngt_f32_e64 s4, 0xc2ce8ed0, v34
	s_delay_alu instid0(VALU_DEP_2) | instskip(SKIP_1) | instid1(VALU_DEP_1)
	v_fma_f32 v36, 0x3fb8aa3b, v34, -v35
	v_rndne_f32_e32 v37, v35
	v_dual_fmac_f32 v36, 0x32a5705f, v34 :: v_dual_sub_f32 v35, v35, v37
	s_delay_alu instid0(VALU_DEP_1) | instskip(SKIP_1) | instid1(VALU_DEP_2)
	v_add_f32_e32 v35, v35, v36
	v_cvt_i32_f32_e32 v36, v37
	v_exp_f32_e32 v35, v35
	s_waitcnt_depctr 0xfff
	v_ldexp_f32 v35, v35, v36
	s_delay_alu instid0(VALU_DEP_1) | instskip(SKIP_1) | instid1(VALU_DEP_1)
	v_cndmask_b32_e64 v35, 0, v35, s4
	v_cmp_nlt_f32_e64 s4, 0x42b17218, v34
	v_cndmask_b32_e64 v102, 0x7f800000, v35, s4
	ds_bpermute_b32 v34, v192, v102
	v_cndmask_b32_e64 v33, v33, v102, s3
	v_cndmask_b32_e64 v32, v32, v102, s2
	s_waitcnt lgkmcnt(0)
	s_delay_alu instid0(VALU_DEP_2) | instskip(NEXT) | instid1(VALU_DEP_2)
	v_cndmask_b32_e64 v33, v33, v34, s1
	v_cndmask_b32_e32 v32, v32, v34, vcc_lo
	s_delay_alu instid0(VALU_DEP_2) | instskip(NEXT) | instid1(VALU_DEP_2)
	v_cvt_f16_f32_e32 v34, v33
	v_cvt_f16_f32_e32 v35, v32
	s_delay_alu instid0(VALU_DEP_1) | instskip(SKIP_1) | instid1(VALU_DEP_1)
	v_pack_b32_f16 v161, v34, v35
	v_sub_f32_e32 v34, v132, v188
	v_mul_f32_e32 v35, 0x3fb8aa3b, v34
	v_cmp_ngt_f32_e64 s4, 0xc2ce8ed0, v34
	s_delay_alu instid0(VALU_DEP_2) | instskip(SKIP_1) | instid1(VALU_DEP_1)
	v_fma_f32 v36, 0x3fb8aa3b, v34, -v35
	v_rndne_f32_e32 v37, v35
	v_dual_fmac_f32 v36, 0x32a5705f, v34 :: v_dual_sub_f32 v35, v35, v37
	s_delay_alu instid0(VALU_DEP_1) | instskip(SKIP_1) | instid1(VALU_DEP_2)
	v_add_f32_e32 v35, v35, v36
	v_cvt_i32_f32_e32 v36, v37
	v_exp_f32_e32 v35, v35
	s_waitcnt_depctr 0xfff
	v_ldexp_f32 v35, v35, v36
	s_delay_alu instid0(VALU_DEP_1) | instskip(SKIP_1) | instid1(VALU_DEP_1)
	v_cndmask_b32_e64 v35, 0, v35, s4
	v_cmp_nlt_f32_e64 s4, 0x42b17218, v34
	v_cndmask_b32_e64 v103, 0x7f800000, v35, s4
	ds_bpermute_b32 v34, v192, v103
	v_cndmask_b32_e64 v33, v33, v103, s3
	v_cndmask_b32_e64 v32, v32, v103, s2
	s_waitcnt lgkmcnt(0)
	s_delay_alu instid0(VALU_DEP_2) | instskip(NEXT) | instid1(VALU_DEP_2)
	v_cndmask_b32_e64 v33, v33, v34, s1
	v_cndmask_b32_e32 v32, v32, v34, vcc_lo
	s_delay_alu instid0(VALU_DEP_2) | instskip(NEXT) | instid1(VALU_DEP_2)
	v_cvt_f16_f32_e32 v33, v33
	v_cvt_f16_f32_e32 v32, v32
	s_delay_alu instid0(VALU_DEP_1)
	v_pack_b32_f16 v162, v33, v32
	v_add_nc_u32_e32 v32, 0x1200, v214
	ds_load_2addr_b32 v[32:33], v32 offset0:120 offset1:140
	ds_load_2addr_b32 v[34:35], v212 offset0:112 offset1:132
	ds_load_2addr_b32 v[36:37], v212 offset0:180 offset1:200
	s_waitcnt vmcnt(0)
	ds_load_b32 v53, v248 offset:2176
	ds_load_b32 v54, v248 offset:3264
	scratch_load_b32 v38, off, off offset:396 ; 4-byte Folded Reload
	s_waitcnt vmcnt(0)
	ds_load_b32 v55, v38 offset:1088
	ds_load_b32 v202, v38 offset:2176
	;; [unrolled: 1-line block ×3, first 2 shown]
	scratch_load_b32 v38, off, off          ; 4-byte Folded Reload
	s_waitcnt lgkmcnt(6)
	v_perm_b32 v132, v35, v41, 0x5040100
	s_waitcnt lgkmcnt(5)
	v_perm_b32 v133, v33, v37, 0x5040100
	s_waitcnt vmcnt(0)
	ds_load_b32 v111, v38 offset:1088
	ds_load_b32 v144, v248 offset:1088
	;; [unrolled: 1-line block ×3, first 2 shown]
	ds_load_2addr_b32 v[38:39], v40 offset0:60 offset1:148
	ds_load_2addr_b32 v[42:43], v40 offset0:196 offset1:216
	ds_load_2addr_b32 v[44:45], v215 offset0:8 offset1:28
	ds_load_2addr_b32 v[46:47], v215 offset0:76 offset1:164
	ds_load_2addr_b32 v[140:141], v215 offset0:212 offset1:232
	ds_load_2addr_b32 v[142:143], v221 offset0:24 offset1:44
	ds_load_2addr_b32 v[163:164], v221 offset0:92 offset1:180
	ds_load_2addr_b32 v[165:166], v221 offset0:228 offset1:248
	ds_load_2addr_b32 v[167:168], v239 offset0:40 offset1:60
	ds_load_2addr_b32 v[169:170], v212 offset0:80 offset1:96
	ds_load_2addr_b32 v[171:172], v212 offset0:148 offset1:164
	ds_load_2addr_b32 v[173:174], v212 offset0:216 offset1:232
	ds_load_2addr_b32 v[175:176], v40 offset0:28 offset1:44
	ds_load_2addr_b32 v[177:178], v40 offset0:164 offset1:180
	ds_load_2addr_b32 v[179:180], v40 offset0:232 offset1:248
	ds_load_2addr_b32 v[181:182], v215 offset0:44 offset1:60
	v_add_nc_u32_e32 v40, 0x1a00, v214
	ds_load_2addr_b32 v[215:216], v215 offset0:180 offset1:196
	ds_load_2addr_b32 v[217:218], v40 offset0:120 offset1:136
	;; [unrolled: 1-line block ×7, first 2 shown]
	s_waitcnt lgkmcnt(22)
	v_perm_b32 v134, v39, v144, 0x5040100
	s_waitcnt lgkmcnt(20)
	v_perm_b32 v135, v45, v43, 0x5040100
	;; [unrolled: 2-line block ×6, first 2 shown]
	s_delay_alu instid0(VALU_DEP_1)
	v_wmma_f16_16x16x16_f16 v[24:31], v[132:139], v[155:162], v[24:31]
	s_waitcnt lgkmcnt(12)
	v_perm_b32 v132, v171, v169, 0x5040100
	s_waitcnt lgkmcnt(10)
	v_perm_b32 v133, v175, v173, 0x5040100
	;; [unrolled: 2-line block ×8, first 2 shown]
	s_delay_alu instid0(VALU_DEP_1)
	v_wmma_f16_16x16x16_f16 v[16:23], v[132:139], v[155:162], v[16:23]
	v_perm_b32 v132, v172, v170, 0x5040100
	v_perm_b32 v133, v176, v174, 0x5040100
	;; [unrolled: 1-line block ×8, first 2 shown]
	s_delay_alu instid0(VALU_DEP_1)
	v_wmma_f16_16x16x16_f16 v[8:15], v[132:139], v[155:162], v[8:15]
	v_perm_b32 v132, v36, v34, 0x5040100
	v_perm_b32 v133, v38, v32, 0x5040100
	v_perm_b32 v134, v42, v50, 0x5040100
	v_perm_b32 v135, v46, v44, 0x5040100
	v_perm_b32 v136, v140, v51, 0x5040100
	v_perm_b32 v137, v163, v142, 0x5040100
	v_perm_b32 v138, v165, v52, 0x5040100
	s_waitcnt lgkmcnt(0)
	v_perm_b32 v139, v227, v167, 0x5040100
	s_delay_alu instid0(VALU_DEP_1)
	v_wmma_f16_16x16x16_f16 v[0:7], v[132:139], v[155:162], v[0:7]
	v_perm_b32 v132, v35, v41, 0x7060302
	v_perm_b32 v134, v39, v144, 0x7060302
	;; [unrolled: 1-line block ×8, first 2 shown]
	v_add_nc_u32_e32 v53, 0x2800, v214
	v_add_nc_u32_e32 v54, 0x2c00, v214
	s_delay_alu instid0(VALU_DEP_3)
	v_wmma_f16_16x16x16_f16 v[24:31], v[132:139], v[155:162], v[24:31] op_sel:[0,0,1]
	v_perm_b32 v134, v177, v145, 0x7060302
	v_perm_b32 v136, v215, v146, 0x7060302
	;; [unrolled: 1-line block ×8, first 2 shown]
	s_delay_alu instid0(VALU_DEP_1)
	v_wmma_f16_16x16x16_f16 v[16:23], v[132:139], v[155:162], v[16:23] op_sel:[0,0,1]
	v_perm_b32 v132, v172, v170, 0x7060302
	v_perm_b32 v133, v176, v174, 0x7060302
	;; [unrolled: 1-line block ×8, first 2 shown]
	s_delay_alu instid0(VALU_DEP_1)
	v_wmma_f16_16x16x16_f16 v[8:15], v[132:139], v[155:162], v[8:15] op_sel:[0,0,1]
	v_perm_b32 v133, v38, v32, 0x7060302
	v_sub_f32_e32 v32, v129, v188
	v_perm_b32 v132, v36, v34, 0x7060302
	v_perm_b32 v135, v46, v44, 0x7060302
	;; [unrolled: 1-line block ×4, first 2 shown]
	v_mul_f32_e32 v33, 0x3fb8aa3b, v32
	v_cmp_ngt_f32_e64 s4, 0xc2ce8ed0, v32
	v_perm_b32 v136, v140, v51, 0x7060302
	v_perm_b32 v138, v165, v52, 0x7060302
	v_perm_b32 v139, v227, v167, 0x7060302
	v_fma_f32 v34, 0x3fb8aa3b, v32, -v33
	v_rndne_f32_e32 v35, v33
	v_add_nc_u32_e32 v52, 0x2400, v214
	scratch_load_b32 v227, off, off         ; 4-byte Folded Reload
	v_wmma_f16_16x16x16_f16 v[0:7], v[132:139], v[155:162], v[0:7] op_sel:[0,0,1]
	v_dual_fmac_f32 v34, 0x32a5705f, v32 :: v_dual_sub_f32 v33, v33, v35
	v_cvt_i32_f32_e32 v35, v35
	s_delay_alu instid0(VALU_DEP_2) | instskip(NEXT) | instid1(VALU_DEP_1)
	v_dual_add_f32 v33, v33, v34 :: v_dual_sub_f32 v34, v128, v188
	v_exp_f32_e32 v33, v33
	s_delay_alu instid0(VALU_DEP_1) | instskip(SKIP_1) | instid1(VALU_DEP_2)
	v_mul_f32_e32 v36, 0x3fb8aa3b, v34
	v_cmp_ngt_f32_e64 s5, 0xc2ce8ed0, v34
	v_fma_f32 v37, 0x3fb8aa3b, v34, -v36
	v_rndne_f32_e32 v38, v36
	s_waitcnt_depctr 0xfff
	v_ldexp_f32 v33, v33, v35
	v_fmac_f32_e32 v37, 0x32a5705f, v34
	v_sub_f32_e32 v36, v36, v38
	v_cvt_i32_f32_e32 v35, v38
	s_delay_alu instid0(VALU_DEP_4) | instskip(SKIP_1) | instid1(VALU_DEP_4)
	v_cndmask_b32_e64 v33, 0, v33, s4
	v_cmp_nlt_f32_e64 s4, 0x42b17218, v32
	v_add_f32_e32 v36, v36, v37
	s_delay_alu instid0(VALU_DEP_2) | instskip(NEXT) | instid1(VALU_DEP_2)
	v_cndmask_b32_e64 v129, 0x7f800000, v33, s4
	v_exp_f32_e32 v36, v36
	s_waitcnt_depctr 0xfff
	v_ldexp_f32 v35, v36, v35
	s_delay_alu instid0(VALU_DEP_1)
	v_cndmask_b32_e64 v32, 0, v35, s5
	v_cmp_nlt_f32_e64 s5, 0x42b17218, v34
	ds_bpermute_b32 v34, v192, v129
	v_cndmask_b32_e64 v128, 0x7f800000, v32, s5
	ds_bpermute_b32 v32, v192, v128
	s_waitcnt lgkmcnt(0)
	v_cndmask_b32_e32 v33, v128, v32, vcc_lo
	v_cndmask_b32_e64 v32, v128, v32, s1
	s_delay_alu instid0(VALU_DEP_2) | instskip(NEXT) | instid1(VALU_DEP_2)
	v_cndmask_b32_e64 v36, v33, v129, s2
	v_cndmask_b32_e64 v35, v32, v129, s3
	v_cvt_f16_f32_e32 v32, v32
	v_cvt_f16_f32_e32 v33, v33
	s_delay_alu instid0(VALU_DEP_3) | instskip(SKIP_1) | instid1(VALU_DEP_3)
	v_cndmask_b32_e64 v35, v35, v34, s1
	v_cndmask_b32_e32 v34, v36, v34, vcc_lo
	v_pack_b32_f16 v132, v32, v33
	v_sub_f32_e32 v32, v125, v188
	s_delay_alu instid0(VALU_DEP_4) | instskip(NEXT) | instid1(VALU_DEP_4)
	v_cvt_f16_f32_e32 v36, v35
	v_cvt_f16_f32_e32 v37, v34
	s_delay_alu instid0(VALU_DEP_3) | instskip(SKIP_1) | instid1(VALU_DEP_3)
	v_mul_f32_e32 v33, 0x3fb8aa3b, v32
	v_cmp_ngt_f32_e64 s4, 0xc2ce8ed0, v32
	v_pack_b32_f16 v133, v36, v37
	s_delay_alu instid0(VALU_DEP_3) | instskip(SKIP_1) | instid1(VALU_DEP_1)
	v_fma_f32 v36, 0x3fb8aa3b, v32, -v33
	v_rndne_f32_e32 v37, v33
	v_dual_fmac_f32 v36, 0x32a5705f, v32 :: v_dual_sub_f32 v33, v33, v37
	s_delay_alu instid0(VALU_DEP_1) | instskip(SKIP_1) | instid1(VALU_DEP_2)
	v_add_f32_e32 v33, v33, v36
	v_cvt_i32_f32_e32 v36, v37
	v_exp_f32_e32 v33, v33
	s_waitcnt_depctr 0xfff
	v_ldexp_f32 v33, v33, v36
	s_delay_alu instid0(VALU_DEP_1) | instskip(SKIP_1) | instid1(VALU_DEP_1)
	v_cndmask_b32_e64 v33, 0, v33, s4
	v_cmp_nlt_f32_e64 s4, 0x42b17218, v32
	v_cndmask_b32_e64 v125, 0x7f800000, v33, s4
	s_delay_alu instid0(VALU_DEP_1) | instskip(SKIP_3) | instid1(VALU_DEP_1)
	v_cndmask_b32_e64 v32, v34, v125, s2
	ds_bpermute_b32 v34, v192, v125
	v_cndmask_b32_e64 v33, v35, v125, s3
	s_waitcnt lgkmcnt(0)
	v_cndmask_b32_e64 v33, v33, v34, s1
	v_cndmask_b32_e32 v32, v32, v34, vcc_lo
	s_delay_alu instid0(VALU_DEP_2) | instskip(NEXT) | instid1(VALU_DEP_2)
	v_cvt_f16_f32_e32 v34, v33
	v_cvt_f16_f32_e32 v35, v32
	s_delay_alu instid0(VALU_DEP_1) | instskip(SKIP_1) | instid1(VALU_DEP_1)
	v_pack_b32_f16 v134, v34, v35
	v_sub_f32_e32 v34, v123, v188
	v_mul_f32_e32 v35, 0x3fb8aa3b, v34
	v_cmp_ngt_f32_e64 s4, 0xc2ce8ed0, v34
	s_delay_alu instid0(VALU_DEP_2) | instskip(SKIP_1) | instid1(VALU_DEP_1)
	v_fma_f32 v36, 0x3fb8aa3b, v34, -v35
	v_rndne_f32_e32 v37, v35
	v_dual_fmac_f32 v36, 0x32a5705f, v34 :: v_dual_sub_f32 v35, v35, v37
	s_delay_alu instid0(VALU_DEP_1) | instskip(SKIP_1) | instid1(VALU_DEP_2)
	v_add_f32_e32 v35, v35, v36
	v_cvt_i32_f32_e32 v36, v37
	v_exp_f32_e32 v35, v35
	s_waitcnt_depctr 0xfff
	v_ldexp_f32 v35, v35, v36
	s_delay_alu instid0(VALU_DEP_1) | instskip(SKIP_1) | instid1(VALU_DEP_1)
	v_cndmask_b32_e64 v35, 0, v35, s4
	v_cmp_nlt_f32_e64 s4, 0x42b17218, v34
	v_cndmask_b32_e64 v123, 0x7f800000, v35, s4
	ds_bpermute_b32 v34, v192, v123
	v_cndmask_b32_e64 v32, v32, v123, s2
	v_cndmask_b32_e64 v33, v33, v123, s3
	s_waitcnt lgkmcnt(0)
	s_delay_alu instid0(VALU_DEP_1) | instskip(NEXT) | instid1(VALU_DEP_3)
	v_cndmask_b32_e64 v33, v33, v34, s1
	v_cndmask_b32_e32 v32, v32, v34, vcc_lo
	s_delay_alu instid0(VALU_DEP_2) | instskip(NEXT) | instid1(VALU_DEP_2)
	v_cvt_f16_f32_e32 v34, v33
	v_cvt_f16_f32_e32 v35, v32
	s_delay_alu instid0(VALU_DEP_1) | instskip(SKIP_1) | instid1(VALU_DEP_1)
	v_pack_b32_f16 v135, v34, v35
	v_sub_f32_e32 v34, v122, v188
	v_mul_f32_e32 v35, 0x3fb8aa3b, v34
	v_cmp_ngt_f32_e64 s4, 0xc2ce8ed0, v34
	s_delay_alu instid0(VALU_DEP_2) | instskip(SKIP_1) | instid1(VALU_DEP_1)
	v_fma_f32 v36, 0x3fb8aa3b, v34, -v35
	v_rndne_f32_e32 v37, v35
	v_dual_fmac_f32 v36, 0x32a5705f, v34 :: v_dual_sub_f32 v35, v35, v37
	s_delay_alu instid0(VALU_DEP_1) | instskip(SKIP_1) | instid1(VALU_DEP_2)
	v_add_f32_e32 v35, v35, v36
	v_cvt_i32_f32_e32 v36, v37
	v_exp_f32_e32 v35, v35
	s_waitcnt_depctr 0xfff
	v_ldexp_f32 v35, v35, v36
	s_delay_alu instid0(VALU_DEP_1) | instskip(SKIP_1) | instid1(VALU_DEP_1)
	v_cndmask_b32_e64 v35, 0, v35, s4
	v_cmp_nlt_f32_e64 s4, 0x42b17218, v34
	v_cndmask_b32_e64 v48, 0x7f800000, v35, s4
	ds_bpermute_b32 v34, v192, v48
	v_cndmask_b32_e64 v32, v32, v48, s2
	v_cndmask_b32_e64 v33, v33, v48, s3
	s_waitcnt lgkmcnt(0)
	s_delay_alu instid0(VALU_DEP_1) | instskip(NEXT) | instid1(VALU_DEP_3)
	;; [unrolled: 29-line block ×3, first 2 shown]
	v_cndmask_b32_e64 v33, v33, v34, s1
	v_cndmask_b32_e32 v32, v32, v34, vcc_lo
	s_delay_alu instid0(VALU_DEP_2) | instskip(NEXT) | instid1(VALU_DEP_2)
	v_cvt_f16_f32_e32 v34, v33
	v_cvt_f16_f32_e32 v35, v32
	s_delay_alu instid0(VALU_DEP_1) | instskip(SKIP_1) | instid1(VALU_DEP_1)
	v_pack_b32_f16 v137, v34, v35
	v_sub_f32_e32 v34, v118, v188
	v_mul_f32_e32 v35, 0x3fb8aa3b, v34
	v_cmp_ngt_f32_e64 s4, 0xc2ce8ed0, v34
	s_delay_alu instid0(VALU_DEP_2) | instskip(SKIP_1) | instid1(VALU_DEP_1)
	v_fma_f32 v36, 0x3fb8aa3b, v34, -v35
	v_rndne_f32_e32 v37, v35
	v_dual_fmac_f32 v36, 0x32a5705f, v34 :: v_dual_sub_f32 v35, v35, v37
	s_delay_alu instid0(VALU_DEP_1) | instskip(SKIP_1) | instid1(VALU_DEP_2)
	v_add_f32_e32 v35, v35, v36
	v_cvt_i32_f32_e32 v36, v37
	v_exp_f32_e32 v35, v35
	s_waitcnt_depctr 0xfff
	v_ldexp_f32 v35, v35, v36
	s_delay_alu instid0(VALU_DEP_1) | instskip(SKIP_1) | instid1(VALU_DEP_1)
	v_cndmask_b32_e64 v35, 0, v35, s4
	v_cmp_nlt_f32_e64 s4, 0x42b17218, v34
	v_cndmask_b32_e64 v50, 0x7f800000, v35, s4
	ds_bpermute_b32 v34, v192, v50
	v_cndmask_b32_e64 v33, v33, v50, s3
	v_cndmask_b32_e64 v32, v32, v50, s2
	s_waitcnt lgkmcnt(0)
	s_delay_alu instid0(VALU_DEP_2) | instskip(NEXT) | instid1(VALU_DEP_2)
	v_cndmask_b32_e64 v33, v33, v34, s1
	v_cndmask_b32_e32 v32, v32, v34, vcc_lo
	s_delay_alu instid0(VALU_DEP_2) | instskip(NEXT) | instid1(VALU_DEP_2)
	v_cvt_f16_f32_e32 v34, v33
	v_cvt_f16_f32_e32 v35, v32
	s_delay_alu instid0(VALU_DEP_1) | instskip(SKIP_1) | instid1(VALU_DEP_1)
	v_pack_b32_f16 v138, v34, v35
	v_dual_sub_f32 v34, v115, v188 :: v_dual_add_nc_u32 v115, 0x3000, v214
	v_mul_f32_e32 v35, 0x3fb8aa3b, v34
	v_cmp_ngt_f32_e64 s4, 0xc2ce8ed0, v34
	s_delay_alu instid0(VALU_DEP_2) | instskip(SKIP_1) | instid1(VALU_DEP_1)
	v_fma_f32 v36, 0x3fb8aa3b, v34, -v35
	v_rndne_f32_e32 v37, v35
	v_dual_fmac_f32 v36, 0x32a5705f, v34 :: v_dual_sub_f32 v35, v35, v37
	s_delay_alu instid0(VALU_DEP_1) | instskip(SKIP_1) | instid1(VALU_DEP_2)
	v_add_f32_e32 v35, v35, v36
	v_cvt_i32_f32_e32 v36, v37
	v_exp_f32_e32 v35, v35
	s_waitcnt_depctr 0xfff
	v_ldexp_f32 v35, v35, v36
	s_delay_alu instid0(VALU_DEP_1) | instskip(SKIP_1) | instid1(VALU_DEP_1)
	v_cndmask_b32_e64 v35, 0, v35, s4
	v_cmp_nlt_f32_e64 s4, 0x42b17218, v34
	v_cndmask_b32_e64 v51, 0x7f800000, v35, s4
	ds_bpermute_b32 v34, v192, v51
	v_cndmask_b32_e64 v33, v33, v51, s3
	v_cndmask_b32_e64 v32, v32, v51, s2
	s_waitcnt lgkmcnt(0)
	s_delay_alu instid0(VALU_DEP_2) | instskip(NEXT) | instid1(VALU_DEP_2)
	v_cndmask_b32_e64 v33, v33, v34, s1
	v_cndmask_b32_e32 v32, v32, v34, vcc_lo
	s_delay_alu instid0(VALU_DEP_2) | instskip(NEXT) | instid1(VALU_DEP_2)
	v_cvt_f16_f32_e32 v33, v33
	v_cvt_f16_f32_e32 v32, v32
	s_delay_alu instid0(VALU_DEP_1)
	v_pack_b32_f16 v139, v33, v32
	v_add_nc_u32_e32 v32, 0x2200, v214
	ds_load_2addr_b32 v[32:33], v32 offset0:116 offset1:136
	ds_load_2addr_b32 v[34:35], v239 offset0:176 offset1:196
	;; [unrolled: 1-line block ×17, first 2 shown]
	ds_load_b32 v52, v247 offset:1088
	ds_load_b32 v118, v247 offset:2176
	;; [unrolled: 1-line block ×5, first 2 shown]
	ds_load_2addr_b32 v[175:176], v53 offset0:40 offset1:56
	ds_load_2addr_b32 v[177:178], v53 offset0:108 offset1:124
	v_add_nc_u32_e32 v53, 0x2a00, v214
	ds_load_2addr_b32 v[179:180], v53 offset0:116 offset1:132
	ds_load_2addr_b32 v[181:182], v54 offset0:56 offset1:72
	;; [unrolled: 1-line block ×6, first 2 shown]
	s_waitcnt lgkmcnt(28)
	v_perm_b32 v155, v35, v228, 0x5040100
	s_waitcnt lgkmcnt(27)
	v_perm_b32 v156, v37, v33, 0x5040100
	;; [unrolled: 2-line block ×8, first 2 shown]
	s_delay_alu instid0(VALU_DEP_1)
	v_wmma_f16_16x16x16_f16 v[24:31], v[155:162], v[132:139], v[24:31]
	s_waitcnt lgkmcnt(16)
	v_perm_b32 v155, v167, v165, 0x5040100
	s_waitcnt lgkmcnt(14)
	v_perm_b32 v156, v171, v169, 0x5040100
	;; [unrolled: 2-line block ×8, first 2 shown]
	s_delay_alu instid0(VALU_DEP_1)
	v_wmma_f16_16x16x16_f16 v[16:23], v[155:162], v[132:139], v[16:23]
	v_perm_b32 v155, v168, v166, 0x5040100
	v_perm_b32 v156, v172, v170, 0x5040100
	;; [unrolled: 1-line block ×8, first 2 shown]
	s_delay_alu instid0(VALU_DEP_1)
	v_wmma_f16_16x16x16_f16 v[8:15], v[155:162], v[132:139], v[8:15]
	scratch_load_b32 v157, off, off offset:436 ; 4-byte Folded Reload
	v_perm_b32 v155, v32, v34, 0x5040100
	v_perm_b32 v156, v38, v36, 0x5040100
	;; [unrolled: 1-line block ×4, first 2 shown]
	s_waitcnt vmcnt(0)
	ds_load_b32 v53, v157 offset:1088
	ds_load_b32 v54, v157 offset:2176
	;; [unrolled: 1-line block ×3, first 2 shown]
	scratch_load_b32 v157, off, off offset:416 ; 4-byte Folded Reload
	s_waitcnt vmcnt(0)
	ds_load_b32 v212, v157 offset:1088
	ds_load_b32 v225, v157 offset:2176
	;; [unrolled: 1-line block ×3, first 2 shown]
	ds_load_2addr_b32 v[223:224], v115 offset0:172 offset1:192
	s_waitcnt lgkmcnt(6)
	v_perm_b32 v157, v40, v53, 0x5040100
	s_waitcnt lgkmcnt(5)
	v_perm_b32 v159, v46, v54, 0x5040100
	;; [unrolled: 2-line block ×4, first 2 shown]
	s_delay_alu instid0(VALU_DEP_1)
	v_wmma_f16_16x16x16_f16 v[0:7], v[155:162], v[132:139], v[0:7]
	v_perm_b32 v155, v35, v228, 0x7060302
	v_perm_b32 v157, v39, v55, 0x7060302
	;; [unrolled: 1-line block ×8, first 2 shown]
	v_add_nc_u32_e32 v202, 0x3800, v214
	s_delay_alu instid0(VALU_DEP_2)
	v_wmma_f16_16x16x16_f16 v[24:31], v[155:162], v[132:139], v[24:31] op_sel:[0,0,1]
	v_perm_b32 v157, v173, v52, 0x7060302
	v_perm_b32 v159, v179, v118, 0x7060302
	v_perm_b32 v161, v217, v120, 0x7060302
	v_perm_b32 v155, v167, v165, 0x7060302
	v_perm_b32 v156, v171, v169, 0x7060302
	v_perm_b32 v158, v177, v175, 0x7060302
	v_perm_b32 v160, v215, v181, 0x7060302
	v_perm_b32 v162, v221, v219, 0x7060302
	v_add_nc_u32_e32 v169, 0x3400, v214
	v_add_nc_u32_e32 v215, 0x4000, v214
	s_delay_alu instid0(VALU_DEP_3)
	v_wmma_f16_16x16x16_f16 v[16:23], v[155:162], v[132:139], v[16:23] op_sel:[0,0,1]
	v_perm_b32 v155, v168, v166, 0x7060302
	v_perm_b32 v156, v172, v170, 0x7060302
	;; [unrolled: 1-line block ×8, first 2 shown]
	s_delay_alu instid0(VALU_DEP_1)
	v_wmma_f16_16x16x16_f16 v[8:15], v[155:162], v[132:139], v[8:15] op_sel:[0,0,1]
	v_perm_b32 v155, v32, v34, 0x7060302
	v_sub_f32_e32 v32, v211, v188
	v_perm_b32 v156, v38, v36, 0x7060302
	v_perm_b32 v157, v40, v53, 0x7060302
	;; [unrolled: 1-line block ×4, first 2 shown]
	v_mul_f32_e32 v33, 0x3fb8aa3b, v32
	v_cmp_ngt_f32_e64 s4, 0xc2ce8ed0, v32
	v_perm_b32 v159, v46, v54, 0x7060302
	v_perm_b32 v161, v144, v208, 0x7060302
	;; [unrolled: 1-line block ×3, first 2 shown]
	v_fma_f32 v34, 0x3fb8aa3b, v32, -v33
	v_rndne_f32_e32 v35, v33
	v_add_nc_u32_e32 v46, 0x3e00, v214
	v_add_nc_u32_e32 v208, 0x3c00, v214
	v_wmma_f16_16x16x16_f16 v[0:7], v[155:162], v[132:139], v[0:7] op_sel:[0,0,1]
	s_delay_alu instid0(VALU_DEP_4) | instskip(SKIP_2) | instid1(VALU_DEP_3)
	v_dual_fmac_f32 v34, 0x32a5705f, v32 :: v_dual_sub_f32 v33, v33, v35
	v_cvt_i32_f32_e32 v35, v35
	v_add_nc_u32_e32 v40, 0x3a00, v214
	v_dual_add_f32 v33, v33, v34 :: v_dual_sub_f32 v34, v207, v188
	s_delay_alu instid0(VALU_DEP_1) | instskip(SKIP_1) | instid1(VALU_DEP_2)
	v_mul_f32_e32 v36, 0x3fb8aa3b, v34
	v_cmp_ngt_f32_e64 s5, 0xc2ce8ed0, v34
	v_fma_f32 v37, 0x3fb8aa3b, v34, -v36
	v_rndne_f32_e32 v38, v36
	s_delay_alu instid0(VALU_DEP_2) | instskip(NEXT) | instid1(VALU_DEP_2)
	v_fmac_f32_e32 v37, 0x32a5705f, v34
	v_sub_f32_e32 v36, v36, v38
	s_delay_alu instid0(VALU_DEP_1) | instskip(SKIP_1) | instid1(VALU_DEP_1)
	v_add_f32_e32 v36, v36, v37
	v_exp_f32_e32 v33, v33
	v_exp_f32_e32 v36, v36
	s_waitcnt_depctr 0xfff
	v_ldexp_f32 v33, v33, v35
	v_cvt_i32_f32_e32 v35, v38
	v_add_nc_u32_e32 v38, 0x3600, v214
	s_delay_alu instid0(VALU_DEP_3) | instskip(NEXT) | instid1(VALU_DEP_3)
	v_cndmask_b32_e64 v33, 0, v33, s4
	v_ldexp_f32 v35, v36, v35
	v_cmp_nlt_f32_e64 s4, 0x42b17218, v32
	s_delay_alu instid0(VALU_DEP_2) | instskip(SKIP_1) | instid1(VALU_DEP_3)
	v_cndmask_b32_e64 v32, 0, v35, s5
	v_cmp_nlt_f32_e64 s5, 0x42b17218, v34
	v_cndmask_b32_e64 v53, 0x7f800000, v33, s4
	s_delay_alu instid0(VALU_DEP_2)
	v_cndmask_b32_e64 v52, 0x7f800000, v32, s5
	ds_bpermute_b32 v34, v192, v53
	ds_bpermute_b32 v32, v192, v52
	s_waitcnt lgkmcnt(0)
	v_cndmask_b32_e32 v33, v52, v32, vcc_lo
	v_cndmask_b32_e64 v32, v52, v32, s1
	s_delay_alu instid0(VALU_DEP_2) | instskip(NEXT) | instid1(VALU_DEP_2)
	v_cndmask_b32_e64 v36, v33, v53, s2
	v_cndmask_b32_e64 v35, v32, v53, s3
	v_cvt_f16_f32_e32 v32, v32
	v_cvt_f16_f32_e32 v33, v33
	s_delay_alu instid0(VALU_DEP_3) | instskip(SKIP_1) | instid1(VALU_DEP_3)
	v_cndmask_b32_e64 v35, v35, v34, s1
	v_cndmask_b32_e32 v34, v36, v34, vcc_lo
	v_pack_b32_f16 v132, v32, v33
	v_sub_f32_e32 v32, v183, v188
	s_delay_alu instid0(VALU_DEP_4) | instskip(NEXT) | instid1(VALU_DEP_4)
	v_cvt_f16_f32_e32 v36, v35
	v_cvt_f16_f32_e32 v37, v34
	s_delay_alu instid0(VALU_DEP_3) | instskip(SKIP_1) | instid1(VALU_DEP_3)
	v_mul_f32_e32 v33, 0x3fb8aa3b, v32
	v_cmp_ngt_f32_e64 s4, 0xc2ce8ed0, v32
	v_pack_b32_f16 v133, v36, v37
	s_delay_alu instid0(VALU_DEP_3) | instskip(SKIP_1) | instid1(VALU_DEP_1)
	v_fma_f32 v36, 0x3fb8aa3b, v32, -v33
	v_rndne_f32_e32 v37, v33
	v_dual_fmac_f32 v36, 0x32a5705f, v32 :: v_dual_sub_f32 v33, v33, v37
	s_delay_alu instid0(VALU_DEP_1) | instskip(SKIP_1) | instid1(VALU_DEP_2)
	v_add_f32_e32 v33, v33, v36
	v_cvt_i32_f32_e32 v36, v37
	v_exp_f32_e32 v33, v33
	s_waitcnt_depctr 0xfff
	v_ldexp_f32 v33, v33, v36
	s_delay_alu instid0(VALU_DEP_1) | instskip(SKIP_1) | instid1(VALU_DEP_1)
	v_cndmask_b32_e64 v33, 0, v33, s4
	v_cmp_nlt_f32_e64 s4, 0x42b17218, v32
	v_cndmask_b32_e64 v54, 0x7f800000, v33, s4
	s_delay_alu instid0(VALU_DEP_1) | instskip(SKIP_4) | instid1(VALU_DEP_2)
	v_cndmask_b32_e64 v33, v34, v54, s2
	ds_bpermute_b32 v34, v192, v54
	v_cndmask_b32_e64 v32, v35, v54, s3
	s_waitcnt lgkmcnt(0)
	v_cndmask_b32_e32 v33, v33, v34, vcc_lo
	v_cndmask_b32_e64 v32, v32, v34, s1
	s_delay_alu instid0(VALU_DEP_2) | instskip(NEXT) | instid1(VALU_DEP_2)
	v_cvt_f16_f32_e32 v35, v33
	v_cvt_f16_f32_e32 v34, v32
	s_delay_alu instid0(VALU_DEP_1) | instskip(SKIP_1) | instid1(VALU_DEP_1)
	v_pack_b32_f16 v134, v34, v35
	v_sub_f32_e32 v34, v210, v188
	v_mul_f32_e32 v35, 0x3fb8aa3b, v34
	v_cmp_ngt_f32_e64 s4, 0xc2ce8ed0, v34
	s_delay_alu instid0(VALU_DEP_2) | instskip(SKIP_1) | instid1(VALU_DEP_1)
	v_fma_f32 v36, 0x3fb8aa3b, v34, -v35
	v_rndne_f32_e32 v37, v35
	v_dual_fmac_f32 v36, 0x32a5705f, v34 :: v_dual_sub_f32 v35, v35, v37
	s_delay_alu instid0(VALU_DEP_1) | instskip(SKIP_1) | instid1(VALU_DEP_2)
	v_add_f32_e32 v35, v35, v36
	v_cvt_i32_f32_e32 v36, v37
	v_exp_f32_e32 v35, v35
	s_waitcnt_depctr 0xfff
	v_ldexp_f32 v35, v35, v36
	s_delay_alu instid0(VALU_DEP_1) | instskip(SKIP_1) | instid1(VALU_DEP_1)
	v_cndmask_b32_e64 v35, 0, v35, s4
	v_cmp_nlt_f32_e64 s4, 0x42b17218, v34
	v_cndmask_b32_e64 v55, 0x7f800000, v35, s4
	ds_bpermute_b32 v34, v192, v55
	v_cndmask_b32_e64 v32, v32, v55, s3
	v_cndmask_b32_e64 v33, v33, v55, s2
	s_waitcnt lgkmcnt(0)
	s_delay_alu instid0(VALU_DEP_2) | instskip(NEXT) | instid1(VALU_DEP_2)
	v_cndmask_b32_e64 v32, v32, v34, s1
	v_cndmask_b32_e32 v33, v33, v34, vcc_lo
	s_delay_alu instid0(VALU_DEP_2) | instskip(NEXT) | instid1(VALU_DEP_2)
	v_cvt_f16_f32_e32 v34, v32
	v_cvt_f16_f32_e32 v35, v33
	s_delay_alu instid0(VALU_DEP_1) | instskip(SKIP_1) | instid1(VALU_DEP_1)
	v_pack_b32_f16 v135, v34, v35
	v_sub_f32_e32 v34, v190, v188
	v_mul_f32_e32 v35, 0x3fb8aa3b, v34
	v_cmp_ngt_f32_e64 s4, 0xc2ce8ed0, v34
	s_delay_alu instid0(VALU_DEP_2) | instskip(SKIP_1) | instid1(VALU_DEP_1)
	v_fma_f32 v36, 0x3fb8aa3b, v34, -v35
	v_rndne_f32_e32 v37, v35
	v_dual_fmac_f32 v36, 0x32a5705f, v34 :: v_dual_sub_f32 v35, v35, v37
	s_delay_alu instid0(VALU_DEP_1) | instskip(SKIP_1) | instid1(VALU_DEP_2)
	v_add_f32_e32 v35, v35, v36
	v_cvt_i32_f32_e32 v36, v37
	v_exp_f32_e32 v35, v35
	s_waitcnt_depctr 0xfff
	v_ldexp_f32 v35, v35, v36
	s_delay_alu instid0(VALU_DEP_1) | instskip(SKIP_1) | instid1(VALU_DEP_1)
	v_cndmask_b32_e64 v35, 0, v35, s4
	v_cmp_nlt_f32_e64 s4, 0x42b17218, v34
	v_cndmask_b32_e64 v110, 0x7f800000, v35, s4
	ds_bpermute_b32 v34, v192, v110
	v_cndmask_b32_e64 v32, v32, v110, s3
	v_cndmask_b32_e64 v33, v33, v110, s2
	s_waitcnt lgkmcnt(0)
	s_delay_alu instid0(VALU_DEP_2) | instskip(NEXT) | instid1(VALU_DEP_2)
	v_cndmask_b32_e64 v32, v32, v34, s1
	v_cndmask_b32_e32 v33, v33, v34, vcc_lo
	;; [unrolled: 29-line block ×3, first 2 shown]
	s_delay_alu instid0(VALU_DEP_2) | instskip(NEXT) | instid1(VALU_DEP_2)
	v_cvt_f16_f32_e32 v34, v32
	v_cvt_f16_f32_e32 v35, v33
	s_delay_alu instid0(VALU_DEP_1) | instskip(SKIP_3) | instid1(VALU_DEP_1)
	v_pack_b32_f16 v137, v34, v35
	scratch_load_b32 v34, off, off offset:148 ; 4-byte Folded Reload
	s_waitcnt vmcnt(0)
	v_sub_f32_e32 v34, v34, v188
	v_mul_f32_e32 v35, 0x3fb8aa3b, v34
	v_cmp_ngt_f32_e64 s4, 0xc2ce8ed0, v34
	s_delay_alu instid0(VALU_DEP_2) | instskip(SKIP_1) | instid1(VALU_DEP_1)
	v_fma_f32 v36, 0x3fb8aa3b, v34, -v35
	v_rndne_f32_e32 v37, v35
	v_dual_fmac_f32 v36, 0x32a5705f, v34 :: v_dual_sub_f32 v35, v35, v37
	s_delay_alu instid0(VALU_DEP_1) | instskip(SKIP_1) | instid1(VALU_DEP_2)
	v_add_f32_e32 v35, v35, v36
	v_cvt_i32_f32_e32 v36, v37
	v_exp_f32_e32 v35, v35
	s_waitcnt_depctr 0xfff
	v_ldexp_f32 v35, v35, v36
	s_delay_alu instid0(VALU_DEP_1) | instskip(SKIP_1) | instid1(VALU_DEP_1)
	v_cndmask_b32_e64 v35, 0, v35, s4
	v_cmp_nlt_f32_e64 s4, 0x42b17218, v34
	v_cndmask_b32_e64 v120, 0x7f800000, v35, s4
	ds_bpermute_b32 v34, v192, v120
	v_cndmask_b32_e64 v32, v32, v120, s3
	v_cndmask_b32_e64 v33, v33, v120, s2
	s_waitcnt lgkmcnt(0)
	s_delay_alu instid0(VALU_DEP_2) | instskip(NEXT) | instid1(VALU_DEP_2)
	v_cndmask_b32_e64 v32, v32, v34, s1
	v_cndmask_b32_e32 v33, v33, v34, vcc_lo
	s_delay_alu instid0(VALU_DEP_2) | instskip(NEXT) | instid1(VALU_DEP_2)
	v_cvt_f16_f32_e32 v34, v32
	v_cvt_f16_f32_e32 v35, v33
	s_delay_alu instid0(VALU_DEP_1) | instskip(SKIP_3) | instid1(VALU_DEP_1)
	v_pack_b32_f16 v138, v34, v35
	scratch_load_b32 v34, off, off offset:144 ; 4-byte Folded Reload
	s_waitcnt vmcnt(0)
	v_sub_f32_e32 v34, v34, v188
	v_mul_f32_e32 v35, 0x3fb8aa3b, v34
	v_cmp_ngt_f32_e64 s4, 0xc2ce8ed0, v34
	s_delay_alu instid0(VALU_DEP_2) | instskip(SKIP_1) | instid1(VALU_DEP_1)
	v_fma_f32 v36, 0x3fb8aa3b, v34, -v35
	v_rndne_f32_e32 v37, v35
	v_dual_fmac_f32 v36, 0x32a5705f, v34 :: v_dual_sub_f32 v35, v35, v37
	s_delay_alu instid0(VALU_DEP_1) | instskip(SKIP_1) | instid1(VALU_DEP_2)
	v_add_f32_e32 v35, v35, v36
	v_cvt_i32_f32_e32 v36, v37
	v_exp_f32_e32 v35, v35
	s_waitcnt_depctr 0xfff
	v_ldexp_f32 v35, v35, v36
	s_delay_alu instid0(VALU_DEP_1) | instskip(SKIP_1) | instid1(VALU_DEP_1)
	v_cndmask_b32_e64 v35, 0, v35, s4
	v_cmp_nlt_f32_e64 s4, 0x42b17218, v34
	v_cndmask_b32_e64 v183, 0x7f800000, v35, s4
	ds_bpermute_b32 v34, v192, v183
	v_cndmask_b32_e64 v32, v32, v183, s3
	v_cndmask_b32_e64 v33, v33, v183, s2
	s_waitcnt lgkmcnt(0)
	s_delay_alu instid0(VALU_DEP_2) | instskip(NEXT) | instid1(VALU_DEP_2)
	v_cndmask_b32_e64 v32, v32, v34, s1
	v_cndmask_b32_e32 v33, v33, v34, vcc_lo
	v_add_co_u32 v147, vcc_lo, 0x80, v147
	v_add_co_ci_u32_e32 v148, vcc_lo, 0, v148, vcc_lo
	s_delay_alu instid0(VALU_DEP_4) | instskip(NEXT) | instid1(VALU_DEP_4)
	v_cvt_f16_f32_e32 v32, v32
	v_cvt_f16_f32_e32 v33, v33
	v_add_co_u32 v149, vcc_lo, 0x80, v149
	v_add_co_ci_u32_e32 v150, vcc_lo, 0, v150, vcc_lo
	s_delay_alu instid0(VALU_DEP_3)
	v_pack_b32_f16 v139, v32, v33
	v_add_nc_u32_e32 v32, 0x3200, v214
	ds_load_2addr_b32 v[32:33], v32 offset0:112 offset1:132
	ds_load_2addr_b32 v[34:35], v169 offset0:52 offset1:72
	;; [unrolled: 1-line block ×4, first 2 shown]
	ds_load_b32 v190, v227 offset:2176
	ds_load_2addr_b32 v[40:41], v40 offset0:76 offset1:164
	ds_load_2addr_b32 v[42:43], v202 offset0:136 offset1:156
	;; [unrolled: 1-line block ×21, first 2 shown]
	ds_load_b32 v115, v250 offset:2176
	s_clause 0x1
	scratch_load_b32 v202, off, off offset:20
	scratch_load_b32 v208, off, off offset:60
	v_add_co_u32 v151, vcc_lo, 0x80, v151
	s_waitcnt lgkmcnt(26)
	v_perm_b32 v155, v33, v224, 0x5040100
	s_waitcnt lgkmcnt(24)
	v_perm_b32 v156, v37, v35, 0x5040100
	s_waitcnt lgkmcnt(23)
	v_perm_b32 v157, v39, v111, 0x5040100
	s_waitcnt lgkmcnt(21)
	v_perm_b32 v159, v41, v190, 0x5040100
	s_waitcnt lgkmcnt(19)
	v_perm_b32 v158, v43, v45, 0x5040100
	s_waitcnt lgkmcnt(18)
	v_perm_b32 v161, v47, v204, 0x5040100
	s_waitcnt lgkmcnt(16)
	v_perm_b32 v160, v109, v141, 0x5040100
	s_waitcnt lgkmcnt(14)
	v_perm_b32 v162, v145, v143, 0x5040100
	v_add_co_ci_u32_e32 v152, vcc_lo, 0, v152, vcc_lo
	v_add_co_u32 v153, vcc_lo, 0x80, v153
	s_delay_alu instid0(VALU_DEP_3)
	v_wmma_f16_16x16x16_f16 v[24:31], v[155:162], v[132:139], v[24:31]
	s_waitcnt lgkmcnt(12)
	v_perm_b32 v155, v165, v163, 0x5040100
	s_waitcnt lgkmcnt(10)
	v_perm_b32 v156, v169, v167, 0x5040100
	;; [unrolled: 2-line block ×8, first 2 shown]
	v_add_co_ci_u32_e32 v154, vcc_lo, 0, v154, vcc_lo
	v_add_co_u32 v196, vcc_lo, v196, s68
	s_delay_alu instid0(VALU_DEP_3)
	v_wmma_f16_16x16x16_f16 v[16:23], v[155:162], v[132:139], v[16:23]
	v_perm_b32 v155, v166, v164, 0x5040100
	v_perm_b32 v156, v170, v168, 0x5040100
	;; [unrolled: 1-line block ×6, first 2 shown]
	s_waitcnt lgkmcnt(0)
	v_perm_b32 v159, v211, v115, 0x5040100
	v_perm_b32 v161, v216, v106, 0x5040100
	v_add_co_ci_u32_e32 v203, vcc_lo, s69, v203, vcc_lo
	v_add_co_u32 v233, vcc_lo, v233, s68
	s_delay_alu instid0(VALU_DEP_3)
	v_wmma_f16_16x16x16_f16 v[8:15], v[155:162], v[132:139], v[8:15]
	v_perm_b32 v155, v34, v32, 0x5040100
	v_perm_b32 v156, v38, v36, 0x5040100
	;; [unrolled: 1-line block ×8, first 2 shown]
	v_add_co_ci_u32_e32 v254, vcc_lo, s69, v254, vcc_lo
	v_add_co_u32 v252, vcc_lo, v252, s68
	s_delay_alu instid0(VALU_DEP_3)
	v_wmma_f16_16x16x16_f16 v[0:7], v[155:162], v[132:139], v[0:7]
	v_perm_b32 v155, v33, v224, 0x7060302
	v_perm_b32 v157, v39, v111, 0x7060302
	;; [unrolled: 1-line block ×8, first 2 shown]
	v_add_co_ci_u32_e32 v205, vcc_lo, s69, v205, vcc_lo
	v_add_co_u32 v200, vcc_lo, v200, s68
	s_delay_alu instid0(VALU_DEP_3)
	v_wmma_f16_16x16x16_f16 v[24:31], v[155:162], v[132:139], v[24:31] op_sel:[0,0,1]
	v_perm_b32 v157, v206, v122, 0x7060302
	v_perm_b32 v159, v210, v146, 0x7060302
	v_perm_b32 v161, v215, v104, 0x7060302
	v_perm_b32 v155, v165, v163, 0x7060302
	v_perm_b32 v156, v169, v167, 0x7060302
	v_perm_b32 v158, v173, v171, 0x7060302
	v_perm_b32 v160, v177, v175, 0x7060302
	v_perm_b32 v162, v181, v179, 0x7060302
	s_clause 0x1
	scratch_load_b32 v215, off, off offset:108
	scratch_load_b32 v167, off, off offset:24
	v_add_co_ci_u32_e32 v230, vcc_lo, s69, v230, vcc_lo
	v_wmma_f16_16x16x16_f16 v[16:23], v[155:162], v[132:139], v[16:23] op_sel:[0,0,1]
	v_perm_b32 v155, v166, v164, 0x7060302
	v_perm_b32 v156, v170, v168, 0x7060302
	scratch_load_b32 v168, off, off offset:380 ; 4-byte Folded Reload
	v_perm_b32 v158, v174, v172, 0x7060302
	v_perm_b32 v160, v178, v176, 0x7060302
	;; [unrolled: 1-line block ×6, first 2 shown]
	scratch_load_b32 v216, off, off offset:384 ; 4-byte Folded Reload
	v_add_co_u32 v249, vcc_lo, v249, s68
	v_add_co_ci_u32_e32 v113, vcc_lo, s69, v113, vcc_lo
	v_wmma_f16_16x16x16_f16 v[8:15], v[155:162], v[132:139], v[8:15] op_sel:[0,0,1]
	v_perm_b32 v157, v44, v212, 0x7060302
	s_clause 0x1
	scratch_load_b32 v212, off, off offset:100
	scratch_load_b32 v204, off, off offset:28
	v_perm_b32 v155, v34, v32, 0x7060302
	v_add_f32_e32 v32, v116, v117
	v_add_co_u32 v114, vcc_lo, v114, s68
	v_add_co_ci_u32_e32 v197, vcc_lo, s69, v197, vcc_lo
	s_delay_alu instid0(VALU_DEP_3) | instskip(SKIP_2) | instid1(VALU_DEP_3)
	v_add_f32_e32 v32, v119, v32
	v_add_co_u32 v198, vcc_lo, v198, s68
	v_add_co_ci_u32_e32 v199, vcc_lo, s69, v199, vcc_lo
	v_add_f32_e32 v32, v121, v32
	v_add_co_u32 v251, vcc_lo, v251, s68
	v_add_co_ci_u32_e32 v253, vcc_lo, s69, v253, vcc_lo
	s_delay_alu instid0(VALU_DEP_3) | instskip(SKIP_2) | instid1(VALU_DEP_3)
	v_add_f32_e32 v32, v124, v32
	v_add_co_u32 v237, vcc_lo, v237, s70
	v_add_co_ci_u32_e32 v236, vcc_lo, s71, v236, vcc_lo
	;; [unrolled: 7-line block ×4, first 2 shown]
	v_add_f32_e32 v32, v97, v32
	v_add_co_u32 v187, vcc_lo, v187, s70
	v_add_co_ci_u32_e32 v189, vcc_lo, s71, v189, vcc_lo
	s_delay_alu instid0(VALU_DEP_3)
	v_add_f32_e32 v32, v98, v32
	v_perm_b32 v156, v38, v36, 0x7060302
	v_perm_b32 v158, v40, v42, 0x7060302
	;; [unrolled: 1-line block ×4, first 2 shown]
	v_add_f32_e32 v32, v99, v32
	v_perm_b32 v161, v142, v226, 0x7060302
	v_perm_b32 v162, v107, v144, 0x7060302
	v_mov_b32_e32 v33, v186
	v_add_co_u32 v112, vcc_lo, v112, s70
	v_add_f32_e32 v32, v100, v32
	v_add_co_ci_u32_e32 v234, vcc_lo, s71, v234, vcc_lo
	v_add_co_u32 v193, vcc_lo, v193, s70
	s_delay_alu instid0(VALU_DEP_3) | instskip(SKIP_3) | instid1(VALU_DEP_3)
	v_add_f32_e32 v32, v101, v32
	v_wmma_f16_16x16x16_f16 v[0:7], v[155:162], v[132:139], v[0:7] op_sel:[0,0,1]
	v_add_co_ci_u32_e32 v191, vcc_lo, s71, v191, vcc_lo
	s_waitcnt vmcnt(0)
	v_add_f32_e32 v32, v102, v32
	s_barrier
	buffer_gl0_inv
	v_add_f32_e32 v32, v103, v32
	s_delay_alu instid0(VALU_DEP_1) | instskip(NEXT) | instid1(VALU_DEP_1)
	v_add_f32_e32 v32, v128, v32
	v_add_f32_e32 v32, v129, v32
	s_delay_alu instid0(VALU_DEP_1) | instskip(NEXT) | instid1(VALU_DEP_1)
	v_add_f32_e32 v32, v125, v32
	v_add_f32_e32 v32, v123, v32
	s_delay_alu instid0(VALU_DEP_1) | instskip(NEXT) | instid1(VALU_DEP_1)
	v_add_f32_e32 v32, v48, v32
	v_add_f32_e32 v32, v49, v32
	v_dual_mov_b32 v42, v72 :: v_dual_mov_b32 v43, v73
	v_dual_mov_b32 v44, v74 :: v_dual_mov_b32 v45, v75
	s_delay_alu instid0(VALU_DEP_3) | instskip(SKIP_2) | instid1(VALU_DEP_3)
	v_add_f32_e32 v32, v50, v32
	v_dual_mov_b32 v46, v76 :: v_dual_mov_b32 v47, v77
	v_dual_mov_b32 v48, v78 :: v_dual_mov_b32 v49, v79
	v_add_f32_e32 v32, v51, v32
	v_dual_mov_b32 v72, v88 :: v_dual_mov_b32 v73, v89
	v_dual_mov_b32 v74, v90 :: v_dual_mov_b32 v75, v91
	s_delay_alu instid0(VALU_DEP_3) | instskip(SKIP_2) | instid1(VALU_DEP_3)
	v_add_f32_e32 v32, v52, v32
	v_dual_mov_b32 v76, v92 :: v_dual_mov_b32 v77, v93
	v_dual_mov_b32 v78, v94 :: v_dual_mov_b32 v79, v95
	v_dual_add_f32 v32, v53, v32 :: v_dual_mov_b32 v95, v87
	v_dual_mov_b32 v94, v86 :: v_dual_mov_b32 v93, v85
	v_mov_b32_e32 v92, v84
	s_delay_alu instid0(VALU_DEP_3) | instskip(SKIP_2) | instid1(VALU_DEP_3)
	v_dual_add_f32 v32, v54, v32 :: v_dual_mov_b32 v91, v83
	v_dual_mov_b32 v90, v82 :: v_dual_mov_b32 v89, v81
	v_mov_b32_e32 v88, v80
	v_add_f32_e32 v32, v55, v32
	s_delay_alu instid0(VALU_DEP_1) | instskip(NEXT) | instid1(VALU_DEP_1)
	v_add_f32_e32 v32, v110, v32
	v_add_f32_e32 v32, v118, v32
	s_delay_alu instid0(VALU_DEP_1) | instskip(NEXT) | instid1(VALU_DEP_1)
	v_add_f32_e32 v32, v120, v32
	v_add_f32_e32 v186, v183, v32
	s_delay_alu instid0(VALU_DEP_1)
	v_fmac_f32_e32 v186, v33, v131
	s_cbranch_scc1 .LBB24_255
; %bb.256:                              ;   in Loop: Header=BB24_14 Depth=1
	scratch_load_b32 v32, off, off offset:748 ; 4-byte Folded Reload
	s_lshl_b32 s64, s46, 6
	v_dual_mov_b32 v166, 0 :: v_dual_mov_b32 v157, 32
	s_mov_b64 s[2:3], s[64:65]
	s_waitcnt vmcnt(0)
	v_mad_i64_i32 v[102:103], null, v32, s48, 0
	scratch_load_b32 v32, off, off offset:744 ; 4-byte Folded Reload
	s_waitcnt vmcnt(0)
	v_mad_i64_i32 v[100:101], null, v32, s48, 0
	scratch_load_b32 v32, off, off offset:740 ; 4-byte Folded Reload
	s_waitcnt vmcnt(0)
	v_mad_i64_i32 v[98:99], null, v32, s48, 0
	s_clause 0x1f
	scratch_load_b32 v32, off, off offset:736
	scratch_load_b32 v169, off, off offset:660
	;; [unrolled: 1-line block ×4, first 2 shown]
	scratch_load_b64 v[162:163], off, off offset:676
	scratch_load_b32 v163, off, off offset:684
	scratch_load_b32 v164, off, off offset:688
	;; [unrolled: 1-line block ×15, first 2 shown]
	scratch_load_b64 v[197:198], off, off offset:152
	scratch_load_b64 v[206:207], off, off offset:160
	;; [unrolled: 1-line block ×12, first 2 shown]
	s_clause 0x18
	scratch_load_b64 v[240:241], off, off offset:248
	scratch_load_b64 v[242:243], off, off offset:256
	;; [unrolled: 1-line block ×4, first 2 shown]
	scratch_load_b32 v246, off, off offset:280
	scratch_load_b32 v249, off, off offset:388
	;; [unrolled: 1-line block ×15, first 2 shown]
	scratch_load_b128 v[50:53], off, off offset:316
	scratch_load_b128 v[54:57], off, off offset:332
	;; [unrolled: 1-line block ×6, first 2 shown]
	s_waitcnt vmcnt(56)
	v_mad_i64_i32 v[96:97], null, v32, s48, 0
	s_waitcnt vmcnt(54)
	v_add_nc_u32_e32 v170, 60, v193
	v_add_nc_u32_e32 v171, 56, v193
	;; [unrolled: 1-line block ×5, first 2 shown]
	v_and_b32_e32 v175, 15, v193
	v_add_nc_u32_e32 v176, 40, v193
	v_add_nc_u32_e32 v177, 36, v193
	;; [unrolled: 1-line block ×10, first 2 shown]
.LBB24_257:                             ;   in Loop: Header=BB24_14 Depth=1
	s_waitcnt vmcnt(49)
	v_dual_mov_b32 v135, s43 :: v_dual_lshlrev_b32 v34, 1, v165
	s_lshl_b64 s[4:5], s[2:3], 1
	v_lshlrev_b64 v[32:33], 1, v[102:103]
	s_add_u32 s1, s99, s4
	s_addc_u32 s4, s100, s5
	v_add_co_u32 v40, s1, s1, v34
	s_delay_alu instid0(VALU_DEP_1) | instskip(SKIP_1) | instid1(VALU_DEP_3)
	v_add_co_ci_u32_e64 v41, null, s4, 0, s1
	v_lshlrev_b64 v[34:35], 1, v[100:101]
	v_add_co_u32 v32, vcc_lo, v40, v32
	v_lshlrev_b64 v[36:37], 1, v[98:99]
	s_delay_alu instid0(VALU_DEP_4) | instskip(NEXT) | instid1(VALU_DEP_4)
	v_add_co_ci_u32_e32 v33, vcc_lo, v41, v33, vcc_lo
	v_add_co_u32 v34, vcc_lo, v40, v34
	v_lshlrev_b64 v[38:39], 1, v[96:97]
	v_add_co_ci_u32_e32 v35, vcc_lo, v41, v35, vcc_lo
	v_add_co_u32 v36, vcc_lo, v40, v36
	v_add_co_ci_u32_e32 v37, vcc_lo, v41, v37, vcc_lo
	s_delay_alu instid0(VALU_DEP_4)
	v_add_co_u32 v38, vcc_lo, v40, v38
	v_add_co_ci_u32_e32 v39, vcc_lo, v41, v39, vcc_lo
	s_clause 0x3
	global_load_b32 v32, v[32:33], off
	global_load_b32 v33, v[34:35], off
	;; [unrolled: 1-line block ×4, first 2 shown]
	v_dual_mov_b32 v133, s41 :: v_dual_add_nc_u32 v36, v204, v167
	s_mul_i32 s1, s2, s13
	s_mul_hi_u32 s4, s2, s12
	s_mul_i32 s5, s3, s12
	s_waitcnt vmcnt(19)
	v_dual_mov_b32 v152, v113 :: v_dual_add_nc_u32 v37, 0x4400, v36
	s_add_i32 s1, s4, s1
	s_mul_i32 s4, s2, s12
	s_add_i32 s5, s1, s5
	s_waitcnt vmcnt(18)
	v_dual_mov_b32 v154, v114 :: v_dual_mov_b32 v129, s37
	s_lshl_b64 s[4:5], s[4:5], 2
	v_mov_b32_e32 v134, s42
	s_add_u32 s1, s97, s4
	s_addc_u32 s4, s98, s5
	v_mov_b32_e32 v132, s40
	v_mov_b32_e32 v130, s38
	;; [unrolled: 1-line block ×3, first 2 shown]
	s_mul_i32 s3, s3, s10
	v_dual_mov_b32 v131, s39 :: v_dual_add_nc_u32 v158, 0x2000, v214
	s_waitcnt vmcnt(2)
	ds_store_2addr_b32 v37, v32, v33 offset1:144
	v_add_nc_u32_e32 v32, 0x4800, v36
	s_waitcnt vmcnt(0)
	ds_store_2addr_b32 v32, v34, v35 offset0:32 offset1:176
	v_add_co_u32 v32, vcc_lo, s1, v228
	v_add_co_ci_u32_e32 v33, vcc_lo, s4, v229, vcc_lo
	s_delay_alu instid0(VALU_DEP_2) | instskip(NEXT) | instid1(VALU_DEP_2)
	v_add_co_u32 v32, vcc_lo, v32, v246
	v_add_co_ci_u32_e32 v33, vcc_lo, 0, v33, vcc_lo
	v_add_co_u32 v34, vcc_lo, s1, v233
	v_add_co_ci_u32_e32 v35, vcc_lo, s4, v234, vcc_lo
	s_delay_alu instid0(VALU_DEP_2) | instskip(NEXT) | instid1(VALU_DEP_2)
	v_add_co_u32 v34, vcc_lo, v34, v246
	v_add_co_ci_u32_e32 v35, vcc_lo, 0, v35, vcc_lo
	s_clause 0x1
	global_load_b128 v[96:99], v[32:33], off
	global_load_b128 v[100:103], v[34:35], off
	v_add_co_u32 v32, vcc_lo, s1, v236
	v_add_co_ci_u32_e32 v33, vcc_lo, s4, v237, vcc_lo
	s_waitcnt vmcnt(1)
	ds_store_b128 v208, v[96:99]
	s_waitcnt vmcnt(0)
	ds_store_b128 v194, v[100:103]
	v_add_co_u32 v32, vcc_lo, v32, v246
	v_add_co_ci_u32_e32 v33, vcc_lo, 0, v33, vcc_lo
	v_add_co_u32 v34, vcc_lo, s1, v238
	v_add_co_ci_u32_e32 v35, vcc_lo, s4, v239, vcc_lo
	s_delay_alu instid0(VALU_DEP_2) | instskip(NEXT) | instid1(VALU_DEP_2)
	v_add_co_u32 v34, vcc_lo, v34, v246
	v_add_co_ci_u32_e32 v35, vcc_lo, 0, v35, vcc_lo
	s_clause 0x1
	global_load_b128 v[96:99], v[32:33], off
	global_load_b128 v[100:103], v[34:35], off
	v_add_co_u32 v32, vcc_lo, s1, v240
	v_add_co_ci_u32_e32 v33, vcc_lo, s4, v241, vcc_lo
	s_waitcnt vmcnt(1)
	ds_store_b128 v191, v[96:99]
	s_waitcnt vmcnt(0)
	ds_store_b128 v251, v[100:103]
	v_add_co_u32 v32, vcc_lo, v32, v246
	v_add_co_ci_u32_e32 v33, vcc_lo, 0, v33, vcc_lo
	v_add_co_u32 v34, vcc_lo, s1, v242
	v_add_co_ci_u32_e32 v35, vcc_lo, s4, v243, vcc_lo
	s_delay_alu instid0(VALU_DEP_2) | instskip(NEXT) | instid1(VALU_DEP_2)
	v_add_co_u32 v34, vcc_lo, v34, v246
	v_add_co_ci_u32_e32 v35, vcc_lo, 0, v35, vcc_lo
	s_clause 0x1
	global_load_b128 v[96:99], v[32:33], off
	global_load_b128 v[100:103], v[34:35], off
	scratch_load_b32 v153, off, off offset:12 ; 4-byte Folded Reload
	v_add_co_u32 v32, vcc_lo, s1, v244
	v_add_co_ci_u32_e32 v33, vcc_lo, s4, v245, vcc_lo
	s_delay_alu instid0(VALU_DEP_2) | instskip(NEXT) | instid1(VALU_DEP_2)
	v_add_co_u32 v32, vcc_lo, v32, v246
	v_add_co_ci_u32_e32 v33, vcc_lo, 0, v33, vcc_lo
	v_add_co_u32 v34, vcc_lo, s1, v253
	v_add_co_ci_u32_e32 v35, vcc_lo, s4, v254, vcc_lo
	s_mul_i32 s1, s2, s11
	s_delay_alu instid0(VALU_DEP_2) | instskip(NEXT) | instid1(VALU_DEP_2)
	v_add_co_u32 v34, vcc_lo, v34, v246
	v_add_co_ci_u32_e32 v35, vcc_lo, 0, v35, vcc_lo
	v_cmp_lt_i32_e32 vcc_lo, v156, v157
	s_mul_hi_u32 s4, s2, s10
	s_mul_i32 s2, s2, s10
	s_add_i32 s1, s4, s1
	s_delay_alu instid0(SALU_CYCLE_1) | instskip(NEXT) | instid1(SALU_CYCLE_1)
	s_add_i32 s3, s1, s3
	s_lshl_b64 s[2:3], s[2:3], 2
	s_delay_alu instid0(SALU_CYCLE_1)
	s_add_u32 s1, s95, s2
	s_addc_u32 s2, s96, s3
	v_cmp_eq_u32_e64 s3, 1, v202
	s_cmp_eq_u64 s[72:73], 0
	s_waitcnt vmcnt(2)
	ds_store_b128 v113, v[96:99]
	s_waitcnt vmcnt(0)
	ds_store_b128 v153, v[100:103]
	s_clause 0x1
	global_load_b128 v[96:99], v[32:33], off
	global_load_b128 v[100:103], v[34:35], off
	scratch_load_b32 v155, off, off offset:8 ; 4-byte Folded Reload
	s_waitcnt vmcnt(2)
	ds_store_b128 v114, v[96:99]
	s_waitcnt vmcnt(0)
	ds_store_b128 v155, v[100:103]
	s_waitcnt lgkmcnt(0)
	s_waitcnt_vscnt null, 0x0
	s_barrier
	buffer_gl0_inv
	ds_load_b128 v[96:99], v209
	ds_load_b128 v[100:103], v209 offset:16
	ds_load_b128 v[104:107], v209 offset:4352
	;; [unrolled: 1-line block ×7, first 2 shown]
	s_waitcnt lgkmcnt(6)
	v_wmma_f32_16x16x16_f16 v[136:143], v[96:103], v[88:95], v[128:135]
	s_waitcnt lgkmcnt(4)
	v_wmma_f32_16x16x16_f16 v[144:151], v[104:111], v[88:95], v[128:135]
	s_waitcnt lgkmcnt(2)
	v_wmma_f32_16x16x16_f16 v[104:111], v[112:119], v[88:95], v[128:135]
	s_waitcnt lgkmcnt(0)
	v_wmma_f32_16x16x16_f16 v[96:103], v[120:127], v[88:95], v[128:135]
	ds_load_b128 v[88:91], v209 offset:32
	ds_load_b128 v[92:95], v209 offset:48
	v_add_nc_u32_e32 v128, 0x1000, v214
	s_waitcnt lgkmcnt(0)
	v_wmma_f32_16x16x16_f16 v[136:143], v[88:95], v[80:87], v[136:143]
	ds_load_b128 v[88:91], v209 offset:4384
	ds_load_b128 v[92:95], v209 offset:4400
	s_waitcnt lgkmcnt(0)
	v_wmma_f32_16x16x16_f16 v[144:151], v[88:95], v[80:87], v[144:151]
	ds_load_b128 v[88:91], v209 offset:8736
	ds_load_b128 v[92:95], v209 offset:8752
	;; [unrolled: 4-line block ×20, first 2 shown]
	s_clause 0x1
	scratch_load_b128 v[32:35], off, off offset:460
	scratch_load_b128 v[36:39], off, off offset:476
	s_waitcnt vmcnt(0) lgkmcnt(0)
	v_wmma_f32_16x16x16_f16 v[136:143], v[48:55], v[32:39], v[136:143]
	ds_load_b128 v[48:51], v209 offset:4544
	ds_load_b128 v[52:55], v209 offset:4560
	s_waitcnt lgkmcnt(0)
	v_wmma_f32_16x16x16_f16 v[144:151], v[48:55], v[32:39], v[144:151]
	ds_load_b128 v[48:51], v209 offset:8896
	ds_load_b128 v[52:55], v209 offset:8912
	s_waitcnt lgkmcnt(0)
	;; [unrolled: 4-line block ×3, first 2 shown]
	v_wmma_f32_16x16x16_f16 v[96:103], v[48:55], v[32:39], v[96:103]
	ds_load_b128 v[32:35], v209 offset:224
	ds_load_b128 v[36:39], v209 offset:240
	s_clause 0x1
	scratch_load_b128 v[40:43], off, off offset:492
	scratch_load_b128 v[44:47], off, off offset:508
	s_waitcnt vmcnt(0) lgkmcnt(0)
	v_wmma_f32_16x16x16_f16 v[136:143], v[32:39], v[40:47], v[136:143]
	ds_load_b128 v[32:35], v209 offset:4576
	ds_load_b128 v[36:39], v209 offset:4592
	s_waitcnt lgkmcnt(0)
	v_wmma_f32_16x16x16_f16 v[144:151], v[32:39], v[40:47], v[144:151]
	ds_load_b128 v[32:35], v209 offset:8928
	ds_load_b128 v[36:39], v209 offset:8944
	s_waitcnt lgkmcnt(0)
	;; [unrolled: 4-line block ×3, first 2 shown]
	s_barrier
	buffer_gl0_inv
	v_wmma_f32_16x16x16_f16 v[96:103], v[32:39], v[40:47], v[96:103]
	ds_load_u16 v32, v213
	ds_load_u16 v33, v213 offset:4
	ds_load_u16 v34, v213 offset:8
	;; [unrolled: 1-line block ×15, first 2 shown]
	s_waitcnt lgkmcnt(15)
	v_cvt_f32_f16_e32 v32, v32
	s_waitcnt lgkmcnt(7)
	v_cvt_f32_f16_e32 v40, v40
	v_cvt_f32_f16_e32 v34, v34
	s_waitcnt lgkmcnt(6)
	v_cvt_f32_f16_e32 v41, v41
	;; [unrolled: 3-line block ×3, first 2 shown]
	s_waitcnt lgkmcnt(4)
	v_cvt_f32_f16_e32 v43, v43
	s_waitcnt lgkmcnt(3)
	v_cvt_f32_f16_e32 v44, v44
	;; [unrolled: 2-line block ×5, first 2 shown]
	v_dual_add_f32 v32, v136, v32 :: v_dual_add_f32 v113, v145, v41
	v_dual_add_f32 v34, v138, v34 :: v_dual_add_f32 v93, v148, v44
	;; [unrolled: 1-line block ×4, first 2 shown]
	v_add_f32_e32 v94, v147, v43
	v_add_f32_e32 v92, v149, v45
	;; [unrolled: 1-line block ×3, first 2 shown]
	ds_load_u16 v40, v213 offset:64
	ds_load_u16 v41, v213 offset:68
	;; [unrolled: 1-line block ×8, first 2 shown]
	v_cvt_f32_f16_e32 v38, v38
	v_cvt_f32_f16_e32 v33, v33
	;; [unrolled: 1-line block ×5, first 2 shown]
	s_delay_alu instid0(VALU_DEP_4) | instskip(NEXT) | instid1(VALU_DEP_4)
	v_add_f32_e32 v33, v137, v33
	v_add_f32_e32 v35, v139, v35
	s_delay_alu instid0(VALU_DEP_4) | instskip(NEXT) | instid1(VALU_DEP_4)
	v_add_f32_e32 v37, v141, v37
	v_add_f32_e32 v39, v143, v39
	s_waitcnt lgkmcnt(7)
	v_cvt_f32_f16_e32 v40, v40
	s_waitcnt lgkmcnt(6)
	v_cvt_f32_f16_e32 v41, v41
	;; [unrolled: 2-line block ×8, first 2 shown]
	v_dual_add_f32 v38, v142, v38 :: v_dual_add_f32 v89, v105, v41
	v_dual_add_f32 v88, v104, v40 :: v_dual_add_f32 v87, v106, v42
	v_dual_add_f32 v86, v107, v43 :: v_dual_add_f32 v85, v108, v44
	v_dual_add_f32 v84, v109, v45 :: v_dual_add_f32 v83, v110, v46
	v_add_f32_e32 v82, v111, v47
	ds_load_u16 v40, v213 offset:96
	ds_load_u16 v41, v213 offset:100
	;; [unrolled: 1-line block ×8, first 2 shown]
	v_add_nc_u32_e32 v106, 0xc00, v214
	v_add_nc_u32_e32 v105, 0x800, v214
	s_waitcnt lgkmcnt(7)
	v_cvt_f32_f16_e32 v40, v40
	s_waitcnt lgkmcnt(6)
	v_cvt_f32_f16_e32 v41, v41
	;; [unrolled: 2-line block ×5, first 2 shown]
	v_dual_add_f32 v80, v96, v40 :: v_dual_add_f32 v81, v97, v41
	v_dual_add_f32 v41, 0x40051340, v33 :: v_dual_add_f32 v40, 0x40051340, v32
	s_waitcnt lgkmcnt(2)
	v_cvt_f32_f16_e32 v45, v45
	v_dual_add_f32 v79, v98, v42 :: v_dual_add_f32 v78, v99, v43
	v_add_f32_e32 v42, 0x40051340, v35
	v_max3_f32 v40, v188, v40, v41
	v_add_f32_e32 v41, 0x40051340, v34
	s_waitcnt lgkmcnt(0)
	v_cvt_f32_f16_e32 v47, v47
	v_add_f32_e32 v76, v101, v45
	v_cvt_f32_f16_e32 v46, v46
	v_add_f32_e32 v77, v100, v44
	v_max3_f32 v40, v40, v41, v42
	v_dual_add_f32 v41, 0x40051340, v36 :: v_dual_add_f32 v42, 0x40051340, v37
	s_delay_alu instid0(VALU_DEP_4) | instskip(NEXT) | instid1(VALU_DEP_2)
	v_dual_add_f32 v74, v103, v47 :: v_dual_add_f32 v75, v102, v46
	v_max3_f32 v40, v40, v41, v42
	v_dual_add_f32 v41, 0x40051340, v38 :: v_dual_add_f32 v42, 0x40051340, v39
	s_delay_alu instid0(VALU_DEP_1) | instskip(SKIP_1) | instid1(VALU_DEP_1)
	v_max3_f32 v40, v40, v41, v42
	v_dual_add_f32 v41, 0x40051340, v112 :: v_dual_add_f32 v42, 0x40051340, v113
	v_max3_f32 v40, v40, v41, v42
	v_dual_add_f32 v41, 0x40051340, v95 :: v_dual_add_f32 v42, 0x40051340, v94
	s_delay_alu instid0(VALU_DEP_1) | instskip(SKIP_1) | instid1(VALU_DEP_1)
	v_max3_f32 v40, v40, v41, v42
	;; [unrolled: 5-line block ×6, first 2 shown]
	v_dual_add_f32 v41, 0x40051340, v77 :: v_dual_add_f32 v42, 0x40051340, v76
	v_max3_f32 v40, v40, v41, v42
	v_dual_add_f32 v41, 0x40051340, v75 :: v_dual_add_f32 v42, 0x40051340, v74
	s_delay_alu instid0(VALU_DEP_1) | instskip(SKIP_3) | instid1(VALU_DEP_1)
	v_max3_f32 v40, v40, v41, v42
	scratch_load_b32 v41, off, off offset:448 ; 4-byte Folded Reload
	s_waitcnt vmcnt(0)
	v_cndmask_b32_e32 v41, v41, v156, vcc_lo
	v_lshlrev_b32_e32 v73, 2, v41
	ds_bpermute_b32 v41, v73, v40
	s_waitcnt lgkmcnt(0)
	v_max_f32_e32 v41, v41, v41
	s_delay_alu instid0(VALU_DEP_1) | instskip(NEXT) | instid1(VALU_DEP_1)
	v_max_f32_e32 v72, v40, v41
	v_sub_f32_e32 v40, v188, v72
	s_delay_alu instid0(VALU_DEP_1) | instskip(SKIP_3) | instid1(VALU_DEP_4)
	v_mul_f32_e32 v41, 0x3fb8aa3b, v40
	v_sub_f32_e32 v33, v33, v72
	v_sub_f32_e32 v32, v32, v72
	;; [unrolled: 1-line block ×3, first 2 shown]
	v_fma_f32 v42, 0x3fb8aa3b, v40, -v41
	v_rndne_f32_e32 v43, v41
	s_delay_alu instid0(VALU_DEP_1) | instskip(NEXT) | instid1(VALU_DEP_1)
	v_dual_fmac_f32 v42, 0x32a5705f, v40 :: v_dual_sub_f32 v41, v41, v43
	v_add_f32_e32 v41, v41, v42
	v_cvt_i32_f32_e32 v42, v43
	v_cmp_ngt_f32_e32 vcc_lo, 0xc2ce8ed0, v40
	s_delay_alu instid0(VALU_DEP_3) | instskip(SKIP_2) | instid1(VALU_DEP_1)
	v_exp_f32_e32 v41, v41
	s_waitcnt_depctr 0xfff
	v_ldexp_f32 v41, v41, v42
	v_cndmask_b32_e32 v41, 0, v41, vcc_lo
	v_cmp_nlt_f32_e32 vcc_lo, 0x42b17218, v40
	s_delay_alu instid0(VALU_DEP_2) | instskip(SKIP_1) | instid1(VALU_DEP_2)
	v_cndmask_b32_e32 v41, 0x7f800000, v41, vcc_lo
	v_cmp_le_f32_e32 vcc_lo, 0xc1a00000, v40
	v_cndmask_b32_e32 v96, 0, v41, vcc_lo
	s_delay_alu instid0(VALU_DEP_1) | instskip(NEXT) | instid1(VALU_DEP_1)
	v_cvt_f16_f32_e32 v40, v96
	v_pk_mul_f16 v24, v40, v24 op_sel_hi:[0,1]
	v_pk_mul_f16 v25, v40, v25 op_sel_hi:[0,1]
	;; [unrolled: 1-line block ×32, first 2 shown]
	v_add_co_u32 v40, vcc_lo, s1, v197
	v_add_co_ci_u32_e32 v41, vcc_lo, s2, v198, vcc_lo
	s_delay_alu instid0(VALU_DEP_2) | instskip(NEXT) | instid1(VALU_DEP_2)
	v_add_co_u32 v40, vcc_lo, v40, v246
	v_add_co_ci_u32_e32 v41, vcc_lo, 0, v41, vcc_lo
	v_add_co_u32 v42, vcc_lo, s1, v206
	v_add_co_ci_u32_e32 v43, vcc_lo, s2, v207, vcc_lo
	s_delay_alu instid0(VALU_DEP_2) | instskip(NEXT) | instid1(VALU_DEP_2)
	v_add_co_u32 v44, vcc_lo, v42, v246
	v_add_co_ci_u32_e32 v45, vcc_lo, 0, v43, vcc_lo
	s_clause 0x1
	global_load_b128 v[40:43], v[40:41], off
	global_load_b128 v[44:47], v[44:45], off
	s_waitcnt vmcnt(1)
	ds_store_b128 v208, v[40:43]
	s_waitcnt vmcnt(0)
	ds_store_b128 v194, v[44:47]
	v_add_co_u32 v40, vcc_lo, s1, v210
	v_add_co_ci_u32_e32 v41, vcc_lo, s2, v211, vcc_lo
	s_delay_alu instid0(VALU_DEP_2) | instskip(NEXT) | instid1(VALU_DEP_2)
	v_add_co_u32 v40, vcc_lo, v40, v246
	v_add_co_ci_u32_e32 v41, vcc_lo, 0, v41, vcc_lo
	v_add_co_u32 v42, vcc_lo, s1, v217
	v_add_co_ci_u32_e32 v43, vcc_lo, s2, v218, vcc_lo
	s_delay_alu instid0(VALU_DEP_2) | instskip(NEXT) | instid1(VALU_DEP_2)
	v_add_co_u32 v44, vcc_lo, v42, v246
	v_add_co_ci_u32_e32 v45, vcc_lo, 0, v43, vcc_lo
	s_clause 0x1
	global_load_b128 v[40:43], v[40:41], off
	global_load_b128 v[44:47], v[44:45], off
	s_waitcnt vmcnt(1)
	ds_store_b128 v191, v[40:43]
	s_waitcnt vmcnt(0)
	ds_store_b128 v251, v[44:47]
	;; [unrolled: 17-line block ×3, first 2 shown]
	v_add_co_u32 v40, vcc_lo, s1, v223
	v_add_co_ci_u32_e32 v41, vcc_lo, s2, v224, vcc_lo
	s_delay_alu instid0(VALU_DEP_2) | instskip(NEXT) | instid1(VALU_DEP_2)
	v_add_co_u32 v40, vcc_lo, v40, v246
	v_add_co_ci_u32_e32 v41, vcc_lo, 0, v41, vcc_lo
	v_add_co_u32 v42, vcc_lo, s1, v225
	v_add_co_ci_u32_e32 v43, vcc_lo, s2, v226, vcc_lo
	v_cmp_eq_u32_e64 s2, 0, v202
	s_delay_alu instid0(VALU_DEP_3) | instskip(NEXT) | instid1(VALU_DEP_3)
	v_add_co_u32 v44, vcc_lo, v42, v246
	v_add_co_ci_u32_e32 v45, vcc_lo, 0, v43, vcc_lo
	s_clause 0x1
	global_load_b128 v[40:43], v[40:41], off
	global_load_b128 v[44:47], v[44:45], off
	s_waitcnt vmcnt(1)
	ds_store_b128 v154, v[40:43]
	s_waitcnt vmcnt(0)
	ds_store_b128 v155, v[44:47]
	v_mul_f32_e32 v40, 0x3fb8aa3b, v33
	v_cmp_ngt_f32_e32 vcc_lo, 0xc2ce8ed0, v33
	s_waitcnt lgkmcnt(0)
	s_barrier
	buffer_gl0_inv
	v_fma_f32 v41, 0x3fb8aa3b, v33, -v40
	v_rndne_f32_e32 v42, v40
	ds_load_2addr_b32 v[58:59], v214 offset1:16
	ds_load_2addr_b32 v[60:61], v214 offset0:68 offset1:84
	ds_load_2addr_b32 v[62:63], v214 offset0:136 offset1:152
	;; [unrolled: 1-line block ×3, first 2 shown]
	v_dual_fmac_f32 v41, 0x32a5705f, v33 :: v_dual_sub_f32 v40, v40, v42
	v_cvt_i32_f32_e32 v42, v42
	s_delay_alu instid0(VALU_DEP_2) | instskip(NEXT) | instid1(VALU_DEP_1)
	v_dual_add_f32 v40, v40, v41 :: v_dual_mul_f32 v41, 0x3fb8aa3b, v32
	v_fma_f32 v43, 0x3fb8aa3b, v32, -v41
	v_rndne_f32_e32 v44, v41
	s_waitcnt lgkmcnt(2)
	v_perm_b32 v114, v60, v58, 0x5040100
	s_delay_alu instid0(VALU_DEP_3)
	v_fmac_f32_e32 v43, 0x32a5705f, v32
	v_exp_f32_e32 v40, v40
	s_waitcnt lgkmcnt(0)
	v_perm_b32 v115, v64, v62, 0x5040100
	s_waitcnt_depctr 0xfff
	v_ldexp_f32 v40, v40, v42
	v_cvt_i32_f32_e32 v42, v44
	s_delay_alu instid0(VALU_DEP_2) | instskip(SKIP_1) | instid1(VALU_DEP_2)
	v_cndmask_b32_e32 v40, 0, v40, vcc_lo
	v_cmp_nlt_f32_e32 vcc_lo, 0x42b17218, v33
	v_cndmask_b32_e32 v98, 0x7f800000, v40, vcc_lo
	v_cmp_eq_u32_e32 vcc_lo, 1, v249
	v_sub_f32_e32 v35, v35, v72
	v_sub_f32_e32 v34, v34, v72
	v_sub_f32_e32 v41, v41, v44
	ds_bpermute_b32 v40, v73, v98
	v_sub_f32_e32 v37, v37, v72
	v_sub_f32_e32 v36, v36, v72
	v_cmp_ngt_f32_e64 s4, 0xc2ce8ed0, v34
	v_add_f32_e32 v41, v41, v43
	v_cmp_ngt_f32_e64 s1, 0xc2ce8ed0, v32
	v_sub_f32_e32 v39, v39, v72
	s_delay_alu instid0(VALU_DEP_3) | instskip(SKIP_2) | instid1(VALU_DEP_1)
	v_exp_f32_e32 v41, v41
	s_waitcnt_depctr 0xfff
	v_ldexp_f32 v41, v41, v42
	v_cndmask_b32_e64 v33, 0, v41, s1
	v_cmp_nlt_f32_e64 s1, 0x42b17218, v32
	s_delay_alu instid0(VALU_DEP_1)
	v_cndmask_b32_e64 v97, 0x7f800000, v33, s1
	v_cmp_eq_u32_e64 s1, 0, v249
	ds_bpermute_b32 v32, v73, v97
	s_waitcnt lgkmcnt(0)
	v_cndmask_b32_e64 v33, v97, v32, s1
	v_cndmask_b32_e32 v32, v97, v32, vcc_lo
	s_delay_alu instid0(VALU_DEP_2) | instskip(NEXT) | instid1(VALU_DEP_2)
	v_cndmask_b32_e64 v41, v33, v98, s2
	v_cndmask_b32_e64 v42, v32, v98, s3
	v_cvt_f16_f32_e32 v33, v33
	v_cvt_f16_f32_e32 v32, v32
	s_delay_alu instid0(VALU_DEP_4) | instskip(NEXT) | instid1(VALU_DEP_4)
	v_cndmask_b32_e64 v41, v41, v40, s1
	v_cndmask_b32_e32 v40, v42, v40, vcc_lo
	s_delay_alu instid0(VALU_DEP_3) | instskip(NEXT) | instid1(VALU_DEP_3)
	v_pack_b32_f16 v32, v33, v32
	v_cvt_f16_f32_e32 v42, v41
	s_delay_alu instid0(VALU_DEP_3) | instskip(NEXT) | instid1(VALU_DEP_1)
	v_cvt_f16_f32_e32 v43, v40
	v_pack_b32_f16 v33, v42, v43
	v_mul_f32_e32 v42, 0x3fb8aa3b, v34
	s_delay_alu instid0(VALU_DEP_1) | instskip(SKIP_1) | instid1(VALU_DEP_1)
	v_fma_f32 v43, 0x3fb8aa3b, v34, -v42
	v_rndne_f32_e32 v44, v42
	v_dual_fmac_f32 v43, 0x32a5705f, v34 :: v_dual_sub_f32 v42, v42, v44
	s_delay_alu instid0(VALU_DEP_1) | instskip(SKIP_1) | instid1(VALU_DEP_2)
	v_add_f32_e32 v42, v42, v43
	v_cvt_i32_f32_e32 v43, v44
	v_exp_f32_e32 v42, v42
	s_waitcnt_depctr 0xfff
	v_ldexp_f32 v42, v42, v43
	s_delay_alu instid0(VALU_DEP_1) | instskip(SKIP_1) | instid1(VALU_DEP_1)
	v_cndmask_b32_e64 v42, 0, v42, s4
	v_cmp_nlt_f32_e64 s4, 0x42b17218, v34
	v_cndmask_b32_e64 v99, 0x7f800000, v42, s4
	v_cmp_ngt_f32_e64 s4, 0xc2ce8ed0, v35
	s_delay_alu instid0(VALU_DEP_2) | instskip(SKIP_4) | instid1(VALU_DEP_2)
	v_cndmask_b32_e64 v34, v41, v99, s2
	ds_bpermute_b32 v41, v73, v99
	v_cndmask_b32_e64 v40, v40, v99, s3
	s_waitcnt lgkmcnt(0)
	v_cndmask_b32_e64 v42, v34, v41, s1
	v_cndmask_b32_e32 v40, v40, v41, vcc_lo
	s_delay_alu instid0(VALU_DEP_2) | instskip(NEXT) | instid1(VALU_DEP_2)
	v_cvt_f16_f32_e32 v34, v42
	v_cvt_f16_f32_e32 v41, v40
	s_delay_alu instid0(VALU_DEP_1) | instskip(SKIP_1) | instid1(VALU_DEP_1)
	v_pack_b32_f16 v34, v34, v41
	v_mul_f32_e32 v41, 0x3fb8aa3b, v35
	v_fma_f32 v43, 0x3fb8aa3b, v35, -v41
	v_rndne_f32_e32 v44, v41
	s_delay_alu instid0(VALU_DEP_2) | instskip(NEXT) | instid1(VALU_DEP_2)
	v_fmac_f32_e32 v43, 0x32a5705f, v35
	v_sub_f32_e32 v41, v41, v44
	s_delay_alu instid0(VALU_DEP_1) | instskip(SKIP_1) | instid1(VALU_DEP_2)
	v_add_f32_e32 v41, v41, v43
	v_cvt_i32_f32_e32 v43, v44
	v_exp_f32_e32 v41, v41
	s_waitcnt_depctr 0xfff
	v_ldexp_f32 v41, v41, v43
	s_delay_alu instid0(VALU_DEP_1) | instskip(SKIP_1) | instid1(VALU_DEP_1)
	v_cndmask_b32_e64 v41, 0, v41, s4
	v_cmp_nlt_f32_e64 s4, 0x42b17218, v35
	v_cndmask_b32_e64 v100, 0x7f800000, v41, s4
	v_cmp_ngt_f32_e64 s4, 0xc2ce8ed0, v36
	ds_bpermute_b32 v41, v73, v100
	v_cndmask_b32_e64 v35, v42, v100, s2
	v_cndmask_b32_e64 v40, v40, v100, s3
	s_waitcnt lgkmcnt(0)
	s_delay_alu instid0(VALU_DEP_2) | instskip(NEXT) | instid1(VALU_DEP_2)
	v_cndmask_b32_e64 v42, v35, v41, s1
	v_cndmask_b32_e32 v40, v40, v41, vcc_lo
	s_delay_alu instid0(VALU_DEP_2) | instskip(NEXT) | instid1(VALU_DEP_2)
	v_cvt_f16_f32_e32 v35, v42
	v_cvt_f16_f32_e32 v41, v40
	s_delay_alu instid0(VALU_DEP_1) | instskip(SKIP_1) | instid1(VALU_DEP_1)
	v_pack_b32_f16 v35, v35, v41
	v_mul_f32_e32 v41, 0x3fb8aa3b, v36
	v_fma_f32 v43, 0x3fb8aa3b, v36, -v41
	v_rndne_f32_e32 v44, v41
	s_delay_alu instid0(VALU_DEP_2) | instskip(NEXT) | instid1(VALU_DEP_2)
	v_fmac_f32_e32 v43, 0x32a5705f, v36
	v_sub_f32_e32 v41, v41, v44
	s_delay_alu instid0(VALU_DEP_1) | instskip(SKIP_1) | instid1(VALU_DEP_2)
	v_add_f32_e32 v41, v41, v43
	v_cvt_i32_f32_e32 v43, v44
	v_exp_f32_e32 v41, v41
	s_waitcnt_depctr 0xfff
	v_ldexp_f32 v41, v41, v43
	s_delay_alu instid0(VALU_DEP_1) | instskip(SKIP_1) | instid1(VALU_DEP_1)
	v_cndmask_b32_e64 v41, 0, v41, s4
	v_cmp_nlt_f32_e64 s4, 0x42b17218, v36
	v_cndmask_b32_e64 v101, 0x7f800000, v41, s4
	v_cmp_ngt_f32_e64 s4, 0xc2ce8ed0, v37
	ds_bpermute_b32 v41, v73, v101
	v_cndmask_b32_e64 v36, v42, v101, s2
	v_cndmask_b32_e64 v40, v40, v101, s3
	s_waitcnt lgkmcnt(0)
	s_delay_alu instid0(VALU_DEP_2) | instskip(NEXT) | instid1(VALU_DEP_2)
	;; [unrolled: 29-line block ×4, first 2 shown]
	v_cndmask_b32_e64 v42, v38, v41, s1
	v_cndmask_b32_e32 v40, v40, v41, vcc_lo
	s_delay_alu instid0(VALU_DEP_2) | instskip(NEXT) | instid1(VALU_DEP_2)
	v_cvt_f16_f32_e32 v38, v42
	v_cvt_f16_f32_e32 v41, v40
	s_delay_alu instid0(VALU_DEP_1) | instskip(SKIP_1) | instid1(VALU_DEP_1)
	v_pack_b32_f16 v38, v38, v41
	v_mul_f32_e32 v41, 0x3fb8aa3b, v39
	v_fma_f32 v43, 0x3fb8aa3b, v39, -v41
	v_rndne_f32_e32 v44, v41
	s_delay_alu instid0(VALU_DEP_2) | instskip(NEXT) | instid1(VALU_DEP_2)
	v_fmac_f32_e32 v43, 0x32a5705f, v39
	v_sub_f32_e32 v41, v41, v44
	s_delay_alu instid0(VALU_DEP_1) | instskip(SKIP_1) | instid1(VALU_DEP_2)
	v_add_f32_e32 v41, v41, v43
	v_cvt_i32_f32_e32 v43, v44
	v_exp_f32_e32 v41, v41
	s_waitcnt_depctr 0xfff
	v_ldexp_f32 v41, v41, v43
	v_add_nc_u32_e32 v43, 0x400, v214
	s_delay_alu instid0(VALU_DEP_2) | instskip(SKIP_1) | instid1(VALU_DEP_1)
	v_cndmask_b32_e64 v41, 0, v41, s4
	v_cmp_nlt_f32_e64 s4, 0x42b17218, v39
	v_cndmask_b32_e64 v104, 0x7f800000, v41, s4
	ds_bpermute_b32 v41, v73, v104
	v_cndmask_b32_e64 v39, v42, v104, s2
	v_cndmask_b32_e64 v40, v40, v104, s3
	s_waitcnt lgkmcnt(0)
	s_delay_alu instid0(VALU_DEP_2) | instskip(NEXT) | instid1(VALU_DEP_2)
	v_cndmask_b32_e64 v39, v39, v41, s1
	v_cndmask_b32_e32 v40, v40, v41, vcc_lo
	s_delay_alu instid0(VALU_DEP_2) | instskip(NEXT) | instid1(VALU_DEP_2)
	v_cvt_f16_f32_e32 v39, v39
	v_cvt_f16_f32_e32 v40, v40
	s_delay_alu instid0(VALU_DEP_1)
	v_pack_b32_f16 v39, v39, v40
	ds_load_2addr_b32 v[40:41], v43 offset0:16 offset1:84
	ds_load_2addr_b32 v[48:49], v43 offset0:132 offset1:152
	;; [unrolled: 1-line block ×10, first 2 shown]
	s_waitcnt lgkmcnt(9)
	v_perm_b32 v116, v41, v40, 0x5040100
	s_waitcnt lgkmcnt(7)
	v_perm_b32 v117, v51, v49, 0x5040100
	;; [unrolled: 2-line block ×6, first 2 shown]
	s_delay_alu instid0(VALU_DEP_1)
	v_wmma_f16_16x16x16_f16 v[24:31], v[114:121], v[32:39], v[24:31]
	v_perm_b32 v116, v41, v40, 0x7060302
	v_perm_b32 v120, v45, v44, 0x7060302
	;; [unrolled: 1-line block ×8, first 2 shown]
	ds_load_b32 v49, v212 offset:2176
	ds_load_b32 v51, v212 offset:3264
	;; [unrolled: 1-line block ×7, first 2 shown]
	ds_load_2addr_b32 v[107:108], v43 offset0:100 offset1:116
	v_perm_b32 v40, v61, v59, 0x5040100
	v_perm_b32 v41, v65, v63, 0x5040100
	v_wmma_f16_16x16x16_f16 v[24:31], v[114:121], v[32:39], v[24:31] op_sel:[0,0,1]
	ds_load_2addr_b32 v[109:110], v43 offset0:168 offset1:184
	ds_load_2addr_b32 v[114:115], v43 offset0:236 offset1:252
	;; [unrolled: 1-line block ×5, first 2 shown]
	v_perm_b32 v45, v71, v69, 0x5040100
	s_waitcnt lgkmcnt(12)
	v_perm_b32 v44, v67, v49, 0x5040100
	s_waitcnt lgkmcnt(5)
	;; [unrolled: 2-line block ×5, first 2 shown]
	v_perm_b32 v47, v120, v118, 0x5040100
	v_perm_b32 v62, v115, v110, 0x5040100
	;; [unrolled: 1-line block ×3, first 2 shown]
	s_delay_alu instid0(VALU_DEP_3)
	v_wmma_f16_16x16x16_f16 v[16:23], v[40:47], v[32:39], v[16:23]
	v_perm_b32 v40, v61, v59, 0x7060302
	v_perm_b32 v41, v65, v63, 0x7060302
	;; [unrolled: 1-line block ×8, first 2 shown]
	s_delay_alu instid0(VALU_DEP_1)
	v_wmma_f16_16x16x16_f16 v[16:23], v[40:47], v[32:39], v[16:23] op_sel:[0,0,1]
	ds_load_2addr_b32 v[42:43], v214 offset0:32 offset1:48
	ds_load_2addr_b32 v[67:68], v214 offset0:100 offset1:116
	ds_load_2addr_b32 v[69:70], v214 offset0:168 offset1:184
	ds_load_2addr_b32 v[122:123], v214 offset0:236 offset1:252
	ds_load_b32 v44, v199 offset:1088
	ds_load_b32 v49, v199 offset:2176
	ds_load_b32 v40, v235 offset:3264
	ds_load_2addr_b32 v[124:125], v105 offset0:132 offset1:148
	ds_load_2addr_b32 v[126:127], v105 offset0:200 offset1:216
	ds_load_2addr_b32 v[105:106], v106 offset0:12 offset1:28
	ds_load_b32 v51, v199 offset:3264
	ds_load_b32 v149, v201 offset:1088
	;; [unrolled: 1-line block ×8, first 2 shown]
	s_waitcnt lgkmcnt(7)
	v_perm_b32 v65, v117, v51, 0x5040100
	v_perm_b32 v59, v67, v42, 0x5040100
	v_perm_b32 v61, v108, v44, 0x5040100
	v_perm_b32 v60, v122, v69, 0x5040100
	v_perm_b32 v63, v124, v49, 0x5040100
	v_perm_b32 v64, v105, v126, 0x5040100
	s_delay_alu instid0(VALU_DEP_1)
	v_wmma_f16_16x16x16_f16 v[8:15], v[59:66], v[32:39], v[8:15]
	v_perm_b32 v62, v115, v110, 0x7060302
	v_perm_b32 v61, v108, v44, 0x7060302
	;; [unrolled: 1-line block ×5, first 2 shown]
	ds_load_b32 v44, v231 offset:1088
	ds_load_b32 v49, v231 offset:2176
	;; [unrolled: 1-line block ×7, first 2 shown]
	ds_load_2addr_b32 v[114:115], v128 offset0:44 offset1:64
	v_perm_b32 v66, v121, v119, 0x7060302
	v_perm_b32 v60, v122, v69, 0x7060302
	;; [unrolled: 1-line block ×3, first 2 shown]
	s_delay_alu instid0(VALU_DEP_1)
	v_wmma_f16_16x16x16_f16 v[8:15], v[59:66], v[32:39], v[8:15] op_sel:[0,0,1]
	v_perm_b32 v59, v68, v43, 0x5040100
	v_perm_b32 v60, v123, v70, 0x5040100
	;; [unrolled: 1-line block ×4, first 2 shown]
	s_waitcnt lgkmcnt(7)
	v_perm_b32 v61, v48, v44, 0x5040100
	s_waitcnt lgkmcnt(6)
	v_perm_b32 v63, v125, v49, 0x5040100
	;; [unrolled: 2-line block ×4, first 2 shown]
	s_delay_alu instid0(VALU_DEP_1)
	v_wmma_f16_16x16x16_f16 v[0:7], v[59:66], v[32:39], v[0:7]
	v_perm_b32 v59, v68, v43, 0x7060302
	v_perm_b32 v60, v123, v70, 0x7060302
	;; [unrolled: 1-line block ×8, first 2 shown]
	v_add_nc_u32_e32 v52, 0x1800, v214
	v_add_nc_u32_e32 v54, 0x1c00, v214
	s_delay_alu instid0(VALU_DEP_3) | instskip(SKIP_1) | instid1(VALU_DEP_1)
	v_wmma_f16_16x16x16_f16 v[0:7], v[59:66], v[32:39], v[0:7] op_sel:[0,0,1]
	v_sub_f32_e32 v32, v113, v72
	v_mul_f32_e32 v33, 0x3fb8aa3b, v32
	v_cmp_ngt_f32_e64 s4, 0xc2ce8ed0, v32
	s_delay_alu instid0(VALU_DEP_2) | instskip(SKIP_1) | instid1(VALU_DEP_1)
	v_fma_f32 v34, 0x3fb8aa3b, v32, -v33
	v_rndne_f32_e32 v35, v33
	v_dual_fmac_f32 v34, 0x32a5705f, v32 :: v_dual_sub_f32 v33, v33, v35
	v_cvt_i32_f32_e32 v35, v35
	s_delay_alu instid0(VALU_DEP_2) | instskip(NEXT) | instid1(VALU_DEP_1)
	v_dual_add_f32 v33, v33, v34 :: v_dual_sub_f32 v34, v112, v72
	v_exp_f32_e32 v33, v33
	s_delay_alu instid0(VALU_DEP_1) | instskip(SKIP_1) | instid1(VALU_DEP_2)
	v_mul_f32_e32 v36, 0x3fb8aa3b, v34
	v_cmp_ngt_f32_e64 s5, 0xc2ce8ed0, v34
	v_fma_f32 v37, 0x3fb8aa3b, v34, -v36
	v_rndne_f32_e32 v38, v36
	s_waitcnt_depctr 0xfff
	v_ldexp_f32 v33, v33, v35
	v_fmac_f32_e32 v37, 0x32a5705f, v34
	v_sub_f32_e32 v36, v36, v38
	s_delay_alu instid0(VALU_DEP_3) | instskip(SKIP_1) | instid1(VALU_DEP_3)
	v_cndmask_b32_e64 v33, 0, v33, s4
	v_cmp_nlt_f32_e64 s4, 0x42b17218, v32
	v_add_f32_e32 v36, v36, v37
	s_delay_alu instid0(VALU_DEP_2) | instskip(NEXT) | instid1(VALU_DEP_2)
	v_cndmask_b32_e64 v33, 0x7f800000, v33, s4
	v_exp_f32_e32 v35, v36
	v_cvt_i32_f32_e32 v36, v38
	s_waitcnt_depctr 0xfff
	v_ldexp_f32 v35, v35, v36
	ds_bpermute_b32 v36, v73, v33
	v_cndmask_b32_e64 v32, 0, v35, s5
	v_cmp_nlt_f32_e64 s5, 0x42b17218, v34
	s_delay_alu instid0(VALU_DEP_1) | instskip(SKIP_4) | instid1(VALU_DEP_2)
	v_cndmask_b32_e64 v32, 0x7f800000, v32, s5
	ds_bpermute_b32 v34, v73, v32
	s_waitcnt lgkmcnt(0)
	v_cndmask_b32_e32 v35, v32, v34, vcc_lo
	v_cndmask_b32_e64 v34, v32, v34, s1
	v_cndmask_b32_e64 v38, v35, v33, s3
	s_delay_alu instid0(VALU_DEP_2) | instskip(SKIP_2) | instid1(VALU_DEP_3)
	v_cndmask_b32_e64 v37, v34, v33, s2
	v_cvt_f16_f32_e32 v34, v34
	v_cvt_f16_f32_e32 v35, v35
	v_cndmask_b32_e64 v37, v37, v36, s1
	v_cndmask_b32_e32 v36, v38, v36, vcc_lo
	s_delay_alu instid0(VALU_DEP_3) | instskip(SKIP_1) | instid1(VALU_DEP_4)
	v_pack_b32_f16 v59, v34, v35
	v_sub_f32_e32 v34, v95, v72
	v_cvt_f16_f32_e32 v38, v37
	s_delay_alu instid0(VALU_DEP_4) | instskip(NEXT) | instid1(VALU_DEP_3)
	v_cvt_f16_f32_e32 v39, v36
	v_mul_f32_e32 v35, 0x3fb8aa3b, v34
	v_cmp_ngt_f32_e64 s4, 0xc2ce8ed0, v34
	s_delay_alu instid0(VALU_DEP_3) | instskip(NEXT) | instid1(VALU_DEP_3)
	v_pack_b32_f16 v60, v38, v39
	v_fma_f32 v38, 0x3fb8aa3b, v34, -v35
	v_rndne_f32_e32 v39, v35
	s_delay_alu instid0(VALU_DEP_1) | instskip(NEXT) | instid1(VALU_DEP_1)
	v_dual_fmac_f32 v38, 0x32a5705f, v34 :: v_dual_sub_f32 v35, v35, v39
	v_add_f32_e32 v35, v35, v38
	v_cvt_i32_f32_e32 v38, v39
	s_delay_alu instid0(VALU_DEP_2) | instskip(SKIP_2) | instid1(VALU_DEP_1)
	v_exp_f32_e32 v35, v35
	s_waitcnt_depctr 0xfff
	v_ldexp_f32 v35, v35, v38
	v_cndmask_b32_e64 v35, 0, v35, s4
	v_cmp_nlt_f32_e64 s4, 0x42b17218, v34
	s_delay_alu instid0(VALU_DEP_1) | instskip(NEXT) | instid1(VALU_DEP_1)
	v_cndmask_b32_e64 v34, 0x7f800000, v35, s4
	v_cndmask_b32_e64 v35, v36, v34, s3
	;; [unrolled: 1-line block ×3, first 2 shown]
	ds_bpermute_b32 v37, v73, v34
	s_waitcnt lgkmcnt(0)
	v_cndmask_b32_e64 v36, v36, v37, s1
	v_cndmask_b32_e32 v37, v35, v37, vcc_lo
	s_delay_alu instid0(VALU_DEP_2) | instskip(NEXT) | instid1(VALU_DEP_2)
	v_cvt_f16_f32_e32 v35, v36
	v_cvt_f16_f32_e32 v38, v37
	s_delay_alu instid0(VALU_DEP_1) | instskip(SKIP_1) | instid1(VALU_DEP_1)
	v_pack_b32_f16 v61, v35, v38
	v_sub_f32_e32 v35, v94, v72
	v_mul_f32_e32 v38, 0x3fb8aa3b, v35
	v_cmp_ngt_f32_e64 s4, 0xc2ce8ed0, v35
	s_delay_alu instid0(VALU_DEP_2) | instskip(SKIP_1) | instid1(VALU_DEP_2)
	v_fma_f32 v39, 0x3fb8aa3b, v35, -v38
	v_rndne_f32_e32 v43, v38
	v_fmac_f32_e32 v39, 0x32a5705f, v35
	s_delay_alu instid0(VALU_DEP_2) | instskip(NEXT) | instid1(VALU_DEP_1)
	v_sub_f32_e32 v38, v38, v43
	v_add_f32_e32 v38, v38, v39
	v_cvt_i32_f32_e32 v39, v43
	s_delay_alu instid0(VALU_DEP_2) | instskip(SKIP_2) | instid1(VALU_DEP_1)
	v_exp_f32_e32 v38, v38
	s_waitcnt_depctr 0xfff
	v_ldexp_f32 v38, v38, v39
	v_cndmask_b32_e64 v38, 0, v38, s4
	v_cmp_nlt_f32_e64 s4, 0x42b17218, v35
	s_delay_alu instid0(VALU_DEP_1) | instskip(SKIP_4) | instid1(VALU_DEP_1)
	v_cndmask_b32_e64 v35, 0x7f800000, v38, s4
	ds_bpermute_b32 v38, v73, v35
	v_cndmask_b32_e64 v37, v37, v35, s3
	v_cndmask_b32_e64 v36, v36, v35, s2
	s_waitcnt lgkmcnt(0)
	v_cndmask_b32_e64 v39, v36, v38, s1
	s_delay_alu instid0(VALU_DEP_3) | instskip(NEXT) | instid1(VALU_DEP_2)
	v_cndmask_b32_e32 v37, v37, v38, vcc_lo
	v_cvt_f16_f32_e32 v36, v39
	s_delay_alu instid0(VALU_DEP_2) | instskip(NEXT) | instid1(VALU_DEP_1)
	v_cvt_f16_f32_e32 v38, v37
	v_pack_b32_f16 v62, v36, v38
	v_sub_f32_e32 v36, v93, v72
	s_delay_alu instid0(VALU_DEP_1) | instskip(SKIP_1) | instid1(VALU_DEP_2)
	v_mul_f32_e32 v38, 0x3fb8aa3b, v36
	v_cmp_ngt_f32_e64 s4, 0xc2ce8ed0, v36
	v_fma_f32 v43, 0x3fb8aa3b, v36, -v38
	v_rndne_f32_e32 v44, v38
	s_delay_alu instid0(VALU_DEP_2) | instskip(NEXT) | instid1(VALU_DEP_2)
	v_fmac_f32_e32 v43, 0x32a5705f, v36
	v_sub_f32_e32 v38, v38, v44
	s_delay_alu instid0(VALU_DEP_1) | instskip(SKIP_1) | instid1(VALU_DEP_2)
	v_add_f32_e32 v38, v38, v43
	v_cvt_i32_f32_e32 v43, v44
	v_exp_f32_e32 v38, v38
	s_waitcnt_depctr 0xfff
	v_ldexp_f32 v38, v38, v43
	s_delay_alu instid0(VALU_DEP_1) | instskip(SKIP_1) | instid1(VALU_DEP_1)
	v_cndmask_b32_e64 v38, 0, v38, s4
	v_cmp_nlt_f32_e64 s4, 0x42b17218, v36
	v_cndmask_b32_e64 v36, 0x7f800000, v38, s4
	s_delay_alu instid0(VALU_DEP_1) | instskip(SKIP_4) | instid1(VALU_DEP_2)
	v_cndmask_b32_e64 v38, v39, v36, s2
	ds_bpermute_b32 v39, v73, v36
	v_cndmask_b32_e64 v37, v37, v36, s3
	s_waitcnt lgkmcnt(0)
	v_cndmask_b32_e64 v38, v38, v39, s1
	v_cndmask_b32_e32 v39, v37, v39, vcc_lo
	s_delay_alu instid0(VALU_DEP_2) | instskip(NEXT) | instid1(VALU_DEP_2)
	v_cvt_f16_f32_e32 v37, v38
	v_cvt_f16_f32_e32 v43, v39
	s_delay_alu instid0(VALU_DEP_1) | instskip(SKIP_1) | instid1(VALU_DEP_1)
	v_pack_b32_f16 v63, v37, v43
	v_sub_f32_e32 v37, v92, v72
	v_mul_f32_e32 v43, 0x3fb8aa3b, v37
	v_cmp_ngt_f32_e64 s4, 0xc2ce8ed0, v37
	s_delay_alu instid0(VALU_DEP_2) | instskip(SKIP_1) | instid1(VALU_DEP_1)
	v_fma_f32 v44, 0x3fb8aa3b, v37, -v43
	v_rndne_f32_e32 v48, v43
	v_dual_fmac_f32 v44, 0x32a5705f, v37 :: v_dual_sub_f32 v43, v43, v48
	s_delay_alu instid0(VALU_DEP_1) | instskip(SKIP_1) | instid1(VALU_DEP_2)
	v_add_f32_e32 v43, v43, v44
	v_cvt_i32_f32_e32 v44, v48
	v_exp_f32_e32 v43, v43
	s_waitcnt_depctr 0xfff
	v_ldexp_f32 v43, v43, v44
	s_delay_alu instid0(VALU_DEP_1) | instskip(SKIP_1) | instid1(VALU_DEP_1)
	v_cndmask_b32_e64 v43, 0, v43, s4
	v_cmp_nlt_f32_e64 s4, 0x42b17218, v37
	v_cndmask_b32_e64 v37, 0x7f800000, v43, s4
	ds_bpermute_b32 v43, v73, v37
	v_cndmask_b32_e64 v39, v39, v37, s3
	v_cndmask_b32_e64 v38, v38, v37, s2
	s_waitcnt lgkmcnt(0)
	s_delay_alu instid0(VALU_DEP_1) | instskip(NEXT) | instid1(VALU_DEP_3)
	v_cndmask_b32_e64 v44, v38, v43, s1
	v_cndmask_b32_e32 v39, v39, v43, vcc_lo
	s_delay_alu instid0(VALU_DEP_2) | instskip(NEXT) | instid1(VALU_DEP_2)
	v_cvt_f16_f32_e32 v38, v44
	v_cvt_f16_f32_e32 v43, v39
	s_delay_alu instid0(VALU_DEP_1) | instskip(SKIP_1) | instid1(VALU_DEP_1)
	v_pack_b32_f16 v64, v38, v43
	v_sub_f32_e32 v38, v91, v72
	v_mul_f32_e32 v43, 0x3fb8aa3b, v38
	v_cmp_ngt_f32_e64 s4, 0xc2ce8ed0, v38
	s_delay_alu instid0(VALU_DEP_2) | instskip(SKIP_1) | instid1(VALU_DEP_1)
	v_fma_f32 v48, 0x3fb8aa3b, v38, -v43
	v_rndne_f32_e32 v49, v43
	v_dual_fmac_f32 v48, 0x32a5705f, v38 :: v_dual_sub_f32 v43, v43, v49
	s_delay_alu instid0(VALU_DEP_1) | instskip(SKIP_1) | instid1(VALU_DEP_2)
	v_add_f32_e32 v43, v43, v48
	v_cvt_i32_f32_e32 v48, v49
	v_exp_f32_e32 v43, v43
	s_waitcnt_depctr 0xfff
	v_ldexp_f32 v43, v43, v48
	s_delay_alu instid0(VALU_DEP_1) | instskip(SKIP_1) | instid1(VALU_DEP_1)
	v_cndmask_b32_e64 v43, 0, v43, s4
	v_cmp_nlt_f32_e64 s4, 0x42b17218, v38
	v_cndmask_b32_e64 v38, 0x7f800000, v43, s4
	s_delay_alu instid0(VALU_DEP_1) | instskip(SKIP_4) | instid1(VALU_DEP_2)
	v_cndmask_b32_e64 v43, v44, v38, s2
	ds_bpermute_b32 v44, v73, v38
	v_cndmask_b32_e64 v39, v39, v38, s3
	s_waitcnt lgkmcnt(0)
	v_cndmask_b32_e64 v43, v43, v44, s1
	v_cndmask_b32_e32 v44, v39, v44, vcc_lo
	s_delay_alu instid0(VALU_DEP_2) | instskip(NEXT) | instid1(VALU_DEP_2)
	v_cvt_f16_f32_e32 v39, v43
	v_cvt_f16_f32_e32 v48, v44
	s_delay_alu instid0(VALU_DEP_1) | instskip(SKIP_1) | instid1(VALU_DEP_1)
	v_pack_b32_f16 v65, v39, v48
	v_sub_f32_e32 v39, v90, v72
	v_mul_f32_e32 v48, 0x3fb8aa3b, v39
	v_cmp_ngt_f32_e64 s4, 0xc2ce8ed0, v39
	s_delay_alu instid0(VALU_DEP_2) | instskip(SKIP_1) | instid1(VALU_DEP_1)
	v_fma_f32 v49, 0x3fb8aa3b, v39, -v48
	v_rndne_f32_e32 v50, v48
	v_dual_fmac_f32 v49, 0x32a5705f, v39 :: v_dual_sub_f32 v48, v48, v50
	s_delay_alu instid0(VALU_DEP_1) | instskip(SKIP_1) | instid1(VALU_DEP_2)
	v_add_f32_e32 v48, v48, v49
	v_cvt_i32_f32_e32 v49, v50
	v_exp_f32_e32 v48, v48
	s_waitcnt_depctr 0xfff
	v_ldexp_f32 v48, v48, v49
	s_delay_alu instid0(VALU_DEP_1) | instskip(SKIP_1) | instid1(VALU_DEP_1)
	v_cndmask_b32_e64 v48, 0, v48, s4
	v_cmp_nlt_f32_e64 s4, 0x42b17218, v39
	v_cndmask_b32_e64 v39, 0x7f800000, v48, s4
	ds_bpermute_b32 v48, v73, v39
	v_cndmask_b32_e64 v44, v44, v39, s3
	v_cndmask_b32_e64 v43, v43, v39, s2
	s_waitcnt lgkmcnt(0)
	s_delay_alu instid0(VALU_DEP_1) | instskip(NEXT) | instid1(VALU_DEP_3)
	v_cndmask_b32_e64 v43, v43, v48, s1
	v_cndmask_b32_e32 v44, v44, v48, vcc_lo
	v_add_nc_u32_e32 v48, 0x1400, v214
	s_delay_alu instid0(VALU_DEP_3) | instskip(NEXT) | instid1(VALU_DEP_3)
	v_cvt_f16_f32_e32 v43, v43
	v_cvt_f16_f32_e32 v44, v44
	s_delay_alu instid0(VALU_DEP_1)
	v_pack_b32_f16 v66, v43, v44
	v_add_nc_u32_e32 v43, 0x1200, v214
	ds_load_2addr_b32 v[67:68], v43 offset0:120 offset1:140
	ds_load_2addr_b32 v[69:70], v128 offset0:112 offset1:132
	;; [unrolled: 1-line block ×3, first 2 shown]
	ds_load_b32 v49, v248 offset:2176
	ds_load_b32 v50, v248 offset:3264
	;; [unrolled: 1-line block ×8, first 2 shown]
	ds_load_2addr_b32 v[92:93], v48 offset0:60 offset1:148
	ds_load_2addr_b32 v[94:95], v48 offset0:196 offset1:216
	;; [unrolled: 1-line block ×9, first 2 shown]
	s_waitcnt lgkmcnt(18)
	v_perm_b32 v105, v70, v115, 0x5040100
	s_waitcnt lgkmcnt(17)
	v_perm_b32 v106, v68, v91, 0x5040100
	;; [unrolled: 2-line block ×8, first 2 shown]
	s_delay_alu instid0(VALU_DEP_1)
	v_wmma_f16_16x16x16_f16 v[24:31], v[105:112], v[59:66], v[24:31]
	v_perm_b32 v105, v70, v115, 0x7060302
	v_perm_b32 v108, v114, v95, 0x7060302
	;; [unrolled: 1-line block ×3, first 2 shown]
	ds_load_2addr_b32 v[70:71], v128 offset0:80 offset1:96
	ds_load_2addr_b32 v[114:115], v128 offset0:148 offset1:164
	;; [unrolled: 1-line block ×7, first 2 shown]
	v_add_nc_u32_e32 v48, 0x1a00, v214
	ds_load_2addr_b32 v[137:138], v52 offset0:180 offset1:196
	ds_load_2addr_b32 v[139:140], v48 offset0:120 offset1:136
	;; [unrolled: 1-line block ×6, first 2 shown]
	v_perm_b32 v107, v93, v51, 0x7060302
	v_perm_b32 v109, v117, v49, 0x7060302
	v_perm_b32 v111, v123, v50, 0x7060302
	v_perm_b32 v106, v68, v91, 0x7060302
	v_perm_b32 v110, v121, v119, 0x7060302
	s_waitcnt lgkmcnt(11)
	v_perm_b32 v48, v114, v70, 0x7060302
	s_delay_alu instid0(VALU_DEP_2)
	v_wmma_f16_16x16x16_f16 v[24:31], v[105:112], v[59:66], v[24:31] op_sel:[0,0,1]
	v_perm_b32 v105, v114, v70, 0x5040100
	s_waitcnt lgkmcnt(9)
	v_perm_b32 v106, v129, v127, 0x5040100
	s_waitcnt lgkmcnt(8)
	;; [unrolled: 2-line block ×4, first 2 shown]
	v_perm_b32 v109, v137, v55, 0x5040100
	v_perm_b32 v50, v131, v53, 0x7060302
	;; [unrolled: 1-line block ×3, first 2 shown]
	s_waitcnt lgkmcnt(3)
	v_perm_b32 v110, v141, v139, 0x5040100
	s_waitcnt lgkmcnt(2)
	v_perm_b32 v111, v143, v57, 0x5040100
	;; [unrolled: 2-line block ×3, first 2 shown]
	v_perm_b32 v54, v143, v57, 0x7060302
	ds_load_2addr_b32 v[56:57], v158 offset0:108 offset1:128
	v_perm_b32 v49, v129, v127, 0x7060302
	v_perm_b32 v51, v135, v133, 0x7060302
	v_wmma_f16_16x16x16_f16 v[16:23], v[105:112], v[59:66], v[16:23]
	v_perm_b32 v53, v141, v139, 0x7060302
	v_perm_b32 v55, v147, v145, 0x7060302
	s_delay_alu instid0(VALU_DEP_1)
	v_wmma_f16_16x16x16_f16 v[16:23], v[48:55], v[59:66], v[16:23] op_sel:[0,0,1]
	v_perm_b32 v48, v115, v71, 0x5040100
	v_perm_b32 v49, v130, v128, 0x5040100
	;; [unrolled: 1-line block ×8, first 2 shown]
	s_delay_alu instid0(VALU_DEP_1)
	v_wmma_f16_16x16x16_f16 v[8:15], v[48:55], v[59:66], v[8:15]
	v_perm_b32 v48, v115, v71, 0x7060302
	v_perm_b32 v49, v130, v128, 0x7060302
	;; [unrolled: 1-line block ×8, first 2 shown]
	v_add_nc_u32_e32 v128, 0x2c00, v214
	v_add_nc_u32_e32 v140, 0x3000, v214
	s_delay_alu instid0(VALU_DEP_3)
	v_wmma_f16_16x16x16_f16 v[8:15], v[48:55], v[59:66], v[8:15] op_sel:[0,0,1]
	v_perm_b32 v48, v90, v69, 0x5040100
	v_perm_b32 v49, v92, v67, 0x5040100
	;; [unrolled: 1-line block ×7, first 2 shown]
	s_waitcnt lgkmcnt(0)
	v_perm_b32 v55, v56, v126, 0x5040100
	s_delay_alu instid0(VALU_DEP_1)
	v_wmma_f16_16x16x16_f16 v[0:7], v[48:55], v[59:66], v[0:7]
	v_perm_b32 v48, v90, v69, 0x7060302
	v_perm_b32 v49, v92, v67, 0x7060302
	;; [unrolled: 1-line block ×8, first 2 shown]
	v_add_nc_u32_e32 v118, 0x2400, v214
	v_add_nc_u32_e32 v122, 0x2800, v214
	s_delay_alu instid0(VALU_DEP_3) | instskip(SKIP_1) | instid1(VALU_DEP_1)
	v_wmma_f16_16x16x16_f16 v[0:7], v[48:55], v[59:66], v[0:7] op_sel:[0,0,1]
	v_sub_f32_e32 v48, v89, v72
	v_mul_f32_e32 v49, 0x3fb8aa3b, v48
	v_cmp_ngt_f32_e64 s4, 0xc2ce8ed0, v48
	s_delay_alu instid0(VALU_DEP_2) | instskip(SKIP_1) | instid1(VALU_DEP_1)
	v_fma_f32 v50, 0x3fb8aa3b, v48, -v49
	v_rndne_f32_e32 v51, v49
	v_dual_fmac_f32 v50, 0x32a5705f, v48 :: v_dual_sub_f32 v49, v49, v51
	v_cvt_i32_f32_e32 v51, v51
	s_delay_alu instid0(VALU_DEP_2) | instskip(NEXT) | instid1(VALU_DEP_1)
	v_dual_add_f32 v49, v49, v50 :: v_dual_sub_f32 v50, v88, v72
	v_exp_f32_e32 v49, v49
	s_delay_alu instid0(VALU_DEP_1) | instskip(SKIP_1) | instid1(VALU_DEP_2)
	v_mul_f32_e32 v52, 0x3fb8aa3b, v50
	v_cmp_ngt_f32_e64 s5, 0xc2ce8ed0, v50
	v_fma_f32 v53, 0x3fb8aa3b, v50, -v52
	v_rndne_f32_e32 v54, v52
	s_waitcnt_depctr 0xfff
	v_ldexp_f32 v49, v49, v51
	v_fmac_f32_e32 v53, 0x32a5705f, v50
	v_sub_f32_e32 v52, v52, v54
	s_delay_alu instid0(VALU_DEP_3) | instskip(SKIP_1) | instid1(VALU_DEP_3)
	v_cndmask_b32_e64 v49, 0, v49, s4
	v_cmp_nlt_f32_e64 s4, 0x42b17218, v48
	v_add_f32_e32 v52, v52, v53
	s_delay_alu instid0(VALU_DEP_2) | instskip(NEXT) | instid1(VALU_DEP_2)
	v_cndmask_b32_e64 v49, 0x7f800000, v49, s4
	v_exp_f32_e32 v51, v52
	v_cvt_i32_f32_e32 v52, v54
	s_waitcnt_depctr 0xfff
	v_ldexp_f32 v51, v51, v52
	ds_bpermute_b32 v52, v73, v49
	v_cndmask_b32_e64 v48, 0, v51, s5
	v_cmp_nlt_f32_e64 s5, 0x42b17218, v50
	s_delay_alu instid0(VALU_DEP_1) | instskip(SKIP_4) | instid1(VALU_DEP_2)
	v_cndmask_b32_e64 v48, 0x7f800000, v48, s5
	ds_bpermute_b32 v50, v73, v48
	s_waitcnt lgkmcnt(0)
	v_cndmask_b32_e32 v51, v48, v50, vcc_lo
	v_cndmask_b32_e64 v50, v48, v50, s1
	v_cndmask_b32_e64 v54, v51, v49, s3
	s_delay_alu instid0(VALU_DEP_2) | instskip(SKIP_2) | instid1(VALU_DEP_3)
	v_cndmask_b32_e64 v53, v50, v49, s2
	v_cvt_f16_f32_e32 v50, v50
	v_cvt_f16_f32_e32 v51, v51
	v_cndmask_b32_e64 v53, v53, v52, s1
	v_cndmask_b32_e32 v52, v54, v52, vcc_lo
	s_delay_alu instid0(VALU_DEP_3) | instskip(SKIP_1) | instid1(VALU_DEP_4)
	v_pack_b32_f16 v59, v50, v51
	v_sub_f32_e32 v50, v87, v72
	v_cvt_f16_f32_e32 v54, v53
	s_delay_alu instid0(VALU_DEP_4) | instskip(NEXT) | instid1(VALU_DEP_3)
	v_cvt_f16_f32_e32 v55, v52
	v_mul_f32_e32 v51, 0x3fb8aa3b, v50
	v_cmp_ngt_f32_e64 s4, 0xc2ce8ed0, v50
	s_delay_alu instid0(VALU_DEP_3) | instskip(NEXT) | instid1(VALU_DEP_3)
	v_pack_b32_f16 v60, v54, v55
	v_fma_f32 v54, 0x3fb8aa3b, v50, -v51
	v_rndne_f32_e32 v55, v51
	s_delay_alu instid0(VALU_DEP_1) | instskip(NEXT) | instid1(VALU_DEP_1)
	v_dual_fmac_f32 v54, 0x32a5705f, v50 :: v_dual_sub_f32 v51, v51, v55
	v_add_f32_e32 v51, v51, v54
	v_cvt_i32_f32_e32 v54, v55
	s_delay_alu instid0(VALU_DEP_2) | instskip(SKIP_2) | instid1(VALU_DEP_1)
	v_exp_f32_e32 v51, v51
	s_waitcnt_depctr 0xfff
	v_ldexp_f32 v51, v51, v54
	v_cndmask_b32_e64 v51, 0, v51, s4
	v_cmp_nlt_f32_e64 s4, 0x42b17218, v50
	s_delay_alu instid0(VALU_DEP_1) | instskip(NEXT) | instid1(VALU_DEP_1)
	v_cndmask_b32_e64 v50, 0x7f800000, v51, s4
	v_cndmask_b32_e64 v51, v52, v50, s3
	;; [unrolled: 1-line block ×3, first 2 shown]
	ds_bpermute_b32 v53, v73, v50
	s_waitcnt lgkmcnt(0)
	v_cndmask_b32_e64 v52, v52, v53, s1
	v_cndmask_b32_e32 v53, v51, v53, vcc_lo
	s_delay_alu instid0(VALU_DEP_2) | instskip(NEXT) | instid1(VALU_DEP_2)
	v_cvt_f16_f32_e32 v51, v52
	v_cvt_f16_f32_e32 v54, v53
	s_delay_alu instid0(VALU_DEP_1) | instskip(SKIP_1) | instid1(VALU_DEP_1)
	v_pack_b32_f16 v61, v51, v54
	v_sub_f32_e32 v51, v86, v72
	v_mul_f32_e32 v54, 0x3fb8aa3b, v51
	v_cmp_ngt_f32_e64 s4, 0xc2ce8ed0, v51
	s_delay_alu instid0(VALU_DEP_2) | instskip(SKIP_1) | instid1(VALU_DEP_1)
	v_fma_f32 v55, 0x3fb8aa3b, v51, -v54
	v_rndne_f32_e32 v56, v54
	v_dual_fmac_f32 v55, 0x32a5705f, v51 :: v_dual_sub_f32 v54, v54, v56
	s_delay_alu instid0(VALU_DEP_1) | instskip(SKIP_1) | instid1(VALU_DEP_2)
	v_add_f32_e32 v54, v54, v55
	v_cvt_i32_f32_e32 v55, v56
	v_exp_f32_e32 v54, v54
	s_waitcnt_depctr 0xfff
	v_ldexp_f32 v54, v54, v55
	s_delay_alu instid0(VALU_DEP_1) | instskip(SKIP_1) | instid1(VALU_DEP_1)
	v_cndmask_b32_e64 v54, 0, v54, s4
	v_cmp_nlt_f32_e64 s4, 0x42b17218, v51
	v_cndmask_b32_e64 v51, 0x7f800000, v54, s4
	ds_bpermute_b32 v54, v73, v51
	v_cndmask_b32_e64 v52, v52, v51, s2
	v_cndmask_b32_e64 v53, v53, v51, s3
	s_waitcnt lgkmcnt(0)
	s_delay_alu instid0(VALU_DEP_2) | instskip(NEXT) | instid1(VALU_DEP_2)
	v_cndmask_b32_e64 v52, v52, v54, s1
	v_cndmask_b32_e32 v53, v53, v54, vcc_lo
	s_delay_alu instid0(VALU_DEP_2) | instskip(NEXT) | instid1(VALU_DEP_2)
	v_cvt_f16_f32_e32 v54, v52
	v_cvt_f16_f32_e32 v55, v53
	s_delay_alu instid0(VALU_DEP_1) | instskip(SKIP_1) | instid1(VALU_DEP_1)
	v_pack_b32_f16 v62, v54, v55
	v_sub_f32_e32 v54, v85, v72
	v_mul_f32_e32 v55, 0x3fb8aa3b, v54
	v_cmp_ngt_f32_e64 s4, 0xc2ce8ed0, v54
	s_delay_alu instid0(VALU_DEP_2) | instskip(SKIP_1) | instid1(VALU_DEP_1)
	v_fma_f32 v56, 0x3fb8aa3b, v54, -v55
	v_rndne_f32_e32 v63, v55
	v_dual_fmac_f32 v56, 0x32a5705f, v54 :: v_dual_sub_f32 v55, v55, v63
	s_delay_alu instid0(VALU_DEP_1) | instskip(SKIP_1) | instid1(VALU_DEP_2)
	v_add_f32_e32 v55, v55, v56
	v_cvt_i32_f32_e32 v56, v63
	v_exp_f32_e32 v55, v55
	s_waitcnt_depctr 0xfff
	v_ldexp_f32 v55, v55, v56
	s_delay_alu instid0(VALU_DEP_1) | instskip(SKIP_1) | instid1(VALU_DEP_1)
	v_cndmask_b32_e64 v55, 0, v55, s4
	v_cmp_nlt_f32_e64 s4, 0x42b17218, v54
	v_cndmask_b32_e64 v136, 0x7f800000, v55, s4
	ds_bpermute_b32 v54, v73, v136
	v_cndmask_b32_e64 v52, v52, v136, s2
	v_cndmask_b32_e64 v53, v53, v136, s3
	s_waitcnt lgkmcnt(0)
	s_delay_alu instid0(VALU_DEP_2) | instskip(NEXT) | instid1(VALU_DEP_2)
	;; [unrolled: 29-line block ×4, first 2 shown]
	v_cndmask_b32_e64 v52, v52, v54, s1
	v_cndmask_b32_e32 v53, v53, v54, vcc_lo
	s_delay_alu instid0(VALU_DEP_2) | instskip(NEXT) | instid1(VALU_DEP_2)
	v_cvt_f16_f32_e32 v54, v52
	v_cvt_f16_f32_e32 v55, v53
	s_delay_alu instid0(VALU_DEP_1) | instskip(SKIP_1) | instid1(VALU_DEP_1)
	v_pack_b32_f16 v65, v54, v55
	v_sub_f32_e32 v54, v82, v72
	v_mul_f32_e32 v55, 0x3fb8aa3b, v54
	v_cmp_ngt_f32_e64 s4, 0xc2ce8ed0, v54
	s_delay_alu instid0(VALU_DEP_2) | instskip(SKIP_1) | instid1(VALU_DEP_2)
	v_fma_f32 v56, 0x3fb8aa3b, v54, -v55
	v_rndne_f32_e32 v66, v55
	v_fmac_f32_e32 v56, 0x32a5705f, v54
	s_delay_alu instid0(VALU_DEP_2) | instskip(NEXT) | instid1(VALU_DEP_1)
	v_sub_f32_e32 v55, v55, v66
	v_add_f32_e32 v55, v55, v56
	v_cvt_i32_f32_e32 v56, v66
	s_delay_alu instid0(VALU_DEP_2) | instskip(SKIP_2) | instid1(VALU_DEP_1)
	v_exp_f32_e32 v55, v55
	s_waitcnt_depctr 0xfff
	v_ldexp_f32 v55, v55, v56
	v_cndmask_b32_e64 v55, 0, v55, s4
	v_cmp_nlt_f32_e64 s4, 0x42b17218, v54
	s_delay_alu instid0(VALU_DEP_1) | instskip(SKIP_4) | instid1(VALU_DEP_2)
	v_cndmask_b32_e64 v139, 0x7f800000, v55, s4
	ds_bpermute_b32 v54, v73, v139
	v_cndmask_b32_e64 v52, v52, v139, s2
	v_cndmask_b32_e64 v53, v53, v139, s3
	s_waitcnt lgkmcnt(0)
	v_cndmask_b32_e64 v52, v52, v54, s1
	s_delay_alu instid0(VALU_DEP_2) | instskip(NEXT) | instid1(VALU_DEP_2)
	v_cndmask_b32_e32 v53, v53, v54, vcc_lo
	v_cvt_f16_f32_e32 v52, v52
	s_delay_alu instid0(VALU_DEP_2) | instskip(NEXT) | instid1(VALU_DEP_1)
	v_cvt_f16_f32_e32 v53, v53
	v_pack_b32_f16 v66, v52, v53
	v_add_nc_u32_e32 v52, 0x2200, v214
	ds_load_2addr_b32 v[52:53], v52 offset0:116 offset1:136
	ds_load_2addr_b32 v[54:55], v158 offset0:176 offset1:196
	;; [unrolled: 1-line block ×12, first 2 shown]
	s_waitcnt lgkmcnt(10)
	v_perm_b32 v82, v55, v57, 0x5040100
	s_waitcnt lgkmcnt(9)
	v_perm_b32 v83, v68, v53, 0x5040100
	s_waitcnt lgkmcnt(8)
	v_perm_b32 v84, v70, v155, 0x5040100
	s_waitcnt lgkmcnt(6)
	v_perm_b32 v85, v93, v91, 0x5040100
	s_waitcnt lgkmcnt(5)
	v_perm_b32 v86, v95, v156, 0x5040100
	s_waitcnt lgkmcnt(3)
	v_perm_b32 v87, v108, v106, 0x5040100
	s_waitcnt lgkmcnt(2)
	v_perm_b32 v88, v110, v157, 0x5040100
	s_waitcnt lgkmcnt(0)
	v_perm_b32 v89, v114, v112, 0x5040100
	s_delay_alu instid0(VALU_DEP_1)
	v_wmma_f16_16x16x16_f16 v[24:31], v[82:89], v[59:66], v[24:31]
	v_perm_b32 v82, v55, v57, 0x7060302
	v_perm_b32 v84, v70, v155, 0x7060302
	;; [unrolled: 1-line block ×8, first 2 shown]
	ds_load_2addr_b32 v[55:56], v158 offset0:144 offset1:160
	ds_load_2addr_b32 v[70:71], v158 offset0:212 offset1:228
	;; [unrolled: 1-line block ×5, first 2 shown]
	ds_load_b32 v53, v247 offset:1088
	ds_load_b32 v57, v247 offset:2176
	ds_load_b32 v68, v247 offset:3264
	ds_load_b32 v141, v235 offset:1088
	ds_load_b32 v142, v235 offset:2176
	ds_load_2addr_b32 v[120:121], v122 offset0:40 offset1:56
	ds_load_2addr_b32 v[122:123], v122 offset0:108 offset1:124
	v_wmma_f16_16x16x16_f16 v[24:31], v[82:89], v[59:66], v[24:31] op_sel:[0,0,1]
	v_add_nc_u32_e32 v86, 0x2a00, v214
	ds_load_2addr_b32 v[124:125], v86 offset0:116 offset1:132
	ds_load_2addr_b32 v[126:127], v128 offset0:56 offset1:72
	;; [unrolled: 1-line block ×6, first 2 shown]
	s_waitcnt lgkmcnt(12)
	v_perm_b32 v84, v118, v53, 0x5040100
	v_perm_b32 v82, v70, v55, 0x5040100
	;; [unrolled: 1-line block ×3, first 2 shown]
	s_waitcnt lgkmcnt(6)
	v_perm_b32 v85, v122, v120, 0x5040100
	s_waitcnt lgkmcnt(5)
	v_perm_b32 v86, v124, v57, 0x5040100
	;; [unrolled: 2-line block ×5, first 2 shown]
	s_delay_alu instid0(VALU_DEP_1)
	v_wmma_f16_16x16x16_f16 v[16:23], v[82:89], v[59:66], v[16:23]
	v_perm_b32 v84, v118, v53, 0x7060302
	v_perm_b32 v86, v124, v57, 0x7060302
	v_perm_b32 v88, v130, v68, 0x7060302
	v_perm_b32 v82, v70, v55, 0x7060302
	v_perm_b32 v83, v116, v114, 0x7060302
	v_perm_b32 v85, v122, v120, 0x7060302
	v_perm_b32 v87, v128, v126, 0x7060302
	v_perm_b32 v89, v134, v132, 0x7060302
	s_delay_alu instid0(VALU_DEP_1)
	v_wmma_f16_16x16x16_f16 v[16:23], v[82:89], v[59:66], v[16:23] op_sel:[0,0,1]
	v_perm_b32 v82, v71, v56, 0x5040100
	v_perm_b32 v83, v117, v115, 0x5040100
	;; [unrolled: 1-line block ×8, first 2 shown]
	s_delay_alu instid0(VALU_DEP_1)
	v_wmma_f16_16x16x16_f16 v[8:15], v[82:89], v[59:66], v[8:15]
	v_perm_b32 v82, v71, v56, 0x7060302
	v_perm_b32 v84, v119, v45, 0x7060302
	;; [unrolled: 1-line block ×4, first 2 shown]
	ds_load_b32 v47, v184 offset:1088
	ds_load_b32 v53, v184 offset:2176
	;; [unrolled: 1-line block ×6, first 2 shown]
	ds_load_2addr_b32 v[45:46], v140 offset0:172 offset1:192
	v_perm_b32 v83, v117, v115, 0x7060302
	v_perm_b32 v85, v123, v121, 0x7060302
	;; [unrolled: 1-line block ×4, first 2 shown]
	v_add_nc_u32_e32 v117, 0x3800, v214
	v_add_nc_u32_e32 v123, 0x3c00, v214
	;; [unrolled: 1-line block ×3, first 2 shown]
	s_delay_alu instid0(VALU_DEP_4)
	v_wmma_f16_16x16x16_f16 v[8:15], v[82:89], v[59:66], v[8:15] op_sel:[0,0,1]
	v_perm_b32 v82, v52, v54, 0x5040100
	v_perm_b32 v83, v69, v67, 0x5040100
	;; [unrolled: 1-line block ×4, first 2 shown]
	s_waitcnt lgkmcnt(6)
	v_perm_b32 v84, v90, v47, 0x5040100
	s_waitcnt lgkmcnt(5)
	v_perm_b32 v86, v105, v53, 0x5040100
	;; [unrolled: 2-line block ×4, first 2 shown]
	s_delay_alu instid0(VALU_DEP_1)
	v_wmma_f16_16x16x16_f16 v[0:7], v[82:89], v[59:66], v[0:7]
	v_perm_b32 v89, v45, v113, 0x7060302
	v_sub_f32_e32 v45, v81, v72
	v_perm_b32 v84, v90, v47, 0x7060302
	v_perm_b32 v82, v52, v54, 0x7060302
	;; [unrolled: 1-line block ×4, first 2 shown]
	v_mul_f32_e32 v47, 0x3fb8aa3b, v45
	v_cmp_ngt_f32_e64 s4, 0xc2ce8ed0, v45
	v_perm_b32 v83, v69, v67, 0x7060302
	v_perm_b32 v85, v94, v92, 0x7060302
	;; [unrolled: 1-line block ×3, first 2 shown]
	v_fma_f32 v52, 0x3fb8aa3b, v45, -v47
	v_rndne_f32_e32 v53, v47
	v_add_nc_u32_e32 v67, 0x3600, v214
	v_add_nc_u32_e32 v111, 0x3400, v214
	v_wmma_f16_16x16x16_f16 v[0:7], v[82:89], v[59:66], v[0:7] op_sel:[0,0,1]
	v_fmac_f32_e32 v52, 0x32a5705f, v45
	v_sub_f32_e32 v47, v47, v53
	v_cvt_i32_f32_e32 v53, v53
	s_delay_alu instid0(VALU_DEP_2) | instskip(SKIP_2) | instid1(VALU_DEP_3)
	v_add_f32_e32 v47, v47, v52
	v_sub_f32_e32 v52, v80, v72
	v_add_nc_u32_e32 v80, 0x3e00, v214
	v_exp_f32_e32 v47, v47
	s_delay_alu instid0(VALU_DEP_2) | instskip(SKIP_1) | instid1(VALU_DEP_2)
	v_mul_f32_e32 v54, 0x3fb8aa3b, v52
	v_cmp_ngt_f32_e64 s5, 0xc2ce8ed0, v52
	v_fma_f32 v55, 0x3fb8aa3b, v52, -v54
	v_rndne_f32_e32 v56, v54
	s_waitcnt_depctr 0xfff
	v_ldexp_f32 v47, v47, v53
	v_fmac_f32_e32 v55, 0x32a5705f, v52
	v_sub_f32_e32 v54, v54, v56
	s_delay_alu instid0(VALU_DEP_3) | instskip(SKIP_1) | instid1(VALU_DEP_3)
	v_cndmask_b32_e64 v47, 0, v47, s4
	v_cmp_nlt_f32_e64 s4, 0x42b17218, v45
	v_add_f32_e32 v54, v54, v55
	s_delay_alu instid0(VALU_DEP_2) | instskip(NEXT) | instid1(VALU_DEP_2)
	v_cndmask_b32_e64 v47, 0x7f800000, v47, s4
	v_exp_f32_e32 v53, v54
	v_cvt_i32_f32_e32 v54, v56
	s_waitcnt_depctr 0xfff
	v_ldexp_f32 v53, v53, v54
	ds_bpermute_b32 v54, v73, v47
	v_cndmask_b32_e64 v45, 0, v53, s5
	v_cmp_nlt_f32_e64 s5, 0x42b17218, v52
	s_delay_alu instid0(VALU_DEP_1) | instskip(SKIP_4) | instid1(VALU_DEP_2)
	v_cndmask_b32_e64 v45, 0x7f800000, v45, s5
	ds_bpermute_b32 v52, v73, v45
	s_waitcnt lgkmcnt(0)
	v_cndmask_b32_e64 v53, v45, v52, s1
	v_cndmask_b32_e32 v52, v45, v52, vcc_lo
	v_cndmask_b32_e64 v55, v53, v47, s2
	s_delay_alu instid0(VALU_DEP_2) | instskip(SKIP_2) | instid1(VALU_DEP_4)
	v_cndmask_b32_e64 v56, v52, v47, s3
	v_cvt_f16_f32_e32 v53, v53
	v_cvt_f16_f32_e32 v52, v52
	v_cndmask_b32_e64 v55, v55, v54, s1
	s_delay_alu instid0(VALU_DEP_4) | instskip(NEXT) | instid1(VALU_DEP_3)
	v_cndmask_b32_e32 v54, v56, v54, vcc_lo
	v_pack_b32_f16 v59, v53, v52
	v_sub_f32_e32 v52, v79, v72
	s_delay_alu instid0(VALU_DEP_4) | instskip(NEXT) | instid1(VALU_DEP_4)
	v_cvt_f16_f32_e32 v56, v55
	v_cvt_f16_f32_e32 v57, v54
	s_delay_alu instid0(VALU_DEP_3) | instskip(SKIP_1) | instid1(VALU_DEP_3)
	v_mul_f32_e32 v53, 0x3fb8aa3b, v52
	v_cmp_ngt_f32_e64 s4, 0xc2ce8ed0, v52
	v_pack_b32_f16 v60, v56, v57
	s_delay_alu instid0(VALU_DEP_3) | instskip(SKIP_1) | instid1(VALU_DEP_1)
	v_fma_f32 v56, 0x3fb8aa3b, v52, -v53
	v_rndne_f32_e32 v57, v53
	v_dual_fmac_f32 v56, 0x32a5705f, v52 :: v_dual_sub_f32 v53, v53, v57
	s_delay_alu instid0(VALU_DEP_1) | instskip(SKIP_1) | instid1(VALU_DEP_2)
	v_add_f32_e32 v53, v53, v56
	v_cvt_i32_f32_e32 v56, v57
	v_exp_f32_e32 v53, v53
	s_waitcnt_depctr 0xfff
	v_ldexp_f32 v53, v53, v56
	s_delay_alu instid0(VALU_DEP_1) | instskip(SKIP_1) | instid1(VALU_DEP_1)
	v_cndmask_b32_e64 v53, 0, v53, s4
	v_cmp_nlt_f32_e64 s4, 0x42b17218, v52
	v_cndmask_b32_e64 v133, 0x7f800000, v53, s4
	s_delay_alu instid0(VALU_DEP_1) | instskip(SKIP_3) | instid1(VALU_DEP_1)
	v_cndmask_b32_e64 v52, v54, v133, s3
	ds_bpermute_b32 v54, v73, v133
	v_cndmask_b32_e64 v53, v55, v133, s2
	s_waitcnt lgkmcnt(0)
	v_cndmask_b32_e64 v53, v53, v54, s1
	v_cndmask_b32_e32 v52, v52, v54, vcc_lo
	s_delay_alu instid0(VALU_DEP_2) | instskip(NEXT) | instid1(VALU_DEP_2)
	v_cvt_f16_f32_e32 v54, v53
	v_cvt_f16_f32_e32 v55, v52
	s_delay_alu instid0(VALU_DEP_1) | instskip(SKIP_2) | instid1(VALU_DEP_2)
	v_pack_b32_f16 v61, v54, v55
	v_sub_f32_e32 v54, v78, v72
	v_add_nc_u32_e32 v78, 0x3a00, v214
	v_mul_f32_e32 v55, 0x3fb8aa3b, v54
	v_cmp_ngt_f32_e64 s4, 0xc2ce8ed0, v54
	s_delay_alu instid0(VALU_DEP_2) | instskip(SKIP_1) | instid1(VALU_DEP_1)
	v_fma_f32 v56, 0x3fb8aa3b, v54, -v55
	v_rndne_f32_e32 v57, v55
	v_dual_fmac_f32 v56, 0x32a5705f, v54 :: v_dual_sub_f32 v55, v55, v57
	s_delay_alu instid0(VALU_DEP_1) | instskip(SKIP_1) | instid1(VALU_DEP_2)
	v_add_f32_e32 v55, v55, v56
	v_cvt_i32_f32_e32 v56, v57
	v_exp_f32_e32 v55, v55
	s_waitcnt_depctr 0xfff
	v_ldexp_f32 v55, v55, v56
	s_delay_alu instid0(VALU_DEP_1) | instskip(SKIP_1) | instid1(VALU_DEP_1)
	v_cndmask_b32_e64 v55, 0, v55, s4
	v_cmp_nlt_f32_e64 s4, 0x42b17218, v54
	v_cndmask_b32_e64 v134, 0x7f800000, v55, s4
	ds_bpermute_b32 v54, v73, v134
	v_cndmask_b32_e64 v52, v52, v134, s3
	v_cndmask_b32_e64 v53, v53, v134, s2
	s_waitcnt lgkmcnt(0)
	s_delay_alu instid0(VALU_DEP_1) | instskip(NEXT) | instid1(VALU_DEP_3)
	v_cndmask_b32_e64 v53, v53, v54, s1
	v_cndmask_b32_e32 v52, v52, v54, vcc_lo
	s_delay_alu instid0(VALU_DEP_2) | instskip(NEXT) | instid1(VALU_DEP_2)
	v_cvt_f16_f32_e32 v54, v53
	v_cvt_f16_f32_e32 v55, v52
	s_delay_alu instid0(VALU_DEP_1) | instskip(SKIP_1) | instid1(VALU_DEP_1)
	v_pack_b32_f16 v62, v54, v55
	v_sub_f32_e32 v54, v77, v72
	v_mul_f32_e32 v55, 0x3fb8aa3b, v54
	v_cmp_ngt_f32_e64 s4, 0xc2ce8ed0, v54
	s_delay_alu instid0(VALU_DEP_2) | instskip(SKIP_1) | instid1(VALU_DEP_1)
	v_fma_f32 v56, 0x3fb8aa3b, v54, -v55
	v_rndne_f32_e32 v57, v55
	v_dual_fmac_f32 v56, 0x32a5705f, v54 :: v_dual_sub_f32 v55, v55, v57
	s_delay_alu instid0(VALU_DEP_1) | instskip(SKIP_1) | instid1(VALU_DEP_2)
	v_add_f32_e32 v55, v55, v56
	v_cvt_i32_f32_e32 v56, v57
	v_exp_f32_e32 v55, v55
	s_waitcnt_depctr 0xfff
	v_ldexp_f32 v55, v55, v56
	s_delay_alu instid0(VALU_DEP_1) | instskip(SKIP_1) | instid1(VALU_DEP_1)
	v_cndmask_b32_e64 v55, 0, v55, s4
	v_cmp_nlt_f32_e64 s4, 0x42b17218, v54
	v_cndmask_b32_e64 v135, 0x7f800000, v55, s4
	ds_bpermute_b32 v54, v73, v135
	v_cndmask_b32_e64 v52, v52, v135, s3
	v_cndmask_b32_e64 v53, v53, v135, s2
	s_waitcnt lgkmcnt(0)
	s_delay_alu instid0(VALU_DEP_1) | instskip(NEXT) | instid1(VALU_DEP_3)
	v_cndmask_b32_e64 v53, v53, v54, s1
	v_cndmask_b32_e32 v52, v52, v54, vcc_lo
	s_delay_alu instid0(VALU_DEP_2) | instskip(NEXT) | instid1(VALU_DEP_2)
	v_cvt_f16_f32_e32 v54, v53
	v_cvt_f16_f32_e32 v55, v52
	s_delay_alu instid0(VALU_DEP_1) | instskip(SKIP_1) | instid1(VALU_DEP_1)
	v_pack_b32_f16 v63, v54, v55
	v_sub_f32_e32 v54, v76, v72
	;; [unrolled: 29-line block ×3, first 2 shown]
	v_mul_f32_e32 v55, 0x3fb8aa3b, v54
	v_cmp_ngt_f32_e64 s4, 0xc2ce8ed0, v54
	s_delay_alu instid0(VALU_DEP_2) | instskip(SKIP_1) | instid1(VALU_DEP_1)
	v_fma_f32 v56, 0x3fb8aa3b, v54, -v55
	v_rndne_f32_e32 v57, v55
	v_dual_fmac_f32 v56, 0x32a5705f, v54 :: v_dual_sub_f32 v55, v55, v57
	s_delay_alu instid0(VALU_DEP_1) | instskip(SKIP_1) | instid1(VALU_DEP_2)
	v_add_f32_e32 v55, v55, v56
	v_cvt_i32_f32_e32 v56, v57
	v_exp_f32_e32 v55, v55
	s_waitcnt_depctr 0xfff
	v_ldexp_f32 v55, v55, v56
	s_delay_alu instid0(VALU_DEP_1) | instskip(SKIP_1) | instid1(VALU_DEP_1)
	v_cndmask_b32_e64 v55, 0, v55, s4
	v_cmp_nlt_f32_e64 s4, 0x42b17218, v54
	v_cndmask_b32_e64 v144, 0x7f800000, v55, s4
	ds_bpermute_b32 v54, v73, v144
	v_cndmask_b32_e64 v53, v53, v144, s2
	v_cndmask_b32_e64 v52, v52, v144, s3
	s_waitcnt lgkmcnt(0)
	s_delay_alu instid0(VALU_DEP_2) | instskip(NEXT) | instid1(VALU_DEP_2)
	v_cndmask_b32_e64 v53, v53, v54, s1
	v_cndmask_b32_e32 v52, v52, v54, vcc_lo
	s_delay_alu instid0(VALU_DEP_2) | instskip(NEXT) | instid1(VALU_DEP_2)
	v_cvt_f16_f32_e32 v54, v53
	v_cvt_f16_f32_e32 v55, v52
	s_delay_alu instid0(VALU_DEP_1) | instskip(SKIP_1) | instid1(VALU_DEP_1)
	v_pack_b32_f16 v65, v54, v55
	v_sub_f32_e32 v54, v74, v72
	v_mul_f32_e32 v55, 0x3fb8aa3b, v54
	v_cmp_ngt_f32_e64 s4, 0xc2ce8ed0, v54
	s_delay_alu instid0(VALU_DEP_2) | instskip(SKIP_1) | instid1(VALU_DEP_1)
	v_fma_f32 v56, 0x3fb8aa3b, v54, -v55
	v_rndne_f32_e32 v57, v55
	v_dual_fmac_f32 v56, 0x32a5705f, v54 :: v_dual_sub_f32 v55, v55, v57
	s_delay_alu instid0(VALU_DEP_1) | instskip(SKIP_1) | instid1(VALU_DEP_2)
	v_add_f32_e32 v55, v55, v56
	v_cvt_i32_f32_e32 v56, v57
	v_exp_f32_e32 v55, v55
	s_waitcnt_depctr 0xfff
	v_ldexp_f32 v55, v55, v56
	s_delay_alu instid0(VALU_DEP_1) | instskip(SKIP_1) | instid1(VALU_DEP_1)
	v_cndmask_b32_e64 v55, 0, v55, s4
	v_cmp_nlt_f32_e64 s4, 0x42b17218, v54
	v_cndmask_b32_e64 v145, 0x7f800000, v55, s4
	ds_bpermute_b32 v54, v73, v145
	v_cndmask_b32_e64 v53, v53, v145, s2
	v_cndmask_b32_e64 v52, v52, v145, s3
	s_waitcnt lgkmcnt(0)
	s_delay_alu instid0(VALU_DEP_2) | instskip(NEXT) | instid1(VALU_DEP_2)
	v_cndmask_b32_e64 v53, v53, v54, s1
	v_cndmask_b32_e32 v52, v52, v54, vcc_lo
	s_delay_alu instid0(VALU_DEP_2) | instskip(NEXT) | instid1(VALU_DEP_2)
	v_cvt_f16_f32_e32 v53, v53
	v_cvt_f16_f32_e32 v52, v52
	s_delay_alu instid0(VALU_DEP_1)
	v_pack_b32_f16 v66, v53, v52
	v_add_nc_u32_e32 v52, 0x3200, v214
	ds_load_2addr_b32 v[52:53], v52 offset0:112 offset1:132
	ds_load_2addr_b32 v[54:55], v111 offset0:52 offset1:72
	;; [unrolled: 1-line block ×6, first 2 shown]
	ds_load_b32 v146, v227 offset:2176
	ds_load_2addr_b32 v[84:85], v78 offset0:76 offset1:164
	ds_load_2addr_b32 v[86:87], v123 offset0:84 offset1:104
	;; [unrolled: 1-line block ×19, first 2 shown]
	ds_load_b32 v140, v230 offset:2176
	s_waitcnt lgkmcnt(0)
	s_barrier
	buffer_gl0_inv
	v_perm_b32 v74, v53, v46, 0x5040100
	v_perm_b32 v75, v57, v55, 0x5040100
	v_perm_b32 v76, v68, v43, 0x5040100
	v_perm_b32 v77, v83, v70, 0x5040100
	v_perm_b32 v78, v85, v146, 0x5040100
	v_perm_b32 v79, v89, v87, 0x5040100
	v_perm_b32 v80, v91, v58, 0x5040100
	v_perm_b32 v81, v95, v93, 0x5040100
	s_delay_alu instid0(VALU_DEP_1)
	v_wmma_f16_16x16x16_f16 v[24:31], v[74:81], v[59:66], v[24:31]
	v_perm_b32 v74, v107, v105, 0x5040100
	v_perm_b32 v75, v111, v109, 0x5040100
	v_perm_b32 v76, v113, v141, 0x5040100
	v_perm_b32 v77, v117, v115, 0x5040100
	v_perm_b32 v78, v119, v142, 0x5040100
	v_perm_b32 v79, v123, v121, 0x5040100
	v_perm_b32 v80, v125, v40, 0x5040100
	v_perm_b32 v81, v129, v127, 0x5040100
	s_delay_alu instid0(VALU_DEP_1)
	v_wmma_f16_16x16x16_f16 v[16:23], v[74:81], v[59:66], v[16:23]
	;; [unrolled: 10-line block ×4, first 2 shown]
	v_perm_b32 v74, v53, v46, 0x7060302
	v_perm_b32 v76, v68, v43, 0x7060302
	;; [unrolled: 1-line block ×8, first 2 shown]
	s_delay_alu instid0(VALU_DEP_1)
	v_wmma_f16_16x16x16_f16 v[24:31], v[74:81], v[59:66], v[24:31] op_sel:[0,0,1]
	v_perm_b32 v80, v125, v40, 0x7060302
	v_add_f32_e32 v40, v97, v98
	v_perm_b32 v76, v113, v141, 0x7060302
	v_perm_b32 v78, v119, v142, 0x7060302
	v_perm_b32 v74, v107, v105, 0x7060302
	v_perm_b32 v75, v111, v109, 0x7060302
	v_add_f32_e32 v40, v99, v40
	v_perm_b32 v77, v117, v115, 0x7060302
	v_perm_b32 v79, v123, v121, 0x7060302
	;; [unrolled: 1-line block ×3, first 2 shown]
	s_delay_alu instid0(VALU_DEP_4) | instskip(NEXT) | instid1(VALU_DEP_2)
	v_add_f32_e32 v40, v100, v40
	v_wmma_f16_16x16x16_f16 v[16:23], v[74:81], v[59:66], v[16:23] op_sel:[0,0,1]
	v_perm_b32 v74, v108, v106, 0x7060302
	s_delay_alu instid0(VALU_DEP_3)
	v_add_f32_e32 v40, v101, v40
	v_perm_b32 v75, v112, v110, 0x7060302
	v_perm_b32 v77, v118, v116, 0x7060302
	;; [unrolled: 1-line block ×4, first 2 shown]
	v_add_f32_e32 v40, v102, v40
	v_perm_b32 v76, v114, v41, 0x7060302
	v_perm_b32 v78, v120, v140, 0x7060302
	;; [unrolled: 1-line block ×3, first 2 shown]
	s_delay_alu instid0(VALU_DEP_4) | instskip(NEXT) | instid1(VALU_DEP_2)
	v_add_f32_e32 v40, v103, v40
	v_wmma_f16_16x16x16_f16 v[8:15], v[74:81], v[59:66], v[8:15] op_sel:[0,0,1]
	v_perm_b32 v74, v54, v52, 0x7060302
	s_delay_alu instid0(VALU_DEP_3)
	v_add_f32_e32 v40, v104, v40
	v_perm_b32 v75, v67, v56, 0x7060302
	v_perm_b32 v77, v84, v82, 0x7060302
	;; [unrolled: 1-line block ×4, first 2 shown]
	v_add_f32_e32 v32, v32, v40
	v_perm_b32 v78, v86, v131, 0x7060302
	v_perm_b32 v80, v92, v132, 0x7060302
	;; [unrolled: 1-line block ×3, first 2 shown]
	s_delay_alu instid0(VALU_DEP_4) | instskip(NEXT) | instid1(VALU_DEP_2)
	v_add_f32_e32 v32, v33, v32
	v_wmma_f16_16x16x16_f16 v[0:7], v[74:81], v[59:66], v[0:7] op_sel:[0,0,1]
	s_delay_alu instid0(VALU_DEP_2) | instskip(NEXT) | instid1(VALU_DEP_1)
	v_add_f32_e32 v32, v34, v32
	v_add_f32_e32 v32, v35, v32
	s_delay_alu instid0(VALU_DEP_1) | instskip(NEXT) | instid1(VALU_DEP_1)
	v_add_f32_e32 v32, v36, v32
	v_add_f32_e32 v32, v37, v32
	s_delay_alu instid0(VALU_DEP_1) | instskip(NEXT) | instid1(VALU_DEP_1)
	;; [unrolled: 3-line block ×10, first 2 shown]
	v_add_f32_e32 v32, v144, v32
	v_add_f32_e32 v32, v145, v32
	s_delay_alu instid0(VALU_DEP_1)
	v_fmac_f32_e32 v32, v186, v96
	ds_bpermute_b32 v33, v73, v32
	s_waitcnt lgkmcnt(0)
	v_add_f32_e32 v32, v32, v33
	s_cbranch_scc1 .LBB24_259
; %bb.258:                              ;   in Loop: Header=BB24_14 Depth=1
	scratch_load_b32 v33, off, off offset:656 ; 4-byte Folded Reload
	s_waitcnt vmcnt(0)
	v_dual_max_f32 v34, v72, v72 :: v_dual_lshlrev_b32 v33, 2, v33
	global_load_b32 v33, v33, s[72:73]
	s_waitcnt vmcnt(0)
	v_max_f32_e32 v35, v33, v33
	s_delay_alu instid0(VALU_DEP_1) | instskip(NEXT) | instid1(VALU_DEP_1)
	v_max_f32_e32 v34, v34, v35
	v_sub_f32_e32 v33, v33, v34
	s_delay_alu instid0(VALU_DEP_1) | instskip(NEXT) | instid1(VALU_DEP_1)
	v_mul_f32_e32 v39, 0x3fb8aa3b, v33
	v_fma_f32 v40, 0x3fb8aa3b, v33, -v39
	v_sub_f32_e32 v35, v72, v34
	v_rndne_f32_e32 v41, v39
	v_mov_b32_e32 v72, v34
	s_delay_alu instid0(VALU_DEP_4) | instskip(NEXT) | instid1(VALU_DEP_4)
	v_fmac_f32_e32 v40, 0x32a5705f, v33
	v_mul_f32_e32 v36, 0x3fb8aa3b, v35
	v_cmp_ngt_f32_e32 vcc_lo, 0xc2ce8ed0, v35
	s_delay_alu instid0(VALU_DEP_2) | instskip(SKIP_1) | instid1(VALU_DEP_1)
	v_fma_f32 v37, 0x3fb8aa3b, v35, -v36
	v_rndne_f32_e32 v38, v36
	v_dual_fmac_f32 v37, 0x32a5705f, v35 :: v_dual_sub_f32 v36, v36, v38
	v_cvt_i32_f32_e32 v38, v38
	s_delay_alu instid0(VALU_DEP_2) | instskip(SKIP_1) | instid1(VALU_DEP_2)
	v_add_f32_e32 v36, v36, v37
	v_sub_f32_e32 v37, v39, v41
	v_exp_f32_e32 v36, v36
	s_delay_alu instid0(VALU_DEP_1) | instskip(NEXT) | instid1(VALU_DEP_1)
	v_add_f32_e32 v37, v37, v40
	v_exp_f32_e32 v37, v37
	s_waitcnt_depctr 0xfff
	v_ldexp_f32 v36, v36, v38
	v_cvt_i32_f32_e32 v38, v41
	s_delay_alu instid0(VALU_DEP_2) | instskip(SKIP_1) | instid1(VALU_DEP_3)
	v_cndmask_b32_e32 v36, 0, v36, vcc_lo
	v_cmp_nlt_f32_e32 vcc_lo, 0x42b17218, v35
	v_ldexp_f32 v37, v37, v38
	s_delay_alu instid0(VALU_DEP_3) | instskip(SKIP_1) | instid1(VALU_DEP_3)
	v_cndmask_b32_e32 v36, 0x7f800000, v36, vcc_lo
	v_cmp_ngt_f32_e32 vcc_lo, 0xc2ce8ed0, v33
	v_cndmask_b32_e32 v37, 0, v37, vcc_lo
	v_cmp_le_f32_e32 vcc_lo, 0xc1a00000, v35
	s_delay_alu instid0(VALU_DEP_4) | instskip(SKIP_1) | instid1(VALU_DEP_2)
	v_cndmask_b32_e32 v35, 0, v36, vcc_lo
	v_cmp_nlt_f32_e32 vcc_lo, 0x42b17218, v33
	v_cvt_f16_f32_e32 v36, v35
	v_cndmask_b32_e32 v33, 0x7f800000, v37, vcc_lo
	s_delay_alu instid0(VALU_DEP_2) | instskip(NEXT) | instid1(VALU_DEP_2)
	v_pk_mul_f16 v24, v36, v24 op_sel_hi:[0,1]
	v_fmac_f32_e32 v33, v32, v35
	v_pk_mul_f16 v25, v36, v25 op_sel_hi:[0,1]
	v_pk_mul_f16 v26, v36, v26 op_sel_hi:[0,1]
	;; [unrolled: 1-line block ×4, first 2 shown]
	v_mov_b32_e32 v32, v33
	v_pk_mul_f16 v29, v36, v29 op_sel_hi:[0,1]
	v_pk_mul_f16 v30, v36, v30 op_sel_hi:[0,1]
	;; [unrolled: 1-line block ×27, first 2 shown]
.LBB24_259:                             ;   in Loop: Header=BB24_14 Depth=1
	s_mov_b32 s1, exec_lo
	s_clause 0x2
	scratch_load_b32 v113, off, off offset:16
	scratch_load_b32 v186, off, off offset:12
	;; [unrolled: 1-line block ×3, first 2 shown]
	s_and_b32 s2, s1, s0
	s_delay_alu instid0(SALU_CYCLE_1)
	s_mov_b32 exec_lo, s2
	s_cbranch_execz .LBB24_261
; %bb.260:                              ;   in Loop: Header=BB24_14 Depth=1
	scratch_load_b32 v33, off, off offset:760 ; 4-byte Folded Reload
	s_waitcnt vmcnt(0)
	ds_store_2addr_b32 v33, v72, v32 offset0:64 offset1:65
.LBB24_261:                             ;   in Loop: Header=BB24_14 Depth=1
	s_or_b32 exec_lo, exec_lo, s1
	s_waitcnt vmcnt(0) lgkmcnt(0)
	s_barrier
	buffer_gl0_inv
	scratch_load_b32 v32, off, off offset:648 ; 4-byte Folded Reload
	s_waitcnt vmcnt(0)
	ds_store_2addr_b32 v32, v24, v25 offset1:2
	ds_store_2addr_b32 v32, v26, v27 offset0:4 offset1:6
	ds_store_2addr_b32 v32, v28, v29 offset0:8 offset1:10
	;; [unrolled: 1-line block ×14, first 2 shown]
	v_mov_b32_e32 v0, 50
	ds_store_2addr_b32 v32, v6, v7 offset0:60 offset1:62
	s_waitcnt lgkmcnt(0)
	s_barrier
	buffer_gl0_inv
	s_and_saveexec_b32 s4, s66
	s_cbranch_execz .LBB24_263
; %bb.262:                              ;   in Loop: Header=BB24_14 Depth=1
	s_clause 0x1
	scratch_load_b32 v2, off, off offset:716
	scratch_load_b32 v12, off, off offset:524
	ds_load_2addr_b32 v[0:1], v196 offset1:32
	s_waitcnt lgkmcnt(0)
	v_lshrrev_b32_e32 v3, 16, v1
	v_cvt_f32_f16_e32 v1, v1
	s_delay_alu instid0(VALU_DEP_2) | instskip(NEXT) | instid1(VALU_DEP_2)
	v_cvt_f32_f16_e32 v3, v3
	v_add_f32_e32 v6, 0, v1
	s_waitcnt vmcnt(1)
	ds_load_b32 v7, v2 offset:260
	v_cvt_f32_f16_e32 v2, v0
	v_lshrrev_b32_e32 v0, 16, v0
	s_delay_alu instid0(VALU_DEP_1) | instskip(NEXT) | instid1(VALU_DEP_1)
	v_cvt_f32_f16_e32 v0, v0
	v_dual_add_f32 v2, 0, v2 :: v_dual_add_f32 v5, 0, v0
	s_waitcnt vmcnt(0)
	v_mad_u64_u32 v[0:1], null, v12, s9, v[162:163]
	s_waitcnt lgkmcnt(0)
	s_delay_alu instid0(VALU_DEP_2) | instskip(SKIP_2) | instid1(VALU_DEP_3)
	v_div_scale_f32 v4, null, v7, v7, v2
	v_div_scale_f32 v10, null, v7, v7, v5
	v_div_scale_f32 v15, vcc_lo, v2, v7, v2
	v_rcp_f32_e32 v9, v4
	s_delay_alu instid0(VALU_DEP_2)
	v_rcp_f32_e32 v13, v10
	v_div_scale_f32 v16, s1, v6, v7, v6
	v_div_scale_f32 v17, s2, v5, v7, v5
	v_lshl_add_u32 v0, v0, 6, v169
	s_waitcnt_depctr 0xfff
	v_fma_f32 v1, -v4, v9, 1.0
	v_add_f32_e32 v8, 0, v3
	v_div_scale_f32 v3, null, v7, v7, v6
	s_delay_alu instid0(VALU_DEP_3) | instskip(NEXT) | instid1(VALU_DEP_3)
	v_fmac_f32_e32 v9, v1, v9
	v_div_scale_f32 v11, null, v7, v7, v8
	s_delay_alu instid0(VALU_DEP_3) | instskip(SKIP_2) | instid1(VALU_DEP_3)
	v_rcp_f32_e32 v12, v3
	v_fma_f32 v1, -v10, v13, 1.0
	v_div_scale_f32 v20, s3, v8, v7, v8
	v_rcp_f32_e32 v14, v11
	s_delay_alu instid0(VALU_DEP_2) | instskip(SKIP_4) | instid1(VALU_DEP_3)
	v_fmac_f32_e32 v13, v1, v13
	s_waitcnt_depctr 0xfff
	v_fma_f32 v18, -v3, v12, 1.0
	v_mul_f32_e32 v21, v17, v13
	v_fma_f32 v19, -v11, v14, 1.0
	v_fmac_f32_e32 v12, v18, v12
	v_mul_f32_e32 v18, v15, v9
	s_delay_alu instid0(VALU_DEP_4) | instskip(NEXT) | instid1(VALU_DEP_3)
	v_fma_f32 v24, -v10, v21, v17
	v_dual_fmac_f32 v14, v19, v14 :: v_dual_mul_f32 v19, v16, v12
	s_delay_alu instid0(VALU_DEP_3) | instskip(NEXT) | instid1(VALU_DEP_2)
	v_fma_f32 v1, -v4, v18, v15
	v_fma_f32 v23, -v3, v19, v16
	s_delay_alu instid0(VALU_DEP_3) | instskip(NEXT) | instid1(VALU_DEP_3)
	v_mul_f32_e32 v22, v20, v14
	v_fmac_f32_e32 v18, v1, v9
	v_ashrrev_i32_e32 v1, 31, v0
	s_delay_alu instid0(VALU_DEP_4) | instskip(NEXT) | instid1(VALU_DEP_4)
	v_fmac_f32_e32 v19, v23, v12
	v_fma_f32 v25, -v11, v22, v20
	s_delay_alu instid0(VALU_DEP_4)
	v_fma_f32 v4, -v4, v18, v15
	v_fmac_f32_e32 v21, v24, v13
	v_lshlrev_b64 v[0:1], 3, v[0:1]
	v_fma_f32 v3, -v3, v19, v16
	v_fmac_f32_e32 v22, v25, v14
	v_div_fmas_f32 v4, v4, v9, v18
	v_fma_f32 v9, -v10, v21, v17
	s_mov_b32 vcc_lo, s2
	s_delay_alu instid0(VALU_DEP_3) | instskip(NEXT) | instid1(VALU_DEP_3)
	v_fma_f32 v10, -v11, v22, v20
	v_div_fixup_f32 v2, v4, v7, v2
	s_delay_alu instid0(VALU_DEP_3) | instskip(SKIP_3) | instid1(VALU_DEP_2)
	v_div_fmas_f32 v4, v9, v13, v21
	s_mov_b32 vcc_lo, s1
	v_div_fmas_f32 v9, v3, v12, v19
	s_mov_b32 vcc_lo, s3
	v_div_fixup_f32 v3, v4, v7, v5
	v_div_fmas_f32 v10, v10, v14, v22
	v_add_co_u32 v4, vcc_lo, s49, v0
	v_add_co_ci_u32_e32 v5, vcc_lo, s67, v1, vcc_lo
	v_mov_b32_e32 v0, 0
	v_div_fixup_f32 v6, v9, v7, v6
	v_div_fixup_f32 v7, v10, v7, v8
	s_clause 0x1
	global_store_b64 v[4:5], v[2:3], off
	global_store_b64 v[4:5], v[6:7], off offset:256
.LBB24_263:                             ;   in Loop: Header=BB24_14 Depth=1
	s_or_b32 exec_lo, exec_lo, s4
	s_mov_b32 s1, -1
	s_mov_b32 s2, exec_lo
	v_cmpx_gt_i32_e32 50, v0
; %bb.264:                              ;   in Loop: Header=BB24_14 Depth=1
	v_cmp_eq_u32_e32 vcc_lo, 0, v0
	s_or_not1_b32 s1, vcc_lo, exec_lo
; %bb.265:                              ;   in Loop: Header=BB24_14 Depth=1
	s_or_b32 exec_lo, exec_lo, s2
                                        ; implicit-def: $vgpr1
                                        ; implicit-def: $vgpr2
	s_and_saveexec_b32 s4, s1
	s_cbranch_execz .LBB24_353
; %bb.266:                              ;   in Loop: Header=BB24_14 Depth=1
	v_mov_b32_e32 v0, 50
	s_and_saveexec_b32 s5, s94
	s_cbranch_execz .LBB24_268
; %bb.267:                              ;   in Loop: Header=BB24_14 Depth=1
	s_clause 0x1
	scratch_load_b32 v2, off, off offset:716
	scratch_load_b32 v12, off, off offset:528
	ds_load_2addr_b32 v[0:1], v205 offset1:32
	s_waitcnt lgkmcnt(0)
	v_lshrrev_b32_e32 v3, 16, v1
	v_cvt_f32_f16_e32 v1, v1
	s_delay_alu instid0(VALU_DEP_2) | instskip(NEXT) | instid1(VALU_DEP_2)
	v_cvt_f32_f16_e32 v3, v3
	v_add_f32_e32 v6, 0, v1
	s_waitcnt vmcnt(1)
	ds_load_b32 v7, v2 offset:1348
	v_cvt_f32_f16_e32 v2, v0
	v_lshrrev_b32_e32 v0, 16, v0
	s_delay_alu instid0(VALU_DEP_1) | instskip(NEXT) | instid1(VALU_DEP_1)
	v_cvt_f32_f16_e32 v0, v0
	v_dual_add_f32 v2, 0, v2 :: v_dual_add_f32 v5, 0, v0
	s_waitcnt vmcnt(0)
	v_mad_u64_u32 v[0:1], null, v12, s9, v[162:163]
	s_waitcnt lgkmcnt(0)
	s_delay_alu instid0(VALU_DEP_2) | instskip(SKIP_2) | instid1(VALU_DEP_3)
	v_div_scale_f32 v4, null, v7, v7, v2
	v_div_scale_f32 v10, null, v7, v7, v5
	v_div_scale_f32 v15, vcc_lo, v2, v7, v2
	v_rcp_f32_e32 v9, v4
	s_delay_alu instid0(VALU_DEP_2)
	v_rcp_f32_e32 v13, v10
	v_div_scale_f32 v16, s1, v6, v7, v6
	v_div_scale_f32 v17, s2, v5, v7, v5
	v_lshl_add_u32 v0, v0, 6, v169
	s_waitcnt_depctr 0xfff
	v_fma_f32 v1, -v4, v9, 1.0
	v_add_f32_e32 v8, 0, v3
	v_div_scale_f32 v3, null, v7, v7, v6
	s_delay_alu instid0(VALU_DEP_3) | instskip(NEXT) | instid1(VALU_DEP_3)
	v_fmac_f32_e32 v9, v1, v9
	v_div_scale_f32 v11, null, v7, v7, v8
	s_delay_alu instid0(VALU_DEP_3) | instskip(SKIP_2) | instid1(VALU_DEP_3)
	v_rcp_f32_e32 v12, v3
	v_fma_f32 v1, -v10, v13, 1.0
	v_div_scale_f32 v20, s3, v8, v7, v8
	v_rcp_f32_e32 v14, v11
	s_delay_alu instid0(VALU_DEP_2) | instskip(SKIP_4) | instid1(VALU_DEP_3)
	v_fmac_f32_e32 v13, v1, v13
	s_waitcnt_depctr 0xfff
	v_fma_f32 v18, -v3, v12, 1.0
	v_mul_f32_e32 v21, v17, v13
	v_fma_f32 v19, -v11, v14, 1.0
	v_fmac_f32_e32 v12, v18, v12
	v_mul_f32_e32 v18, v15, v9
	s_delay_alu instid0(VALU_DEP_4) | instskip(NEXT) | instid1(VALU_DEP_3)
	v_fma_f32 v24, -v10, v21, v17
	v_dual_fmac_f32 v14, v19, v14 :: v_dual_mul_f32 v19, v16, v12
	s_delay_alu instid0(VALU_DEP_3) | instskip(NEXT) | instid1(VALU_DEP_2)
	v_fma_f32 v1, -v4, v18, v15
	v_fma_f32 v23, -v3, v19, v16
	s_delay_alu instid0(VALU_DEP_3) | instskip(NEXT) | instid1(VALU_DEP_3)
	v_mul_f32_e32 v22, v20, v14
	v_fmac_f32_e32 v18, v1, v9
	v_ashrrev_i32_e32 v1, 31, v0
	s_delay_alu instid0(VALU_DEP_4) | instskip(NEXT) | instid1(VALU_DEP_4)
	v_fmac_f32_e32 v19, v23, v12
	v_fma_f32 v25, -v11, v22, v20
	s_delay_alu instid0(VALU_DEP_4)
	v_fma_f32 v4, -v4, v18, v15
	v_fmac_f32_e32 v21, v24, v13
	v_lshlrev_b64 v[0:1], 3, v[0:1]
	v_fma_f32 v3, -v3, v19, v16
	v_fmac_f32_e32 v22, v25, v14
	v_div_fmas_f32 v4, v4, v9, v18
	v_fma_f32 v9, -v10, v21, v17
	s_mov_b32 vcc_lo, s2
	s_delay_alu instid0(VALU_DEP_3) | instskip(NEXT) | instid1(VALU_DEP_3)
	v_fma_f32 v10, -v11, v22, v20
	v_div_fixup_f32 v2, v4, v7, v2
	s_delay_alu instid0(VALU_DEP_3) | instskip(SKIP_3) | instid1(VALU_DEP_2)
	v_div_fmas_f32 v4, v9, v13, v21
	s_mov_b32 vcc_lo, s1
	v_div_fmas_f32 v9, v3, v12, v19
	s_mov_b32 vcc_lo, s3
	v_div_fixup_f32 v3, v4, v7, v5
	v_div_fmas_f32 v10, v10, v14, v22
	v_add_co_u32 v4, vcc_lo, s49, v0
	v_add_co_ci_u32_e32 v5, vcc_lo, s67, v1, vcc_lo
	v_mov_b32_e32 v0, 0
	v_div_fixup_f32 v6, v9, v7, v6
	v_div_fixup_f32 v7, v10, v7, v8
	s_clause 0x1
	global_store_b64 v[4:5], v[2:3], off
	global_store_b64 v[4:5], v[6:7], off offset:256
.LBB24_268:                             ;   in Loop: Header=BB24_14 Depth=1
	s_or_b32 exec_lo, exec_lo, s5
	s_mov_b32 s2, -1
	s_mov_b32 s1, exec_lo
	v_cmpx_gt_i32_e32 50, v0
; %bb.269:                              ;   in Loop: Header=BB24_14 Depth=1
	v_cmp_eq_u32_e32 vcc_lo, 0, v0
	s_or_not1_b32 s2, vcc_lo, exec_lo
; %bb.270:                              ;   in Loop: Header=BB24_14 Depth=1
	s_or_b32 exec_lo, exec_lo, s1
	s_mov_b32 s1, s75
                                        ; implicit-def: $vgpr1
                                        ; implicit-def: $vgpr2
	s_and_saveexec_b32 s5, s2
	s_cbranch_execz .LBB24_352
; %bb.271:                              ;   in Loop: Header=BB24_14 Depth=1
	v_mov_b32_e32 v0, 50
	s_and_saveexec_b32 s6, s93
	s_cbranch_execz .LBB24_273
; %bb.272:                              ;   in Loop: Header=BB24_14 Depth=1
	s_clause 0x2
	scratch_load_b32 v0, off, off offset:452
	scratch_load_b32 v12, off, off offset:532
	;; [unrolled: 1-line block ×3, first 2 shown]
	s_waitcnt vmcnt(2)
	ds_load_2addr_b32 v[0:1], v0 offset1:32
	s_waitcnt vmcnt(0)
	ds_load_b32 v7, v2 offset:2436
	s_waitcnt lgkmcnt(1)
	v_cvt_f32_f16_e32 v2, v0
	v_lshrrev_b32_e32 v0, 16, v0
	v_lshrrev_b32_e32 v3, 16, v1
	v_cvt_f32_f16_e32 v1, v1
	s_delay_alu instid0(VALU_DEP_3) | instskip(SKIP_1) | instid1(VALU_DEP_4)
	v_cvt_f32_f16_e32 v0, v0
	v_add_f32_e32 v2, 0, v2
	v_cvt_f32_f16_e32 v3, v3
	s_delay_alu instid0(VALU_DEP_3) | instskip(SKIP_1) | instid1(VALU_DEP_3)
	v_dual_add_f32 v6, 0, v1 :: v_dual_add_f32 v5, 0, v0
	s_waitcnt lgkmcnt(0)
	v_div_scale_f32 v4, null, v7, v7, v2
	v_mad_u64_u32 v[0:1], null, v12, s9, v[162:163]
	s_delay_alu instid0(VALU_DEP_3) | instskip(NEXT) | instid1(VALU_DEP_3)
	v_div_scale_f32 v10, null, v7, v7, v5
	v_rcp_f32_e32 v9, v4
	v_div_scale_f32 v15, vcc_lo, v2, v7, v2
	s_delay_alu instid0(VALU_DEP_2)
	v_rcp_f32_e32 v13, v10
	v_div_scale_f32 v16, s1, v6, v7, v6
	v_div_scale_f32 v17, s2, v5, v7, v5
	v_lshl_add_u32 v0, v0, 6, v169
	s_waitcnt_depctr 0xfff
	v_fma_f32 v1, -v4, v9, 1.0
	v_add_f32_e32 v8, 0, v3
	v_div_scale_f32 v3, null, v7, v7, v6
	s_delay_alu instid0(VALU_DEP_3) | instskip(NEXT) | instid1(VALU_DEP_3)
	v_fmac_f32_e32 v9, v1, v9
	v_div_scale_f32 v11, null, v7, v7, v8
	s_delay_alu instid0(VALU_DEP_3) | instskip(SKIP_2) | instid1(VALU_DEP_3)
	v_rcp_f32_e32 v12, v3
	v_fma_f32 v1, -v10, v13, 1.0
	v_div_scale_f32 v20, s3, v8, v7, v8
	v_rcp_f32_e32 v14, v11
	s_delay_alu instid0(VALU_DEP_2) | instskip(SKIP_4) | instid1(VALU_DEP_3)
	v_fmac_f32_e32 v13, v1, v13
	s_waitcnt_depctr 0xfff
	v_fma_f32 v18, -v3, v12, 1.0
	v_mul_f32_e32 v21, v17, v13
	v_fma_f32 v19, -v11, v14, 1.0
	v_fmac_f32_e32 v12, v18, v12
	v_mul_f32_e32 v18, v15, v9
	s_delay_alu instid0(VALU_DEP_4) | instskip(NEXT) | instid1(VALU_DEP_3)
	v_fma_f32 v24, -v10, v21, v17
	v_dual_fmac_f32 v14, v19, v14 :: v_dual_mul_f32 v19, v16, v12
	s_delay_alu instid0(VALU_DEP_3) | instskip(NEXT) | instid1(VALU_DEP_2)
	v_fma_f32 v1, -v4, v18, v15
	v_fma_f32 v23, -v3, v19, v16
	s_delay_alu instid0(VALU_DEP_3) | instskip(NEXT) | instid1(VALU_DEP_3)
	v_mul_f32_e32 v22, v20, v14
	v_fmac_f32_e32 v18, v1, v9
	v_ashrrev_i32_e32 v1, 31, v0
	s_delay_alu instid0(VALU_DEP_4) | instskip(NEXT) | instid1(VALU_DEP_4)
	v_fmac_f32_e32 v19, v23, v12
	v_fma_f32 v25, -v11, v22, v20
	s_delay_alu instid0(VALU_DEP_4)
	v_fma_f32 v4, -v4, v18, v15
	v_fmac_f32_e32 v21, v24, v13
	v_lshlrev_b64 v[0:1], 3, v[0:1]
	v_fma_f32 v3, -v3, v19, v16
	v_fmac_f32_e32 v22, v25, v14
	v_div_fmas_f32 v4, v4, v9, v18
	v_fma_f32 v9, -v10, v21, v17
	s_mov_b32 vcc_lo, s2
	s_delay_alu instid0(VALU_DEP_3) | instskip(NEXT) | instid1(VALU_DEP_3)
	v_fma_f32 v10, -v11, v22, v20
	v_div_fixup_f32 v2, v4, v7, v2
	s_delay_alu instid0(VALU_DEP_3) | instskip(SKIP_3) | instid1(VALU_DEP_2)
	v_div_fmas_f32 v4, v9, v13, v21
	s_mov_b32 vcc_lo, s1
	v_div_fmas_f32 v9, v3, v12, v19
	s_mov_b32 vcc_lo, s3
	v_div_fixup_f32 v3, v4, v7, v5
	v_div_fmas_f32 v10, v10, v14, v22
	v_add_co_u32 v4, vcc_lo, s49, v0
	v_add_co_ci_u32_e32 v5, vcc_lo, s67, v1, vcc_lo
	v_mov_b32_e32 v0, 0
	v_div_fixup_f32 v6, v9, v7, v6
	v_div_fixup_f32 v7, v10, v7, v8
	s_clause 0x1
	global_store_b64 v[4:5], v[2:3], off
	global_store_b64 v[4:5], v[6:7], off offset:256
.LBB24_273:                             ;   in Loop: Header=BB24_14 Depth=1
	s_or_b32 exec_lo, exec_lo, s6
	s_mov_b32 s2, -1
	s_mov_b32 s1, exec_lo
	v_cmpx_gt_i32_e32 50, v0
; %bb.274:                              ;   in Loop: Header=BB24_14 Depth=1
	v_cmp_eq_u32_e32 vcc_lo, 0, v0
	s_or_not1_b32 s2, vcc_lo, exec_lo
; %bb.275:                              ;   in Loop: Header=BB24_14 Depth=1
	s_or_b32 exec_lo, exec_lo, s1
	s_mov_b32 s1, s75
                                        ; implicit-def: $vgpr1
                                        ; implicit-def: $vgpr2
	s_and_saveexec_b32 s6, s2
	s_cbranch_execz .LBB24_351
; %bb.276:                              ;   in Loop: Header=BB24_14 Depth=1
	v_mov_b32_e32 v0, 50
	s_and_saveexec_b32 s7, s92
	s_cbranch_execz .LBB24_278
; %bb.277:                              ;   in Loop: Header=BB24_14 Depth=1
	s_clause 0x2
	scratch_load_b32 v0, off, off offset:456
	scratch_load_b32 v12, off, off offset:536
	;; [unrolled: 1-line block ×3, first 2 shown]
	s_waitcnt vmcnt(2)
	ds_load_2addr_b32 v[0:1], v0 offset1:32
	s_waitcnt vmcnt(0)
	ds_load_b32 v7, v2 offset:3524
	s_waitcnt lgkmcnt(1)
	v_cvt_f32_f16_e32 v2, v0
	v_lshrrev_b32_e32 v0, 16, v0
	v_lshrrev_b32_e32 v3, 16, v1
	v_cvt_f32_f16_e32 v1, v1
	s_delay_alu instid0(VALU_DEP_3) | instskip(SKIP_1) | instid1(VALU_DEP_4)
	v_cvt_f32_f16_e32 v0, v0
	v_add_f32_e32 v2, 0, v2
	v_cvt_f32_f16_e32 v3, v3
	s_delay_alu instid0(VALU_DEP_3) | instskip(SKIP_1) | instid1(VALU_DEP_3)
	v_dual_add_f32 v6, 0, v1 :: v_dual_add_f32 v5, 0, v0
	s_waitcnt lgkmcnt(0)
	v_div_scale_f32 v4, null, v7, v7, v2
	v_mad_u64_u32 v[0:1], null, v12, s9, v[162:163]
	s_delay_alu instid0(VALU_DEP_3) | instskip(NEXT) | instid1(VALU_DEP_3)
	v_div_scale_f32 v10, null, v7, v7, v5
	v_rcp_f32_e32 v9, v4
	v_div_scale_f32 v15, vcc_lo, v2, v7, v2
	s_delay_alu instid0(VALU_DEP_2)
	v_rcp_f32_e32 v13, v10
	v_div_scale_f32 v16, s1, v6, v7, v6
	v_div_scale_f32 v17, s2, v5, v7, v5
	v_lshl_add_u32 v0, v0, 6, v169
	s_waitcnt_depctr 0xfff
	v_fma_f32 v1, -v4, v9, 1.0
	v_add_f32_e32 v8, 0, v3
	v_div_scale_f32 v3, null, v7, v7, v6
	s_delay_alu instid0(VALU_DEP_3) | instskip(NEXT) | instid1(VALU_DEP_3)
	v_fmac_f32_e32 v9, v1, v9
	v_div_scale_f32 v11, null, v7, v7, v8
	s_delay_alu instid0(VALU_DEP_3) | instskip(SKIP_2) | instid1(VALU_DEP_3)
	v_rcp_f32_e32 v12, v3
	v_fma_f32 v1, -v10, v13, 1.0
	v_div_scale_f32 v20, s3, v8, v7, v8
	v_rcp_f32_e32 v14, v11
	s_delay_alu instid0(VALU_DEP_2) | instskip(SKIP_4) | instid1(VALU_DEP_3)
	v_fmac_f32_e32 v13, v1, v13
	s_waitcnt_depctr 0xfff
	v_fma_f32 v18, -v3, v12, 1.0
	v_mul_f32_e32 v21, v17, v13
	v_fma_f32 v19, -v11, v14, 1.0
	v_fmac_f32_e32 v12, v18, v12
	v_mul_f32_e32 v18, v15, v9
	s_delay_alu instid0(VALU_DEP_4) | instskip(NEXT) | instid1(VALU_DEP_3)
	v_fma_f32 v24, -v10, v21, v17
	v_dual_fmac_f32 v14, v19, v14 :: v_dual_mul_f32 v19, v16, v12
	s_delay_alu instid0(VALU_DEP_3) | instskip(NEXT) | instid1(VALU_DEP_2)
	v_fma_f32 v1, -v4, v18, v15
	v_fma_f32 v23, -v3, v19, v16
	s_delay_alu instid0(VALU_DEP_3) | instskip(NEXT) | instid1(VALU_DEP_3)
	v_mul_f32_e32 v22, v20, v14
	v_fmac_f32_e32 v18, v1, v9
	v_ashrrev_i32_e32 v1, 31, v0
	s_delay_alu instid0(VALU_DEP_4) | instskip(NEXT) | instid1(VALU_DEP_4)
	v_fmac_f32_e32 v19, v23, v12
	v_fma_f32 v25, -v11, v22, v20
	s_delay_alu instid0(VALU_DEP_4)
	v_fma_f32 v4, -v4, v18, v15
	v_fmac_f32_e32 v21, v24, v13
	v_lshlrev_b64 v[0:1], 3, v[0:1]
	v_fma_f32 v3, -v3, v19, v16
	v_fmac_f32_e32 v22, v25, v14
	v_div_fmas_f32 v4, v4, v9, v18
	v_fma_f32 v9, -v10, v21, v17
	s_mov_b32 vcc_lo, s2
	s_delay_alu instid0(VALU_DEP_3) | instskip(NEXT) | instid1(VALU_DEP_3)
	v_fma_f32 v10, -v11, v22, v20
	v_div_fixup_f32 v2, v4, v7, v2
	s_delay_alu instid0(VALU_DEP_3) | instskip(SKIP_3) | instid1(VALU_DEP_2)
	v_div_fmas_f32 v4, v9, v13, v21
	s_mov_b32 vcc_lo, s1
	v_div_fmas_f32 v9, v3, v12, v19
	s_mov_b32 vcc_lo, s3
	v_div_fixup_f32 v3, v4, v7, v5
	v_div_fmas_f32 v10, v10, v14, v22
	v_add_co_u32 v4, vcc_lo, s49, v0
	v_add_co_ci_u32_e32 v5, vcc_lo, s67, v1, vcc_lo
	v_mov_b32_e32 v0, 0
	v_div_fixup_f32 v6, v9, v7, v6
	v_div_fixup_f32 v7, v10, v7, v8
	s_clause 0x1
	global_store_b64 v[4:5], v[2:3], off
	global_store_b64 v[4:5], v[6:7], off offset:256
.LBB24_278:                             ;   in Loop: Header=BB24_14 Depth=1
	s_or_b32 exec_lo, exec_lo, s7
	s_mov_b32 s2, -1
	s_mov_b32 s1, exec_lo
	v_cmpx_gt_i32_e32 50, v0
; %bb.279:                              ;   in Loop: Header=BB24_14 Depth=1
	v_cmp_eq_u32_e32 vcc_lo, 0, v0
	s_or_not1_b32 s2, vcc_lo, exec_lo
; %bb.280:                              ;   in Loop: Header=BB24_14 Depth=1
	s_or_b32 exec_lo, exec_lo, s1
	s_mov_b32 s1, s75
                                        ; implicit-def: $vgpr1
                                        ; implicit-def: $vgpr2
	s_and_saveexec_b32 s7, s2
	s_cbranch_execz .LBB24_350
; %bb.281:                              ;   in Loop: Header=BB24_14 Depth=1
	v_mov_b32_e32 v0, 50
	s_and_saveexec_b32 s15, s91
	s_cbranch_execz .LBB24_283
; %bb.282:                              ;   in Loop: Header=BB24_14 Depth=1
	s_clause 0x2
	scratch_load_b32 v0, off, off offset:892
	scratch_load_b32 v2, off, off offset:896
	;; [unrolled: 1-line block ×3, first 2 shown]
	s_waitcnt vmcnt(2)
	ds_load_2addr_b32 v[0:1], v0 offset1:32
	s_waitcnt vmcnt(1)
	ds_load_b32 v7, v2 offset:260
	s_waitcnt lgkmcnt(1)
	v_cvt_f32_f16_e32 v2, v0
	v_lshrrev_b32_e32 v0, 16, v0
	v_lshrrev_b32_e32 v3, 16, v1
	v_cvt_f32_f16_e32 v1, v1
	s_delay_alu instid0(VALU_DEP_3) | instskip(SKIP_1) | instid1(VALU_DEP_4)
	v_cvt_f32_f16_e32 v0, v0
	v_add_f32_e32 v2, 0, v2
	v_cvt_f32_f16_e32 v3, v3
	s_delay_alu instid0(VALU_DEP_3) | instskip(SKIP_1) | instid1(VALU_DEP_3)
	v_dual_add_f32 v6, 0, v1 :: v_dual_add_f32 v5, 0, v0
	s_waitcnt lgkmcnt(0)
	v_div_scale_f32 v4, null, v7, v7, v2
	s_waitcnt vmcnt(0)
	v_mad_u64_u32 v[0:1], null, v12, s9, v[162:163]
	v_div_scale_f32 v10, null, v7, v7, v5
	s_delay_alu instid0(VALU_DEP_3) | instskip(SKIP_1) | instid1(VALU_DEP_2)
	v_rcp_f32_e32 v9, v4
	v_div_scale_f32 v15, vcc_lo, v2, v7, v2
	v_rcp_f32_e32 v13, v10
	v_div_scale_f32 v16, s1, v6, v7, v6
	v_div_scale_f32 v17, s2, v5, v7, v5
	v_lshl_add_u32 v0, v0, 6, v169
	s_waitcnt_depctr 0xfff
	v_fma_f32 v1, -v4, v9, 1.0
	v_add_f32_e32 v8, 0, v3
	v_div_scale_f32 v3, null, v7, v7, v6
	s_delay_alu instid0(VALU_DEP_3) | instskip(NEXT) | instid1(VALU_DEP_3)
	v_fmac_f32_e32 v9, v1, v9
	v_div_scale_f32 v11, null, v7, v7, v8
	s_delay_alu instid0(VALU_DEP_3) | instskip(SKIP_2) | instid1(VALU_DEP_3)
	v_rcp_f32_e32 v12, v3
	v_fma_f32 v1, -v10, v13, 1.0
	v_div_scale_f32 v20, s3, v8, v7, v8
	v_rcp_f32_e32 v14, v11
	s_delay_alu instid0(VALU_DEP_2) | instskip(SKIP_4) | instid1(VALU_DEP_3)
	v_fmac_f32_e32 v13, v1, v13
	s_waitcnt_depctr 0xfff
	v_fma_f32 v18, -v3, v12, 1.0
	v_mul_f32_e32 v21, v17, v13
	v_fma_f32 v19, -v11, v14, 1.0
	v_fmac_f32_e32 v12, v18, v12
	v_mul_f32_e32 v18, v15, v9
	s_delay_alu instid0(VALU_DEP_4) | instskip(NEXT) | instid1(VALU_DEP_3)
	v_fma_f32 v24, -v10, v21, v17
	v_dual_fmac_f32 v14, v19, v14 :: v_dual_mul_f32 v19, v16, v12
	s_delay_alu instid0(VALU_DEP_3) | instskip(NEXT) | instid1(VALU_DEP_2)
	v_fma_f32 v1, -v4, v18, v15
	v_fma_f32 v23, -v3, v19, v16
	s_delay_alu instid0(VALU_DEP_3) | instskip(NEXT) | instid1(VALU_DEP_3)
	v_mul_f32_e32 v22, v20, v14
	v_fmac_f32_e32 v18, v1, v9
	v_ashrrev_i32_e32 v1, 31, v0
	s_delay_alu instid0(VALU_DEP_4) | instskip(NEXT) | instid1(VALU_DEP_4)
	v_fmac_f32_e32 v19, v23, v12
	v_fma_f32 v25, -v11, v22, v20
	s_delay_alu instid0(VALU_DEP_4)
	v_fma_f32 v4, -v4, v18, v15
	v_fmac_f32_e32 v21, v24, v13
	v_lshlrev_b64 v[0:1], 3, v[0:1]
	v_fma_f32 v3, -v3, v19, v16
	v_fmac_f32_e32 v22, v25, v14
	v_div_fmas_f32 v4, v4, v9, v18
	v_fma_f32 v9, -v10, v21, v17
	s_mov_b32 vcc_lo, s2
	s_delay_alu instid0(VALU_DEP_3) | instskip(NEXT) | instid1(VALU_DEP_3)
	v_fma_f32 v10, -v11, v22, v20
	v_div_fixup_f32 v2, v4, v7, v2
	s_delay_alu instid0(VALU_DEP_3) | instskip(SKIP_3) | instid1(VALU_DEP_2)
	v_div_fmas_f32 v4, v9, v13, v21
	s_mov_b32 vcc_lo, s1
	v_div_fmas_f32 v9, v3, v12, v19
	s_mov_b32 vcc_lo, s3
	v_div_fixup_f32 v3, v4, v7, v5
	v_div_fmas_f32 v10, v10, v14, v22
	v_add_co_u32 v4, vcc_lo, s49, v0
	v_add_co_ci_u32_e32 v5, vcc_lo, s67, v1, vcc_lo
	v_mov_b32_e32 v0, 0
	v_div_fixup_f32 v6, v9, v7, v6
	v_div_fixup_f32 v7, v10, v7, v8
	s_clause 0x1
	global_store_b64 v[4:5], v[2:3], off
	global_store_b64 v[4:5], v[6:7], off offset:256
.LBB24_283:                             ;   in Loop: Header=BB24_14 Depth=1
	s_or_b32 exec_lo, exec_lo, s15
	s_mov_b32 s2, -1
	s_mov_b32 s1, exec_lo
	v_cmpx_gt_i32_e32 50, v0
; %bb.284:                              ;   in Loop: Header=BB24_14 Depth=1
	v_cmp_eq_u32_e32 vcc_lo, 0, v0
	s_or_not1_b32 s2, vcc_lo, exec_lo
; %bb.285:                              ;   in Loop: Header=BB24_14 Depth=1
	s_or_b32 exec_lo, exec_lo, s1
	s_mov_b32 s1, s75
                                        ; implicit-def: $vgpr1
                                        ; implicit-def: $vgpr2
	s_and_saveexec_b32 s15, s2
	s_cbranch_execz .LBB24_349
; %bb.286:                              ;   in Loop: Header=BB24_14 Depth=1
	v_mov_b32_e32 v0, 50
	s_and_saveexec_b32 s46, s90
	s_cbranch_execz .LBB24_288
; %bb.287:                              ;   in Loop: Header=BB24_14 Depth=1
	s_clause 0x2
	scratch_load_b32 v0, off, off offset:456
	scratch_load_b32 v12, off, off offset:544
	;; [unrolled: 1-line block ×3, first 2 shown]
	s_waitcnt vmcnt(2)
	v_add_nc_u32_e32 v0, 0x800, v0
	s_waitcnt vmcnt(0)
	ds_load_b32 v7, v2 offset:5700
	ds_load_2addr_b32 v[0:1], v0 offset0:32 offset1:64
	s_waitcnt lgkmcnt(0)
	v_cvt_f32_f16_e32 v2, v0
	v_lshrrev_b32_e32 v0, 16, v0
	v_lshrrev_b32_e32 v3, 16, v1
	v_cvt_f32_f16_e32 v1, v1
	s_delay_alu instid0(VALU_DEP_3) | instskip(SKIP_1) | instid1(VALU_DEP_3)
	v_cvt_f32_f16_e32 v0, v0
	v_add_f32_e32 v2, 0, v2
	v_add_f32_e32 v6, 0, v1
	v_cvt_f32_f16_e32 v3, v3
	s_delay_alu instid0(VALU_DEP_4) | instskip(NEXT) | instid1(VALU_DEP_4)
	v_add_f32_e32 v5, 0, v0
	v_div_scale_f32 v4, null, v7, v7, v2
	v_mad_u64_u32 v[0:1], null, v12, s9, v[162:163]
	s_delay_alu instid0(VALU_DEP_3) | instskip(NEXT) | instid1(VALU_DEP_3)
	v_div_scale_f32 v10, null, v7, v7, v5
	v_rcp_f32_e32 v9, v4
	v_div_scale_f32 v17, s2, v5, v7, v5
	s_delay_alu instid0(VALU_DEP_2)
	v_rcp_f32_e32 v13, v10
	v_div_scale_f32 v15, vcc_lo, v2, v7, v2
	v_div_scale_f32 v16, s1, v6, v7, v6
	v_lshl_add_u32 v0, v0, 6, v169
	s_waitcnt_depctr 0xfff
	v_fma_f32 v1, -v4, v9, 1.0
	s_delay_alu instid0(VALU_DEP_1) | instskip(SKIP_3) | instid1(VALU_DEP_3)
	v_fmac_f32_e32 v9, v1, v9
	v_fma_f32 v1, -v10, v13, 1.0
	v_add_f32_e32 v8, 0, v3
	v_div_scale_f32 v3, null, v7, v7, v6
	v_fmac_f32_e32 v13, v1, v13
	s_delay_alu instid0(VALU_DEP_3) | instskip(NEXT) | instid1(VALU_DEP_3)
	v_div_scale_f32 v11, null, v7, v7, v8
	v_rcp_f32_e32 v12, v3
	v_div_scale_f32 v20, s3, v8, v7, v8
	s_delay_alu instid0(VALU_DEP_2) | instskip(SKIP_1) | instid1(VALU_DEP_1)
	v_rcp_f32_e32 v14, v11
	v_mul_f32_e32 v21, v17, v13
	v_fma_f32 v24, -v10, v21, v17
	s_waitcnt_depctr 0xfff
	v_fma_f32 v18, -v3, v12, 1.0
	v_fma_f32 v19, -v11, v14, 1.0
	s_delay_alu instid0(VALU_DEP_2) | instskip(SKIP_1) | instid1(VALU_DEP_2)
	v_dual_fmac_f32 v21, v24, v13 :: v_dual_fmac_f32 v12, v18, v12
	v_mul_f32_e32 v18, v15, v9
	v_dual_fmac_f32 v14, v19, v14 :: v_dual_mul_f32 v19, v16, v12
	s_delay_alu instid0(VALU_DEP_2) | instskip(NEXT) | instid1(VALU_DEP_2)
	v_fma_f32 v1, -v4, v18, v15
	v_fma_f32 v23, -v3, v19, v16
	s_delay_alu instid0(VALU_DEP_3) | instskip(NEXT) | instid1(VALU_DEP_3)
	v_mul_f32_e32 v22, v20, v14
	v_fmac_f32_e32 v18, v1, v9
	v_ashrrev_i32_e32 v1, 31, v0
	s_delay_alu instid0(VALU_DEP_4) | instskip(NEXT) | instid1(VALU_DEP_4)
	v_fmac_f32_e32 v19, v23, v12
	v_fma_f32 v25, -v11, v22, v20
	s_delay_alu instid0(VALU_DEP_4) | instskip(NEXT) | instid1(VALU_DEP_4)
	v_fma_f32 v4, -v4, v18, v15
	v_lshlrev_b64 v[0:1], 3, v[0:1]
	s_delay_alu instid0(VALU_DEP_4) | instskip(NEXT) | instid1(VALU_DEP_4)
	v_fma_f32 v3, -v3, v19, v16
	v_fmac_f32_e32 v22, v25, v14
	s_delay_alu instid0(VALU_DEP_4) | instskip(SKIP_2) | instid1(VALU_DEP_3)
	v_div_fmas_f32 v4, v4, v9, v18
	v_fma_f32 v9, -v10, v21, v17
	s_mov_b32 vcc_lo, s2
	v_fma_f32 v10, -v11, v22, v20
	s_delay_alu instid0(VALU_DEP_3) | instskip(NEXT) | instid1(VALU_DEP_3)
	v_div_fixup_f32 v2, v4, v7, v2
	v_div_fmas_f32 v4, v9, v13, v21
	s_mov_b32 vcc_lo, s1
	v_div_fmas_f32 v9, v3, v12, v19
	s_mov_b32 vcc_lo, s3
	s_delay_alu instid0(VALU_DEP_2)
	v_div_fixup_f32 v3, v4, v7, v5
	v_div_fmas_f32 v10, v10, v14, v22
	v_add_co_u32 v4, vcc_lo, s49, v0
	v_add_co_ci_u32_e32 v5, vcc_lo, s67, v1, vcc_lo
	v_mov_b32_e32 v0, 0
	v_div_fixup_f32 v6, v9, v7, v6
	v_div_fixup_f32 v7, v10, v7, v8
	s_clause 0x1
	global_store_b64 v[4:5], v[2:3], off
	global_store_b64 v[4:5], v[6:7], off offset:256
.LBB24_288:                             ;   in Loop: Header=BB24_14 Depth=1
	s_or_b32 exec_lo, exec_lo, s46
	s_mov_b32 s2, -1
	s_mov_b32 s1, exec_lo
	v_cmpx_gt_i32_e32 50, v0
; %bb.289:                              ;   in Loop: Header=BB24_14 Depth=1
	v_cmp_eq_u32_e32 vcc_lo, 0, v0
	s_or_not1_b32 s2, vcc_lo, exec_lo
; %bb.290:                              ;   in Loop: Header=BB24_14 Depth=1
	s_or_b32 exec_lo, exec_lo, s1
	s_mov_b32 s1, s75
                                        ; implicit-def: $vgpr1
                                        ; implicit-def: $vgpr2
	s_and_saveexec_b32 s46, s2
	s_cbranch_execz .LBB24_348
; %bb.291:                              ;   in Loop: Header=BB24_14 Depth=1
	v_mov_b32_e32 v0, 50
	s_and_saveexec_b32 s55, s89
	s_cbranch_execz .LBB24_293
; %bb.292:                              ;   in Loop: Header=BB24_14 Depth=1
	s_clause 0x2
	scratch_load_b32 v0, off, off offset:456
	scratch_load_b32 v12, off, off offset:548
	scratch_load_b32 v2, off, off offset:716
	s_waitcnt vmcnt(2)
	v_add_nc_u32_e32 v0, 0xc00, v0
	s_waitcnt vmcnt(0)
	ds_load_b32 v7, v2 offset:6788
	ds_load_2addr_b32 v[0:1], v0 offset0:48 offset1:80
	s_waitcnt lgkmcnt(0)
	v_cvt_f32_f16_e32 v2, v0
	v_lshrrev_b32_e32 v0, 16, v0
	v_lshrrev_b32_e32 v3, 16, v1
	v_cvt_f32_f16_e32 v1, v1
	s_delay_alu instid0(VALU_DEP_3) | instskip(SKIP_1) | instid1(VALU_DEP_3)
	v_cvt_f32_f16_e32 v0, v0
	v_add_f32_e32 v2, 0, v2
	v_add_f32_e32 v6, 0, v1
	v_cvt_f32_f16_e32 v3, v3
	s_delay_alu instid0(VALU_DEP_4) | instskip(NEXT) | instid1(VALU_DEP_4)
	v_add_f32_e32 v5, 0, v0
	v_div_scale_f32 v4, null, v7, v7, v2
	v_mad_u64_u32 v[0:1], null, v12, s9, v[162:163]
	s_delay_alu instid0(VALU_DEP_3) | instskip(NEXT) | instid1(VALU_DEP_3)
	v_div_scale_f32 v10, null, v7, v7, v5
	v_rcp_f32_e32 v9, v4
	v_div_scale_f32 v17, s2, v5, v7, v5
	s_delay_alu instid0(VALU_DEP_2)
	v_rcp_f32_e32 v13, v10
	v_div_scale_f32 v15, vcc_lo, v2, v7, v2
	v_div_scale_f32 v16, s1, v6, v7, v6
	v_lshl_add_u32 v0, v0, 6, v169
	s_waitcnt_depctr 0xfff
	v_fma_f32 v1, -v4, v9, 1.0
	s_delay_alu instid0(VALU_DEP_1) | instskip(SKIP_3) | instid1(VALU_DEP_3)
	v_fmac_f32_e32 v9, v1, v9
	v_fma_f32 v1, -v10, v13, 1.0
	v_add_f32_e32 v8, 0, v3
	v_div_scale_f32 v3, null, v7, v7, v6
	v_fmac_f32_e32 v13, v1, v13
	s_delay_alu instid0(VALU_DEP_3) | instskip(NEXT) | instid1(VALU_DEP_3)
	v_div_scale_f32 v11, null, v7, v7, v8
	v_rcp_f32_e32 v12, v3
	v_div_scale_f32 v20, s3, v8, v7, v8
	s_delay_alu instid0(VALU_DEP_2) | instskip(SKIP_1) | instid1(VALU_DEP_1)
	v_rcp_f32_e32 v14, v11
	v_mul_f32_e32 v21, v17, v13
	v_fma_f32 v24, -v10, v21, v17
	s_waitcnt_depctr 0xfff
	v_fma_f32 v18, -v3, v12, 1.0
	v_fma_f32 v19, -v11, v14, 1.0
	s_delay_alu instid0(VALU_DEP_2) | instskip(SKIP_1) | instid1(VALU_DEP_2)
	v_dual_fmac_f32 v21, v24, v13 :: v_dual_fmac_f32 v12, v18, v12
	v_mul_f32_e32 v18, v15, v9
	v_dual_fmac_f32 v14, v19, v14 :: v_dual_mul_f32 v19, v16, v12
	s_delay_alu instid0(VALU_DEP_2) | instskip(NEXT) | instid1(VALU_DEP_2)
	v_fma_f32 v1, -v4, v18, v15
	v_fma_f32 v23, -v3, v19, v16
	s_delay_alu instid0(VALU_DEP_3) | instskip(NEXT) | instid1(VALU_DEP_3)
	v_mul_f32_e32 v22, v20, v14
	v_fmac_f32_e32 v18, v1, v9
	v_ashrrev_i32_e32 v1, 31, v0
	s_delay_alu instid0(VALU_DEP_4) | instskip(NEXT) | instid1(VALU_DEP_4)
	v_fmac_f32_e32 v19, v23, v12
	v_fma_f32 v25, -v11, v22, v20
	s_delay_alu instid0(VALU_DEP_4) | instskip(NEXT) | instid1(VALU_DEP_4)
	v_fma_f32 v4, -v4, v18, v15
	v_lshlrev_b64 v[0:1], 3, v[0:1]
	s_delay_alu instid0(VALU_DEP_4) | instskip(NEXT) | instid1(VALU_DEP_4)
	v_fma_f32 v3, -v3, v19, v16
	v_fmac_f32_e32 v22, v25, v14
	s_delay_alu instid0(VALU_DEP_4) | instskip(SKIP_2) | instid1(VALU_DEP_3)
	v_div_fmas_f32 v4, v4, v9, v18
	v_fma_f32 v9, -v10, v21, v17
	s_mov_b32 vcc_lo, s2
	v_fma_f32 v10, -v11, v22, v20
	s_delay_alu instid0(VALU_DEP_3) | instskip(NEXT) | instid1(VALU_DEP_3)
	v_div_fixup_f32 v2, v4, v7, v2
	v_div_fmas_f32 v4, v9, v13, v21
	s_mov_b32 vcc_lo, s1
	v_div_fmas_f32 v9, v3, v12, v19
	s_mov_b32 vcc_lo, s3
	s_delay_alu instid0(VALU_DEP_2)
	v_div_fixup_f32 v3, v4, v7, v5
	v_div_fmas_f32 v10, v10, v14, v22
	v_add_co_u32 v4, vcc_lo, s49, v0
	v_add_co_ci_u32_e32 v5, vcc_lo, s67, v1, vcc_lo
	v_mov_b32_e32 v0, 0
	v_div_fixup_f32 v6, v9, v7, v6
	v_div_fixup_f32 v7, v10, v7, v8
	s_clause 0x1
	global_store_b64 v[4:5], v[2:3], off
	global_store_b64 v[4:5], v[6:7], off offset:256
.LBB24_293:                             ;   in Loop: Header=BB24_14 Depth=1
	s_or_b32 exec_lo, exec_lo, s55
	s_mov_b32 s2, -1
	s_mov_b32 s1, exec_lo
	v_cmpx_gt_i32_e32 50, v0
; %bb.294:                              ;   in Loop: Header=BB24_14 Depth=1
	v_cmp_eq_u32_e32 vcc_lo, 0, v0
	s_or_not1_b32 s2, vcc_lo, exec_lo
; %bb.295:                              ;   in Loop: Header=BB24_14 Depth=1
	s_or_b32 exec_lo, exec_lo, s1
	s_mov_b32 s1, s75
                                        ; implicit-def: $vgpr1
                                        ; implicit-def: $vgpr2
	s_and_saveexec_b32 s55, s2
	s_cbranch_execz .LBB24_347
; %bb.296:                              ;   in Loop: Header=BB24_14 Depth=1
	v_mov_b32_e32 v0, 50
	s_and_saveexec_b32 s59, s88
	s_cbranch_execz .LBB24_298
; %bb.297:                              ;   in Loop: Header=BB24_14 Depth=1
	s_clause 0x2
	scratch_load_b32 v0, off, off offset:456
	scratch_load_b32 v12, off, off offset:552
	;; [unrolled: 1-line block ×3, first 2 shown]
	s_waitcnt vmcnt(2)
	v_add_nc_u32_e32 v0, 0x1000, v0
	s_waitcnt vmcnt(0)
	ds_load_b32 v7, v2 offset:7876
	ds_load_2addr_b32 v[0:1], v0 offset0:64 offset1:96
	s_waitcnt lgkmcnt(0)
	v_cvt_f32_f16_e32 v2, v0
	v_lshrrev_b32_e32 v0, 16, v0
	v_lshrrev_b32_e32 v3, 16, v1
	v_cvt_f32_f16_e32 v1, v1
	s_delay_alu instid0(VALU_DEP_3) | instskip(SKIP_1) | instid1(VALU_DEP_3)
	v_cvt_f32_f16_e32 v0, v0
	v_add_f32_e32 v2, 0, v2
	v_add_f32_e32 v6, 0, v1
	v_cvt_f32_f16_e32 v3, v3
	s_delay_alu instid0(VALU_DEP_4) | instskip(NEXT) | instid1(VALU_DEP_4)
	v_add_f32_e32 v5, 0, v0
	v_div_scale_f32 v4, null, v7, v7, v2
	v_mad_u64_u32 v[0:1], null, v12, s9, v[162:163]
	s_delay_alu instid0(VALU_DEP_3) | instskip(NEXT) | instid1(VALU_DEP_3)
	v_div_scale_f32 v10, null, v7, v7, v5
	v_rcp_f32_e32 v9, v4
	v_div_scale_f32 v17, s2, v5, v7, v5
	s_delay_alu instid0(VALU_DEP_2)
	v_rcp_f32_e32 v13, v10
	v_div_scale_f32 v15, vcc_lo, v2, v7, v2
	v_div_scale_f32 v16, s1, v6, v7, v6
	v_lshl_add_u32 v0, v0, 6, v169
	s_waitcnt_depctr 0xfff
	v_fma_f32 v1, -v4, v9, 1.0
	s_delay_alu instid0(VALU_DEP_1) | instskip(SKIP_3) | instid1(VALU_DEP_3)
	v_fmac_f32_e32 v9, v1, v9
	v_fma_f32 v1, -v10, v13, 1.0
	v_add_f32_e32 v8, 0, v3
	v_div_scale_f32 v3, null, v7, v7, v6
	v_fmac_f32_e32 v13, v1, v13
	s_delay_alu instid0(VALU_DEP_3) | instskip(NEXT) | instid1(VALU_DEP_3)
	v_div_scale_f32 v11, null, v7, v7, v8
	v_rcp_f32_e32 v12, v3
	v_div_scale_f32 v20, s3, v8, v7, v8
	s_delay_alu instid0(VALU_DEP_2) | instskip(SKIP_1) | instid1(VALU_DEP_1)
	v_rcp_f32_e32 v14, v11
	v_mul_f32_e32 v21, v17, v13
	v_fma_f32 v24, -v10, v21, v17
	s_waitcnt_depctr 0xfff
	v_fma_f32 v18, -v3, v12, 1.0
	v_fma_f32 v19, -v11, v14, 1.0
	s_delay_alu instid0(VALU_DEP_2) | instskip(SKIP_1) | instid1(VALU_DEP_2)
	v_dual_fmac_f32 v21, v24, v13 :: v_dual_fmac_f32 v12, v18, v12
	v_mul_f32_e32 v18, v15, v9
	v_dual_fmac_f32 v14, v19, v14 :: v_dual_mul_f32 v19, v16, v12
	s_delay_alu instid0(VALU_DEP_2) | instskip(NEXT) | instid1(VALU_DEP_2)
	v_fma_f32 v1, -v4, v18, v15
	v_fma_f32 v23, -v3, v19, v16
	s_delay_alu instid0(VALU_DEP_3) | instskip(NEXT) | instid1(VALU_DEP_3)
	v_mul_f32_e32 v22, v20, v14
	v_fmac_f32_e32 v18, v1, v9
	v_ashrrev_i32_e32 v1, 31, v0
	s_delay_alu instid0(VALU_DEP_4) | instskip(NEXT) | instid1(VALU_DEP_4)
	v_fmac_f32_e32 v19, v23, v12
	v_fma_f32 v25, -v11, v22, v20
	s_delay_alu instid0(VALU_DEP_4) | instskip(NEXT) | instid1(VALU_DEP_4)
	v_fma_f32 v4, -v4, v18, v15
	v_lshlrev_b64 v[0:1], 3, v[0:1]
	s_delay_alu instid0(VALU_DEP_4) | instskip(NEXT) | instid1(VALU_DEP_4)
	v_fma_f32 v3, -v3, v19, v16
	v_fmac_f32_e32 v22, v25, v14
	s_delay_alu instid0(VALU_DEP_4) | instskip(SKIP_2) | instid1(VALU_DEP_3)
	v_div_fmas_f32 v4, v4, v9, v18
	v_fma_f32 v9, -v10, v21, v17
	s_mov_b32 vcc_lo, s2
	v_fma_f32 v10, -v11, v22, v20
	s_delay_alu instid0(VALU_DEP_3) | instskip(NEXT) | instid1(VALU_DEP_3)
	v_div_fixup_f32 v2, v4, v7, v2
	v_div_fmas_f32 v4, v9, v13, v21
	s_mov_b32 vcc_lo, s1
	v_div_fmas_f32 v9, v3, v12, v19
	s_mov_b32 vcc_lo, s3
	s_delay_alu instid0(VALU_DEP_2)
	v_div_fixup_f32 v3, v4, v7, v5
	v_div_fmas_f32 v10, v10, v14, v22
	v_add_co_u32 v4, vcc_lo, s49, v0
	v_add_co_ci_u32_e32 v5, vcc_lo, s67, v1, vcc_lo
	v_mov_b32_e32 v0, 0
	v_div_fixup_f32 v6, v9, v7, v6
	v_div_fixup_f32 v7, v10, v7, v8
	s_clause 0x1
	global_store_b64 v[4:5], v[2:3], off
	global_store_b64 v[4:5], v[6:7], off offset:256
.LBB24_298:                             ;   in Loop: Header=BB24_14 Depth=1
	s_or_b32 exec_lo, exec_lo, s59
	s_mov_b32 s2, -1
	s_mov_b32 s1, exec_lo
	v_cmpx_gt_i32_e32 50, v0
; %bb.299:                              ;   in Loop: Header=BB24_14 Depth=1
	v_cmp_eq_u32_e32 vcc_lo, 0, v0
	s_or_not1_b32 s2, vcc_lo, exec_lo
; %bb.300:                              ;   in Loop: Header=BB24_14 Depth=1
	s_or_b32 exec_lo, exec_lo, s1
	s_mov_b32 s1, s75
                                        ; implicit-def: $vgpr1
                                        ; implicit-def: $vgpr2
	s_and_saveexec_b32 s59, s2
	s_cbranch_execz .LBB24_346
; %bb.301:                              ;   in Loop: Header=BB24_14 Depth=1
	v_mov_b32_e32 v0, 50
	s_and_saveexec_b32 s60, s61
	s_cbranch_execz .LBB24_303
; %bb.302:                              ;   in Loop: Header=BB24_14 Depth=1
	s_clause 0x2
	scratch_load_b32 v0, off, off offset:900
	scratch_load_b32 v2, off, off offset:904
	;; [unrolled: 1-line block ×3, first 2 shown]
	s_waitcnt vmcnt(2)
	ds_load_2addr_b32 v[0:1], v0 offset1:32
	s_waitcnt vmcnt(1)
	ds_load_b32 v7, v2 offset:260
	s_waitcnt lgkmcnt(1)
	v_cvt_f32_f16_e32 v2, v0
	v_lshrrev_b32_e32 v0, 16, v0
	v_lshrrev_b32_e32 v3, 16, v1
	v_cvt_f32_f16_e32 v1, v1
	s_delay_alu instid0(VALU_DEP_3) | instskip(SKIP_1) | instid1(VALU_DEP_4)
	v_cvt_f32_f16_e32 v0, v0
	v_add_f32_e32 v2, 0, v2
	v_cvt_f32_f16_e32 v3, v3
	s_delay_alu instid0(VALU_DEP_3) | instskip(SKIP_1) | instid1(VALU_DEP_3)
	v_dual_add_f32 v6, 0, v1 :: v_dual_add_f32 v5, 0, v0
	s_waitcnt lgkmcnt(0)
	v_div_scale_f32 v4, null, v7, v7, v2
	s_waitcnt vmcnt(0)
	v_mad_u64_u32 v[0:1], null, v12, s9, v[162:163]
	v_div_scale_f32 v10, null, v7, v7, v5
	s_delay_alu instid0(VALU_DEP_3) | instskip(SKIP_1) | instid1(VALU_DEP_2)
	v_rcp_f32_e32 v9, v4
	v_div_scale_f32 v15, vcc_lo, v2, v7, v2
	v_rcp_f32_e32 v13, v10
	v_div_scale_f32 v16, s1, v6, v7, v6
	v_div_scale_f32 v17, s2, v5, v7, v5
	v_lshl_add_u32 v0, v0, 6, v169
	s_waitcnt_depctr 0xfff
	v_fma_f32 v1, -v4, v9, 1.0
	v_add_f32_e32 v8, 0, v3
	v_div_scale_f32 v3, null, v7, v7, v6
	s_delay_alu instid0(VALU_DEP_3) | instskip(NEXT) | instid1(VALU_DEP_3)
	v_fmac_f32_e32 v9, v1, v9
	v_div_scale_f32 v11, null, v7, v7, v8
	s_delay_alu instid0(VALU_DEP_3) | instskip(SKIP_2) | instid1(VALU_DEP_3)
	v_rcp_f32_e32 v12, v3
	v_fma_f32 v1, -v10, v13, 1.0
	v_div_scale_f32 v20, s3, v8, v7, v8
	v_rcp_f32_e32 v14, v11
	s_delay_alu instid0(VALU_DEP_2) | instskip(SKIP_4) | instid1(VALU_DEP_3)
	v_fmac_f32_e32 v13, v1, v13
	s_waitcnt_depctr 0xfff
	v_fma_f32 v18, -v3, v12, 1.0
	v_mul_f32_e32 v21, v17, v13
	v_fma_f32 v19, -v11, v14, 1.0
	v_fmac_f32_e32 v12, v18, v12
	v_mul_f32_e32 v18, v15, v9
	s_delay_alu instid0(VALU_DEP_4) | instskip(NEXT) | instid1(VALU_DEP_3)
	v_fma_f32 v24, -v10, v21, v17
	v_dual_fmac_f32 v14, v19, v14 :: v_dual_mul_f32 v19, v16, v12
	s_delay_alu instid0(VALU_DEP_3) | instskip(NEXT) | instid1(VALU_DEP_2)
	v_fma_f32 v1, -v4, v18, v15
	v_fma_f32 v23, -v3, v19, v16
	s_delay_alu instid0(VALU_DEP_3) | instskip(NEXT) | instid1(VALU_DEP_3)
	v_mul_f32_e32 v22, v20, v14
	v_fmac_f32_e32 v18, v1, v9
	v_ashrrev_i32_e32 v1, 31, v0
	s_delay_alu instid0(VALU_DEP_4) | instskip(NEXT) | instid1(VALU_DEP_4)
	v_fmac_f32_e32 v19, v23, v12
	v_fma_f32 v25, -v11, v22, v20
	s_delay_alu instid0(VALU_DEP_4)
	v_fma_f32 v4, -v4, v18, v15
	v_fmac_f32_e32 v21, v24, v13
	v_lshlrev_b64 v[0:1], 3, v[0:1]
	v_fma_f32 v3, -v3, v19, v16
	v_fmac_f32_e32 v22, v25, v14
	v_div_fmas_f32 v4, v4, v9, v18
	v_fma_f32 v9, -v10, v21, v17
	s_mov_b32 vcc_lo, s2
	s_delay_alu instid0(VALU_DEP_3) | instskip(NEXT) | instid1(VALU_DEP_3)
	v_fma_f32 v10, -v11, v22, v20
	v_div_fixup_f32 v2, v4, v7, v2
	s_delay_alu instid0(VALU_DEP_3) | instskip(SKIP_3) | instid1(VALU_DEP_2)
	v_div_fmas_f32 v4, v9, v13, v21
	s_mov_b32 vcc_lo, s1
	v_div_fmas_f32 v9, v3, v12, v19
	s_mov_b32 vcc_lo, s3
	v_div_fixup_f32 v3, v4, v7, v5
	v_div_fmas_f32 v10, v10, v14, v22
	v_add_co_u32 v4, vcc_lo, s49, v0
	v_add_co_ci_u32_e32 v5, vcc_lo, s67, v1, vcc_lo
	v_mov_b32_e32 v0, 0
	v_div_fixup_f32 v6, v9, v7, v6
	v_div_fixup_f32 v7, v10, v7, v8
	s_clause 0x1
	global_store_b64 v[4:5], v[2:3], off
	global_store_b64 v[4:5], v[6:7], off offset:256
.LBB24_303:                             ;   in Loop: Header=BB24_14 Depth=1
	s_or_b32 exec_lo, exec_lo, s60
	s_mov_b32 s2, -1
	s_mov_b32 s1, exec_lo
	v_cmpx_gt_i32_e32 50, v0
; %bb.304:                              ;   in Loop: Header=BB24_14 Depth=1
	v_cmp_eq_u32_e32 vcc_lo, 0, v0
	s_or_not1_b32 s2, vcc_lo, exec_lo
; %bb.305:                              ;   in Loop: Header=BB24_14 Depth=1
	s_or_b32 exec_lo, exec_lo, s1
	s_mov_b32 s1, s75
                                        ; implicit-def: $vgpr1
                                        ; implicit-def: $vgpr2
	s_and_saveexec_b32 s60, s2
	s_cbranch_execz .LBB24_345
; %bb.306:                              ;   in Loop: Header=BB24_14 Depth=1
	v_mov_b32_e32 v0, 50
	s_and_saveexec_b32 s61, s54
	s_cbranch_execz .LBB24_308
; %bb.307:                              ;   in Loop: Header=BB24_14 Depth=1
	s_clause 0x2
	scratch_load_b32 v0, off, off offset:456
	scratch_load_b32 v12, off, off offset:560
	;; [unrolled: 1-line block ×3, first 2 shown]
	s_waitcnt vmcnt(2)
	v_add_nc_u32_e32 v0, 0x1800, v0
	s_waitcnt vmcnt(0)
	ds_load_b32 v7, v2 offset:10052
	ds_load_2addr_b32 v[0:1], v0 offset0:96 offset1:128
	s_waitcnt lgkmcnt(0)
	v_cvt_f32_f16_e32 v2, v0
	v_lshrrev_b32_e32 v0, 16, v0
	v_lshrrev_b32_e32 v3, 16, v1
	v_cvt_f32_f16_e32 v1, v1
	s_delay_alu instid0(VALU_DEP_3) | instskip(SKIP_1) | instid1(VALU_DEP_3)
	v_cvt_f32_f16_e32 v0, v0
	v_add_f32_e32 v2, 0, v2
	v_add_f32_e32 v6, 0, v1
	v_cvt_f32_f16_e32 v3, v3
	s_delay_alu instid0(VALU_DEP_4) | instskip(NEXT) | instid1(VALU_DEP_4)
	v_add_f32_e32 v5, 0, v0
	v_div_scale_f32 v4, null, v7, v7, v2
	v_mad_u64_u32 v[0:1], null, v12, s9, v[162:163]
	s_delay_alu instid0(VALU_DEP_3) | instskip(NEXT) | instid1(VALU_DEP_3)
	v_div_scale_f32 v10, null, v7, v7, v5
	v_rcp_f32_e32 v9, v4
	v_div_scale_f32 v17, s2, v5, v7, v5
	s_delay_alu instid0(VALU_DEP_2)
	v_rcp_f32_e32 v13, v10
	v_div_scale_f32 v15, vcc_lo, v2, v7, v2
	v_div_scale_f32 v16, s1, v6, v7, v6
	v_lshl_add_u32 v0, v0, 6, v169
	s_waitcnt_depctr 0xfff
	v_fma_f32 v1, -v4, v9, 1.0
	s_delay_alu instid0(VALU_DEP_1) | instskip(SKIP_3) | instid1(VALU_DEP_3)
	v_fmac_f32_e32 v9, v1, v9
	v_fma_f32 v1, -v10, v13, 1.0
	v_add_f32_e32 v8, 0, v3
	v_div_scale_f32 v3, null, v7, v7, v6
	v_fmac_f32_e32 v13, v1, v13
	s_delay_alu instid0(VALU_DEP_3) | instskip(NEXT) | instid1(VALU_DEP_3)
	v_div_scale_f32 v11, null, v7, v7, v8
	v_rcp_f32_e32 v12, v3
	v_div_scale_f32 v20, s3, v8, v7, v8
	s_delay_alu instid0(VALU_DEP_2) | instskip(SKIP_1) | instid1(VALU_DEP_1)
	v_rcp_f32_e32 v14, v11
	v_mul_f32_e32 v21, v17, v13
	v_fma_f32 v24, -v10, v21, v17
	s_waitcnt_depctr 0xfff
	v_fma_f32 v18, -v3, v12, 1.0
	v_fma_f32 v19, -v11, v14, 1.0
	s_delay_alu instid0(VALU_DEP_2) | instskip(SKIP_1) | instid1(VALU_DEP_2)
	v_dual_fmac_f32 v21, v24, v13 :: v_dual_fmac_f32 v12, v18, v12
	v_mul_f32_e32 v18, v15, v9
	v_dual_fmac_f32 v14, v19, v14 :: v_dual_mul_f32 v19, v16, v12
	s_delay_alu instid0(VALU_DEP_2) | instskip(NEXT) | instid1(VALU_DEP_2)
	v_fma_f32 v1, -v4, v18, v15
	v_fma_f32 v23, -v3, v19, v16
	s_delay_alu instid0(VALU_DEP_3) | instskip(NEXT) | instid1(VALU_DEP_3)
	v_mul_f32_e32 v22, v20, v14
	v_fmac_f32_e32 v18, v1, v9
	v_ashrrev_i32_e32 v1, 31, v0
	s_delay_alu instid0(VALU_DEP_4) | instskip(NEXT) | instid1(VALU_DEP_4)
	v_fmac_f32_e32 v19, v23, v12
	v_fma_f32 v25, -v11, v22, v20
	s_delay_alu instid0(VALU_DEP_4) | instskip(NEXT) | instid1(VALU_DEP_4)
	v_fma_f32 v4, -v4, v18, v15
	v_lshlrev_b64 v[0:1], 3, v[0:1]
	s_delay_alu instid0(VALU_DEP_4) | instskip(NEXT) | instid1(VALU_DEP_4)
	v_fma_f32 v3, -v3, v19, v16
	v_fmac_f32_e32 v22, v25, v14
	s_delay_alu instid0(VALU_DEP_4) | instskip(SKIP_2) | instid1(VALU_DEP_3)
	v_div_fmas_f32 v4, v4, v9, v18
	v_fma_f32 v9, -v10, v21, v17
	s_mov_b32 vcc_lo, s2
	v_fma_f32 v10, -v11, v22, v20
	s_delay_alu instid0(VALU_DEP_3) | instskip(NEXT) | instid1(VALU_DEP_3)
	v_div_fixup_f32 v2, v4, v7, v2
	v_div_fmas_f32 v4, v9, v13, v21
	s_mov_b32 vcc_lo, s1
	v_div_fmas_f32 v9, v3, v12, v19
	s_mov_b32 vcc_lo, s3
	s_delay_alu instid0(VALU_DEP_2)
	v_div_fixup_f32 v3, v4, v7, v5
	v_div_fmas_f32 v10, v10, v14, v22
	v_add_co_u32 v4, vcc_lo, s49, v0
	v_add_co_ci_u32_e32 v5, vcc_lo, s67, v1, vcc_lo
	v_mov_b32_e32 v0, 0
	v_div_fixup_f32 v6, v9, v7, v6
	v_div_fixup_f32 v7, v10, v7, v8
	s_clause 0x1
	global_store_b64 v[4:5], v[2:3], off
	global_store_b64 v[4:5], v[6:7], off offset:256
.LBB24_308:                             ;   in Loop: Header=BB24_14 Depth=1
	s_or_b32 exec_lo, exec_lo, s61
	s_mov_b32 s2, -1
	s_mov_b32 s1, exec_lo
	v_cmpx_gt_i32_e32 50, v0
; %bb.309:                              ;   in Loop: Header=BB24_14 Depth=1
	v_cmp_eq_u32_e32 vcc_lo, 0, v0
	s_or_not1_b32 s2, vcc_lo, exec_lo
; %bb.310:                              ;   in Loop: Header=BB24_14 Depth=1
	s_or_b32 exec_lo, exec_lo, s1
	s_mov_b32 s1, s75
                                        ; implicit-def: $vgpr1
                                        ; implicit-def: $vgpr2
	s_and_saveexec_b32 s54, s2
	s_cbranch_execz .LBB24_344
; %bb.311:                              ;   in Loop: Header=BB24_14 Depth=1
	v_mov_b32_e32 v0, 50
	s_and_saveexec_b32 s61, s77
	s_cbranch_execz .LBB24_313
; %bb.312:                              ;   in Loop: Header=BB24_14 Depth=1
	s_clause 0x2
	scratch_load_b32 v0, off, off offset:456
	scratch_load_b32 v12, off, off offset:564
	;; [unrolled: 1-line block ×3, first 2 shown]
	s_waitcnt vmcnt(2)
	v_add_nc_u32_e32 v0, 0x1c00, v0
	s_waitcnt vmcnt(0)
	ds_load_b32 v7, v2 offset:11140
	ds_load_2addr_b32 v[0:1], v0 offset0:112 offset1:144
	s_waitcnt lgkmcnt(0)
	v_cvt_f32_f16_e32 v2, v0
	v_lshrrev_b32_e32 v0, 16, v0
	v_lshrrev_b32_e32 v3, 16, v1
	v_cvt_f32_f16_e32 v1, v1
	s_delay_alu instid0(VALU_DEP_3) | instskip(SKIP_1) | instid1(VALU_DEP_3)
	v_cvt_f32_f16_e32 v0, v0
	v_add_f32_e32 v2, 0, v2
	v_add_f32_e32 v6, 0, v1
	v_cvt_f32_f16_e32 v3, v3
	s_delay_alu instid0(VALU_DEP_4) | instskip(NEXT) | instid1(VALU_DEP_4)
	v_add_f32_e32 v5, 0, v0
	v_div_scale_f32 v4, null, v7, v7, v2
	v_mad_u64_u32 v[0:1], null, v12, s9, v[162:163]
	s_delay_alu instid0(VALU_DEP_3) | instskip(NEXT) | instid1(VALU_DEP_3)
	v_div_scale_f32 v10, null, v7, v7, v5
	v_rcp_f32_e32 v9, v4
	v_div_scale_f32 v17, s2, v5, v7, v5
	s_delay_alu instid0(VALU_DEP_2)
	v_rcp_f32_e32 v13, v10
	v_div_scale_f32 v15, vcc_lo, v2, v7, v2
	v_div_scale_f32 v16, s1, v6, v7, v6
	v_lshl_add_u32 v0, v0, 6, v169
	s_waitcnt_depctr 0xfff
	v_fma_f32 v1, -v4, v9, 1.0
	s_delay_alu instid0(VALU_DEP_1) | instskip(SKIP_3) | instid1(VALU_DEP_3)
	v_fmac_f32_e32 v9, v1, v9
	v_fma_f32 v1, -v10, v13, 1.0
	v_add_f32_e32 v8, 0, v3
	v_div_scale_f32 v3, null, v7, v7, v6
	v_fmac_f32_e32 v13, v1, v13
	s_delay_alu instid0(VALU_DEP_3) | instskip(NEXT) | instid1(VALU_DEP_3)
	v_div_scale_f32 v11, null, v7, v7, v8
	v_rcp_f32_e32 v12, v3
	v_div_scale_f32 v20, s3, v8, v7, v8
	s_delay_alu instid0(VALU_DEP_2) | instskip(SKIP_1) | instid1(VALU_DEP_1)
	v_rcp_f32_e32 v14, v11
	v_mul_f32_e32 v21, v17, v13
	v_fma_f32 v24, -v10, v21, v17
	s_waitcnt_depctr 0xfff
	v_fma_f32 v18, -v3, v12, 1.0
	v_fma_f32 v19, -v11, v14, 1.0
	s_delay_alu instid0(VALU_DEP_2) | instskip(SKIP_1) | instid1(VALU_DEP_2)
	v_dual_fmac_f32 v21, v24, v13 :: v_dual_fmac_f32 v12, v18, v12
	v_mul_f32_e32 v18, v15, v9
	v_dual_fmac_f32 v14, v19, v14 :: v_dual_mul_f32 v19, v16, v12
	s_delay_alu instid0(VALU_DEP_2) | instskip(NEXT) | instid1(VALU_DEP_2)
	v_fma_f32 v1, -v4, v18, v15
	v_fma_f32 v23, -v3, v19, v16
	s_delay_alu instid0(VALU_DEP_3) | instskip(NEXT) | instid1(VALU_DEP_3)
	v_mul_f32_e32 v22, v20, v14
	v_fmac_f32_e32 v18, v1, v9
	v_ashrrev_i32_e32 v1, 31, v0
	s_delay_alu instid0(VALU_DEP_4) | instskip(NEXT) | instid1(VALU_DEP_4)
	v_fmac_f32_e32 v19, v23, v12
	v_fma_f32 v25, -v11, v22, v20
	s_delay_alu instid0(VALU_DEP_4) | instskip(NEXT) | instid1(VALU_DEP_4)
	v_fma_f32 v4, -v4, v18, v15
	v_lshlrev_b64 v[0:1], 3, v[0:1]
	s_delay_alu instid0(VALU_DEP_4) | instskip(NEXT) | instid1(VALU_DEP_4)
	v_fma_f32 v3, -v3, v19, v16
	v_fmac_f32_e32 v22, v25, v14
	s_delay_alu instid0(VALU_DEP_4) | instskip(SKIP_2) | instid1(VALU_DEP_3)
	v_div_fmas_f32 v4, v4, v9, v18
	v_fma_f32 v9, -v10, v21, v17
	s_mov_b32 vcc_lo, s2
	v_fma_f32 v10, -v11, v22, v20
	s_delay_alu instid0(VALU_DEP_3) | instskip(NEXT) | instid1(VALU_DEP_3)
	v_div_fixup_f32 v2, v4, v7, v2
	v_div_fmas_f32 v4, v9, v13, v21
	s_mov_b32 vcc_lo, s1
	v_div_fmas_f32 v9, v3, v12, v19
	s_mov_b32 vcc_lo, s3
	s_delay_alu instid0(VALU_DEP_2)
	v_div_fixup_f32 v3, v4, v7, v5
	v_div_fmas_f32 v10, v10, v14, v22
	v_add_co_u32 v4, vcc_lo, s49, v0
	v_add_co_ci_u32_e32 v5, vcc_lo, s67, v1, vcc_lo
	v_mov_b32_e32 v0, 0
	v_div_fixup_f32 v6, v9, v7, v6
	v_div_fixup_f32 v7, v10, v7, v8
	s_clause 0x1
	global_store_b64 v[4:5], v[2:3], off
	global_store_b64 v[4:5], v[6:7], off offset:256
.LBB24_313:                             ;   in Loop: Header=BB24_14 Depth=1
	s_or_b32 exec_lo, exec_lo, s61
	s_mov_b32 s2, -1
	s_mov_b32 s1, exec_lo
	v_cmpx_gt_i32_e32 50, v0
; %bb.314:                              ;   in Loop: Header=BB24_14 Depth=1
	v_cmp_eq_u32_e32 vcc_lo, 0, v0
	s_or_not1_b32 s2, vcc_lo, exec_lo
; %bb.315:                              ;   in Loop: Header=BB24_14 Depth=1
	s_or_b32 exec_lo, exec_lo, s1
	s_mov_b32 s1, s75
                                        ; implicit-def: $vgpr1
                                        ; implicit-def: $vgpr2
	s_and_saveexec_b32 s61, s2
	s_cbranch_execz .LBB24_343
; %bb.316:                              ;   in Loop: Header=BB24_14 Depth=1
	v_mov_b32_e32 v0, 50
	s_and_saveexec_b32 s64, s80
	s_cbranch_execz .LBB24_318
; %bb.317:                              ;   in Loop: Header=BB24_14 Depth=1
	s_clause 0x2
	scratch_load_b32 v0, off, off offset:456
	scratch_load_b32 v12, off, off offset:568
	;; [unrolled: 1-line block ×3, first 2 shown]
	s_waitcnt vmcnt(2)
	v_add_nc_u32_e32 v0, 0x2000, v0
	s_waitcnt vmcnt(0)
	ds_load_b32 v7, v2 offset:12228
	ds_load_2addr_b32 v[0:1], v0 offset0:128 offset1:160
	s_waitcnt lgkmcnt(0)
	v_cvt_f32_f16_e32 v2, v0
	v_lshrrev_b32_e32 v0, 16, v0
	v_lshrrev_b32_e32 v3, 16, v1
	v_cvt_f32_f16_e32 v1, v1
	s_delay_alu instid0(VALU_DEP_3) | instskip(SKIP_1) | instid1(VALU_DEP_3)
	v_cvt_f32_f16_e32 v0, v0
	v_add_f32_e32 v2, 0, v2
	v_add_f32_e32 v6, 0, v1
	v_cvt_f32_f16_e32 v3, v3
	s_delay_alu instid0(VALU_DEP_4) | instskip(NEXT) | instid1(VALU_DEP_4)
	v_add_f32_e32 v5, 0, v0
	v_div_scale_f32 v4, null, v7, v7, v2
	v_mad_u64_u32 v[0:1], null, v12, s9, v[162:163]
	s_delay_alu instid0(VALU_DEP_3) | instskip(NEXT) | instid1(VALU_DEP_3)
	v_div_scale_f32 v10, null, v7, v7, v5
	v_rcp_f32_e32 v9, v4
	v_div_scale_f32 v17, s2, v5, v7, v5
	s_delay_alu instid0(VALU_DEP_2)
	v_rcp_f32_e32 v13, v10
	v_div_scale_f32 v15, vcc_lo, v2, v7, v2
	v_div_scale_f32 v16, s1, v6, v7, v6
	v_lshl_add_u32 v0, v0, 6, v169
	s_waitcnt_depctr 0xfff
	v_fma_f32 v1, -v4, v9, 1.0
	s_delay_alu instid0(VALU_DEP_1) | instskip(SKIP_3) | instid1(VALU_DEP_3)
	v_fmac_f32_e32 v9, v1, v9
	v_fma_f32 v1, -v10, v13, 1.0
	v_add_f32_e32 v8, 0, v3
	v_div_scale_f32 v3, null, v7, v7, v6
	v_fmac_f32_e32 v13, v1, v13
	s_delay_alu instid0(VALU_DEP_3) | instskip(NEXT) | instid1(VALU_DEP_3)
	v_div_scale_f32 v11, null, v7, v7, v8
	v_rcp_f32_e32 v12, v3
	v_div_scale_f32 v20, s3, v8, v7, v8
	s_delay_alu instid0(VALU_DEP_2) | instskip(SKIP_1) | instid1(VALU_DEP_1)
	v_rcp_f32_e32 v14, v11
	v_mul_f32_e32 v21, v17, v13
	v_fma_f32 v24, -v10, v21, v17
	s_waitcnt_depctr 0xfff
	v_fma_f32 v18, -v3, v12, 1.0
	v_fma_f32 v19, -v11, v14, 1.0
	s_delay_alu instid0(VALU_DEP_2) | instskip(SKIP_1) | instid1(VALU_DEP_2)
	v_dual_fmac_f32 v21, v24, v13 :: v_dual_fmac_f32 v12, v18, v12
	v_mul_f32_e32 v18, v15, v9
	v_dual_fmac_f32 v14, v19, v14 :: v_dual_mul_f32 v19, v16, v12
	s_delay_alu instid0(VALU_DEP_2) | instskip(NEXT) | instid1(VALU_DEP_2)
	v_fma_f32 v1, -v4, v18, v15
	v_fma_f32 v23, -v3, v19, v16
	s_delay_alu instid0(VALU_DEP_3) | instskip(NEXT) | instid1(VALU_DEP_3)
	v_mul_f32_e32 v22, v20, v14
	v_fmac_f32_e32 v18, v1, v9
	v_ashrrev_i32_e32 v1, 31, v0
	s_delay_alu instid0(VALU_DEP_4) | instskip(NEXT) | instid1(VALU_DEP_4)
	v_fmac_f32_e32 v19, v23, v12
	v_fma_f32 v25, -v11, v22, v20
	s_delay_alu instid0(VALU_DEP_4) | instskip(NEXT) | instid1(VALU_DEP_4)
	v_fma_f32 v4, -v4, v18, v15
	v_lshlrev_b64 v[0:1], 3, v[0:1]
	s_delay_alu instid0(VALU_DEP_4) | instskip(NEXT) | instid1(VALU_DEP_4)
	v_fma_f32 v3, -v3, v19, v16
	v_fmac_f32_e32 v22, v25, v14
	s_delay_alu instid0(VALU_DEP_4) | instskip(SKIP_2) | instid1(VALU_DEP_3)
	v_div_fmas_f32 v4, v4, v9, v18
	v_fma_f32 v9, -v10, v21, v17
	s_mov_b32 vcc_lo, s2
	v_fma_f32 v10, -v11, v22, v20
	s_delay_alu instid0(VALU_DEP_3) | instskip(NEXT) | instid1(VALU_DEP_3)
	v_div_fixup_f32 v2, v4, v7, v2
	v_div_fmas_f32 v4, v9, v13, v21
	s_mov_b32 vcc_lo, s1
	v_div_fmas_f32 v9, v3, v12, v19
	s_mov_b32 vcc_lo, s3
	s_delay_alu instid0(VALU_DEP_2)
	v_div_fixup_f32 v3, v4, v7, v5
	v_div_fmas_f32 v10, v10, v14, v22
	v_add_co_u32 v4, vcc_lo, s49, v0
	v_add_co_ci_u32_e32 v5, vcc_lo, s67, v1, vcc_lo
	v_mov_b32_e32 v0, 0
	v_div_fixup_f32 v6, v9, v7, v6
	v_div_fixup_f32 v7, v10, v7, v8
	s_clause 0x1
	global_store_b64 v[4:5], v[2:3], off
	global_store_b64 v[4:5], v[6:7], off offset:256
.LBB24_318:                             ;   in Loop: Header=BB24_14 Depth=1
	s_or_b32 exec_lo, exec_lo, s64
	s_mov_b32 s2, -1
	s_mov_b32 s1, exec_lo
	v_cmpx_gt_i32_e32 50, v0
; %bb.319:                              ;   in Loop: Header=BB24_14 Depth=1
	v_cmp_eq_u32_e32 vcc_lo, 0, v0
	s_or_not1_b32 s2, vcc_lo, exec_lo
; %bb.320:                              ;   in Loop: Header=BB24_14 Depth=1
	s_or_b32 exec_lo, exec_lo, s1
	s_mov_b32 s1, s75
                                        ; implicit-def: $vgpr1
                                        ; implicit-def: $vgpr2
	s_and_saveexec_b32 s64, s2
	s_cbranch_execz .LBB24_342
; %bb.321:                              ;   in Loop: Header=BB24_14 Depth=1
	v_mov_b32_e32 v0, 50
	s_and_saveexec_b32 s66, s79
	s_cbranch_execz .LBB24_323
; %bb.322:                              ;   in Loop: Header=BB24_14 Depth=1
	s_clause 0x2
	scratch_load_b32 v0, off, off offset:908
	scratch_load_b32 v2, off, off offset:912
	;; [unrolled: 1-line block ×3, first 2 shown]
	s_waitcnt vmcnt(2)
	ds_load_2addr_b32 v[0:1], v0 offset1:32
	s_waitcnt vmcnt(1)
	ds_load_b32 v7, v2 offset:260
	s_waitcnt lgkmcnt(1)
	v_cvt_f32_f16_e32 v2, v0
	v_lshrrev_b32_e32 v0, 16, v0
	v_lshrrev_b32_e32 v3, 16, v1
	v_cvt_f32_f16_e32 v1, v1
	s_delay_alu instid0(VALU_DEP_3) | instskip(SKIP_1) | instid1(VALU_DEP_4)
	v_cvt_f32_f16_e32 v0, v0
	v_add_f32_e32 v2, 0, v2
	v_cvt_f32_f16_e32 v3, v3
	s_delay_alu instid0(VALU_DEP_3) | instskip(SKIP_1) | instid1(VALU_DEP_3)
	v_dual_add_f32 v6, 0, v1 :: v_dual_add_f32 v5, 0, v0
	s_waitcnt lgkmcnt(0)
	v_div_scale_f32 v4, null, v7, v7, v2
	s_waitcnt vmcnt(0)
	v_mad_u64_u32 v[0:1], null, v12, s9, v[162:163]
	v_div_scale_f32 v10, null, v7, v7, v5
	s_delay_alu instid0(VALU_DEP_3) | instskip(SKIP_1) | instid1(VALU_DEP_2)
	v_rcp_f32_e32 v9, v4
	v_div_scale_f32 v15, vcc_lo, v2, v7, v2
	v_rcp_f32_e32 v13, v10
	v_div_scale_f32 v16, s1, v6, v7, v6
	v_div_scale_f32 v17, s2, v5, v7, v5
	v_lshl_add_u32 v0, v0, 6, v169
	s_waitcnt_depctr 0xfff
	v_fma_f32 v1, -v4, v9, 1.0
	v_add_f32_e32 v8, 0, v3
	v_div_scale_f32 v3, null, v7, v7, v6
	s_delay_alu instid0(VALU_DEP_3) | instskip(NEXT) | instid1(VALU_DEP_3)
	v_fmac_f32_e32 v9, v1, v9
	v_div_scale_f32 v11, null, v7, v7, v8
	s_delay_alu instid0(VALU_DEP_3) | instskip(SKIP_2) | instid1(VALU_DEP_3)
	v_rcp_f32_e32 v12, v3
	v_fma_f32 v1, -v10, v13, 1.0
	v_div_scale_f32 v20, s3, v8, v7, v8
	v_rcp_f32_e32 v14, v11
	s_delay_alu instid0(VALU_DEP_2) | instskip(SKIP_4) | instid1(VALU_DEP_3)
	v_fmac_f32_e32 v13, v1, v13
	s_waitcnt_depctr 0xfff
	v_fma_f32 v18, -v3, v12, 1.0
	v_mul_f32_e32 v21, v17, v13
	v_fma_f32 v19, -v11, v14, 1.0
	v_fmac_f32_e32 v12, v18, v12
	v_mul_f32_e32 v18, v15, v9
	s_delay_alu instid0(VALU_DEP_4) | instskip(NEXT) | instid1(VALU_DEP_3)
	v_fma_f32 v24, -v10, v21, v17
	v_dual_fmac_f32 v14, v19, v14 :: v_dual_mul_f32 v19, v16, v12
	s_delay_alu instid0(VALU_DEP_3) | instskip(NEXT) | instid1(VALU_DEP_2)
	v_fma_f32 v1, -v4, v18, v15
	v_fma_f32 v23, -v3, v19, v16
	s_delay_alu instid0(VALU_DEP_3) | instskip(NEXT) | instid1(VALU_DEP_3)
	v_mul_f32_e32 v22, v20, v14
	v_fmac_f32_e32 v18, v1, v9
	v_ashrrev_i32_e32 v1, 31, v0
	s_delay_alu instid0(VALU_DEP_4) | instskip(NEXT) | instid1(VALU_DEP_4)
	v_fmac_f32_e32 v19, v23, v12
	v_fma_f32 v25, -v11, v22, v20
	s_delay_alu instid0(VALU_DEP_4)
	v_fma_f32 v4, -v4, v18, v15
	v_fmac_f32_e32 v21, v24, v13
	v_lshlrev_b64 v[0:1], 3, v[0:1]
	v_fma_f32 v3, -v3, v19, v16
	v_fmac_f32_e32 v22, v25, v14
	v_div_fmas_f32 v4, v4, v9, v18
	v_fma_f32 v9, -v10, v21, v17
	s_mov_b32 vcc_lo, s2
	s_delay_alu instid0(VALU_DEP_3) | instskip(NEXT) | instid1(VALU_DEP_3)
	v_fma_f32 v10, -v11, v22, v20
	v_div_fixup_f32 v2, v4, v7, v2
	s_delay_alu instid0(VALU_DEP_3) | instskip(SKIP_3) | instid1(VALU_DEP_2)
	v_div_fmas_f32 v4, v9, v13, v21
	s_mov_b32 vcc_lo, s1
	v_div_fmas_f32 v9, v3, v12, v19
	s_mov_b32 vcc_lo, s3
	v_div_fixup_f32 v3, v4, v7, v5
	v_div_fmas_f32 v10, v10, v14, v22
	v_add_co_u32 v4, vcc_lo, s49, v0
	v_add_co_ci_u32_e32 v5, vcc_lo, s67, v1, vcc_lo
	v_mov_b32_e32 v0, 0
	v_div_fixup_f32 v6, v9, v7, v6
	v_div_fixup_f32 v7, v10, v7, v8
	s_clause 0x1
	global_store_b64 v[4:5], v[2:3], off
	global_store_b64 v[4:5], v[6:7], off offset:256
.LBB24_323:                             ;   in Loop: Header=BB24_14 Depth=1
	s_or_b32 exec_lo, exec_lo, s66
	s_mov_b32 s2, -1
	s_mov_b32 s1, exec_lo
	v_cmpx_gt_i32_e32 50, v0
; %bb.324:                              ;   in Loop: Header=BB24_14 Depth=1
	v_cmp_eq_u32_e32 vcc_lo, 0, v0
	s_or_not1_b32 s2, vcc_lo, exec_lo
; %bb.325:                              ;   in Loop: Header=BB24_14 Depth=1
	s_or_b32 exec_lo, exec_lo, s1
	s_mov_b32 s1, s75
                                        ; implicit-def: $vgpr1
                                        ; implicit-def: $vgpr2
	s_and_saveexec_b32 s66, s2
	s_cbranch_execz .LBB24_341
; %bb.326:                              ;   in Loop: Header=BB24_14 Depth=1
	v_mov_b32_e32 v0, 50
	s_and_saveexec_b32 s72, s78
	s_cbranch_execz .LBB24_328
; %bb.327:                              ;   in Loop: Header=BB24_14 Depth=1
	s_clause 0x1
	scratch_load_b32 v0, off, off offset:456
	scratch_load_b32 v2, off, off offset:716
	s_waitcnt vmcnt(1)
	v_add_nc_u32_e32 v0, 0x2800, v0
	s_waitcnt vmcnt(0)
	ds_load_b32 v7, v2 offset:14404
	ds_load_2addr_b32 v[0:1], v0 offset0:160 offset1:192
	s_waitcnt lgkmcnt(0)
	v_cvt_f32_f16_e32 v2, v0
	v_lshrrev_b32_e32 v0, 16, v0
	v_lshrrev_b32_e32 v3, 16, v1
	v_cvt_f32_f16_e32 v1, v1
	s_delay_alu instid0(VALU_DEP_3) | instskip(SKIP_1) | instid1(VALU_DEP_3)
	v_cvt_f32_f16_e32 v0, v0
	v_add_f32_e32 v2, 0, v2
	v_add_f32_e32 v6, 0, v1
	v_cvt_f32_f16_e32 v3, v3
	s_delay_alu instid0(VALU_DEP_4) | instskip(NEXT) | instid1(VALU_DEP_4)
	v_add_f32_e32 v5, 0, v0
	v_div_scale_f32 v4, null, v7, v7, v2
	v_mad_u64_u32 v[0:1], null, v190, s9, v[162:163]
	s_delay_alu instid0(VALU_DEP_3) | instskip(NEXT) | instid1(VALU_DEP_3)
	v_div_scale_f32 v10, null, v7, v7, v5
	v_rcp_f32_e32 v9, v4
	v_div_scale_f32 v17, s2, v5, v7, v5
	s_delay_alu instid0(VALU_DEP_2)
	v_rcp_f32_e32 v13, v10
	v_div_scale_f32 v15, vcc_lo, v2, v7, v2
	v_div_scale_f32 v16, s1, v6, v7, v6
	v_lshl_add_u32 v0, v0, 6, v169
	s_waitcnt_depctr 0xfff
	v_fma_f32 v1, -v4, v9, 1.0
	s_delay_alu instid0(VALU_DEP_1) | instskip(SKIP_3) | instid1(VALU_DEP_3)
	v_fmac_f32_e32 v9, v1, v9
	v_fma_f32 v1, -v10, v13, 1.0
	v_add_f32_e32 v8, 0, v3
	v_div_scale_f32 v3, null, v7, v7, v6
	v_fmac_f32_e32 v13, v1, v13
	s_delay_alu instid0(VALU_DEP_3) | instskip(NEXT) | instid1(VALU_DEP_3)
	v_div_scale_f32 v11, null, v7, v7, v8
	v_rcp_f32_e32 v12, v3
	v_div_scale_f32 v20, s3, v8, v7, v8
	s_delay_alu instid0(VALU_DEP_2) | instskip(SKIP_1) | instid1(VALU_DEP_1)
	v_rcp_f32_e32 v14, v11
	v_mul_f32_e32 v21, v17, v13
	v_fma_f32 v24, -v10, v21, v17
	s_waitcnt_depctr 0xfff
	v_fma_f32 v18, -v3, v12, 1.0
	v_fma_f32 v19, -v11, v14, 1.0
	s_delay_alu instid0(VALU_DEP_2) | instskip(SKIP_1) | instid1(VALU_DEP_2)
	v_dual_fmac_f32 v21, v24, v13 :: v_dual_fmac_f32 v12, v18, v12
	v_mul_f32_e32 v18, v15, v9
	v_dual_fmac_f32 v14, v19, v14 :: v_dual_mul_f32 v19, v16, v12
	s_delay_alu instid0(VALU_DEP_2) | instskip(NEXT) | instid1(VALU_DEP_2)
	v_fma_f32 v1, -v4, v18, v15
	v_fma_f32 v23, -v3, v19, v16
	s_delay_alu instid0(VALU_DEP_3) | instskip(NEXT) | instid1(VALU_DEP_3)
	v_mul_f32_e32 v22, v20, v14
	v_fmac_f32_e32 v18, v1, v9
	v_ashrrev_i32_e32 v1, 31, v0
	s_delay_alu instid0(VALU_DEP_4) | instskip(NEXT) | instid1(VALU_DEP_4)
	v_fmac_f32_e32 v19, v23, v12
	v_fma_f32 v25, -v11, v22, v20
	s_delay_alu instid0(VALU_DEP_4) | instskip(NEXT) | instid1(VALU_DEP_4)
	v_fma_f32 v4, -v4, v18, v15
	v_lshlrev_b64 v[0:1], 3, v[0:1]
	s_delay_alu instid0(VALU_DEP_4) | instskip(NEXT) | instid1(VALU_DEP_4)
	v_fma_f32 v3, -v3, v19, v16
	v_fmac_f32_e32 v22, v25, v14
	s_delay_alu instid0(VALU_DEP_4) | instskip(SKIP_2) | instid1(VALU_DEP_3)
	v_div_fmas_f32 v4, v4, v9, v18
	v_fma_f32 v9, -v10, v21, v17
	s_mov_b32 vcc_lo, s2
	v_fma_f32 v10, -v11, v22, v20
	s_delay_alu instid0(VALU_DEP_3) | instskip(NEXT) | instid1(VALU_DEP_3)
	v_div_fixup_f32 v2, v4, v7, v2
	v_div_fmas_f32 v4, v9, v13, v21
	s_mov_b32 vcc_lo, s1
	v_div_fmas_f32 v9, v3, v12, v19
	s_mov_b32 vcc_lo, s3
	s_delay_alu instid0(VALU_DEP_2)
	v_div_fixup_f32 v3, v4, v7, v5
	v_div_fmas_f32 v10, v10, v14, v22
	v_add_co_u32 v4, vcc_lo, s49, v0
	v_add_co_ci_u32_e32 v5, vcc_lo, s67, v1, vcc_lo
	v_mov_b32_e32 v0, 0
	v_div_fixup_f32 v6, v9, v7, v6
	v_div_fixup_f32 v7, v10, v7, v8
	s_clause 0x1
	global_store_b64 v[4:5], v[2:3], off
	global_store_b64 v[4:5], v[6:7], off offset:256
.LBB24_328:                             ;   in Loop: Header=BB24_14 Depth=1
	s_or_b32 exec_lo, exec_lo, s72
	s_mov_b32 s2, -1
	s_mov_b32 s1, exec_lo
	v_cmpx_gt_i32_e32 50, v0
; %bb.329:                              ;   in Loop: Header=BB24_14 Depth=1
	v_cmp_eq_u32_e32 vcc_lo, 0, v0
	s_or_not1_b32 s2, vcc_lo, exec_lo
; %bb.330:                              ;   in Loop: Header=BB24_14 Depth=1
	s_or_b32 exec_lo, exec_lo, s1
	s_mov_b32 s1, s75
                                        ; implicit-def: $vgpr1
                                        ; implicit-def: $vgpr2
	s_and_saveexec_b32 s72, s2
	s_cbranch_execz .LBB24_340
; %bb.331:                              ;   in Loop: Header=BB24_14 Depth=1
	v_mov_b32_e32 v0, 50
	s_and_saveexec_b32 s73, s74
	s_cbranch_execz .LBB24_333
; %bb.332:                              ;   in Loop: Header=BB24_14 Depth=1
	s_clause 0x1
	scratch_load_b32 v0, off, off offset:456
	scratch_load_b32 v2, off, off offset:716
	s_waitcnt vmcnt(1)
	v_add_nc_u32_e32 v0, 0x2c00, v0
	s_waitcnt vmcnt(0)
	ds_load_b32 v7, v2 offset:15492
	ds_load_2addr_b32 v[0:1], v0 offset0:176 offset1:208
	s_waitcnt lgkmcnt(0)
	v_cvt_f32_f16_e32 v2, v0
	v_lshrrev_b32_e32 v0, 16, v0
	v_lshrrev_b32_e32 v3, 16, v1
	v_cvt_f32_f16_e32 v1, v1
	s_delay_alu instid0(VALU_DEP_3) | instskip(SKIP_1) | instid1(VALU_DEP_3)
	v_cvt_f32_f16_e32 v0, v0
	v_add_f32_e32 v2, 0, v2
	v_add_f32_e32 v6, 0, v1
	v_cvt_f32_f16_e32 v3, v3
	s_delay_alu instid0(VALU_DEP_4) | instskip(NEXT) | instid1(VALU_DEP_4)
	v_add_f32_e32 v5, 0, v0
	v_div_scale_f32 v4, null, v7, v7, v2
	v_mad_u64_u32 v[0:1], null, v161, s9, v[162:163]
	s_delay_alu instid0(VALU_DEP_3) | instskip(NEXT) | instid1(VALU_DEP_3)
	v_div_scale_f32 v10, null, v7, v7, v5
	v_rcp_f32_e32 v9, v4
	v_div_scale_f32 v17, s2, v5, v7, v5
	s_delay_alu instid0(VALU_DEP_2)
	v_rcp_f32_e32 v13, v10
	v_div_scale_f32 v15, vcc_lo, v2, v7, v2
	v_div_scale_f32 v16, s1, v6, v7, v6
	v_lshl_add_u32 v0, v0, 6, v169
	s_waitcnt_depctr 0xfff
	v_fma_f32 v1, -v4, v9, 1.0
	s_delay_alu instid0(VALU_DEP_1) | instskip(SKIP_3) | instid1(VALU_DEP_3)
	v_fmac_f32_e32 v9, v1, v9
	v_fma_f32 v1, -v10, v13, 1.0
	v_add_f32_e32 v8, 0, v3
	v_div_scale_f32 v3, null, v7, v7, v6
	v_fmac_f32_e32 v13, v1, v13
	s_delay_alu instid0(VALU_DEP_3) | instskip(NEXT) | instid1(VALU_DEP_3)
	v_div_scale_f32 v11, null, v7, v7, v8
	v_rcp_f32_e32 v12, v3
	v_div_scale_f32 v20, s3, v8, v7, v8
	s_delay_alu instid0(VALU_DEP_2) | instskip(SKIP_1) | instid1(VALU_DEP_1)
	v_rcp_f32_e32 v14, v11
	v_mul_f32_e32 v21, v17, v13
	v_fma_f32 v24, -v10, v21, v17
	s_waitcnt_depctr 0xfff
	v_fma_f32 v18, -v3, v12, 1.0
	v_fma_f32 v19, -v11, v14, 1.0
	s_delay_alu instid0(VALU_DEP_2) | instskip(SKIP_1) | instid1(VALU_DEP_2)
	v_dual_fmac_f32 v21, v24, v13 :: v_dual_fmac_f32 v12, v18, v12
	v_mul_f32_e32 v18, v15, v9
	v_dual_fmac_f32 v14, v19, v14 :: v_dual_mul_f32 v19, v16, v12
	s_delay_alu instid0(VALU_DEP_2) | instskip(NEXT) | instid1(VALU_DEP_2)
	v_fma_f32 v1, -v4, v18, v15
	v_fma_f32 v23, -v3, v19, v16
	s_delay_alu instid0(VALU_DEP_3) | instskip(NEXT) | instid1(VALU_DEP_3)
	v_mul_f32_e32 v22, v20, v14
	v_fmac_f32_e32 v18, v1, v9
	v_ashrrev_i32_e32 v1, 31, v0
	s_delay_alu instid0(VALU_DEP_4) | instskip(NEXT) | instid1(VALU_DEP_4)
	v_fmac_f32_e32 v19, v23, v12
	v_fma_f32 v25, -v11, v22, v20
	s_delay_alu instid0(VALU_DEP_4) | instskip(NEXT) | instid1(VALU_DEP_4)
	v_fma_f32 v4, -v4, v18, v15
	v_lshlrev_b64 v[0:1], 3, v[0:1]
	s_delay_alu instid0(VALU_DEP_4) | instskip(NEXT) | instid1(VALU_DEP_4)
	v_fma_f32 v3, -v3, v19, v16
	v_fmac_f32_e32 v22, v25, v14
	s_delay_alu instid0(VALU_DEP_4) | instskip(SKIP_2) | instid1(VALU_DEP_3)
	v_div_fmas_f32 v4, v4, v9, v18
	v_fma_f32 v9, -v10, v21, v17
	s_mov_b32 vcc_lo, s2
	v_fma_f32 v10, -v11, v22, v20
	s_delay_alu instid0(VALU_DEP_3) | instskip(NEXT) | instid1(VALU_DEP_3)
	v_div_fixup_f32 v2, v4, v7, v2
	v_div_fmas_f32 v4, v9, v13, v21
	s_mov_b32 vcc_lo, s1
	v_div_fmas_f32 v9, v3, v12, v19
	s_mov_b32 vcc_lo, s3
	s_delay_alu instid0(VALU_DEP_2)
	v_div_fixup_f32 v3, v4, v7, v5
	v_div_fmas_f32 v10, v10, v14, v22
	v_add_co_u32 v4, vcc_lo, s49, v0
	v_add_co_ci_u32_e32 v5, vcc_lo, s67, v1, vcc_lo
	v_mov_b32_e32 v0, 0
	v_div_fixup_f32 v6, v9, v7, v6
	v_div_fixup_f32 v7, v10, v7, v8
	s_clause 0x1
	global_store_b64 v[4:5], v[2:3], off
	global_store_b64 v[4:5], v[6:7], off offset:256
.LBB24_333:                             ;   in Loop: Header=BB24_14 Depth=1
	s_or_b32 exec_lo, exec_lo, s73
	s_mov_b32 s2, -1
	s_mov_b32 s1, exec_lo
	v_cmpx_gt_i32_e32 50, v0
; %bb.334:                              ;   in Loop: Header=BB24_14 Depth=1
	v_cmp_eq_u32_e32 vcc_lo, 0, v0
	s_or_not1_b32 s2, vcc_lo, exec_lo
; %bb.335:                              ;   in Loop: Header=BB24_14 Depth=1
	s_or_b32 exec_lo, exec_lo, s1
	s_mov_b32 s1, s75
                                        ; implicit-def: $vgpr1
                                        ; implicit-def: $vgpr2
	s_and_saveexec_b32 s73, s2
	s_cbranch_execz .LBB24_339
; %bb.336:                              ;   in Loop: Header=BB24_14 Depth=1
	s_mov_b32 s1, s75
                                        ; implicit-def: $vgpr1
                                        ; implicit-def: $vgpr2
	s_and_saveexec_b32 s74, s14
	s_cbranch_execz .LBB24_338
; %bb.337:                              ;   in Loop: Header=BB24_14 Depth=1
	s_clause 0x1
	scratch_load_b32 v0, off, off offset:456
	scratch_load_b32 v2, off, off offset:716
	s_waitcnt vmcnt(1)
	v_add_nc_u32_e32 v0, 0x3000, v0
	s_waitcnt vmcnt(0)
	ds_load_b32 v7, v2 offset:16580
	ds_load_2addr_b32 v[0:1], v0 offset0:192 offset1:224
	s_waitcnt lgkmcnt(0)
	v_cvt_f32_f16_e32 v2, v0
	v_lshrrev_b32_e32 v0, 16, v0
	v_lshrrev_b32_e32 v3, 16, v1
	v_cvt_f32_f16_e32 v1, v1
	s_delay_alu instid0(VALU_DEP_3) | instskip(SKIP_1) | instid1(VALU_DEP_4)
	v_cvt_f32_f16_e32 v0, v0
	v_add_f32_e32 v4, 0, v2
	v_cvt_f32_f16_e32 v2, v3
	s_delay_alu instid0(VALU_DEP_3) | instskip(NEXT) | instid1(VALU_DEP_3)
	v_add_f32_e32 v5, 0, v0
	v_div_scale_f32 v3, null, v7, v7, v4
	v_div_scale_f32 v16, vcc_lo, v4, v7, v4
	v_add_f32_e32 v8, 0, v1
	s_delay_alu instid0(VALU_DEP_3) | instskip(SKIP_3) | instid1(VALU_DEP_3)
	v_rcp_f32_e32 v10, v3
	v_add_f32_e32 v9, 0, v2
	v_div_scale_f32 v11, null, v7, v7, v5
	v_div_scale_f32 v18, s2, v5, v7, v5
	v_div_scale_f32 v12, null, v7, v7, v9
	s_delay_alu instid0(VALU_DEP_3) | instskip(SKIP_1) | instid1(TRANS32_DEP_2)
	v_rcp_f32_e32 v14, v11
	v_mul_lo_u32 v0, v160, s9
	v_fma_f32 v1, -v3, v10, 1.0
	s_delay_alu instid0(VALU_DEP_3) | instskip(SKIP_1) | instid1(VALU_DEP_2)
	v_rcp_f32_e32 v15, v12
	v_div_scale_f32 v20, s3, v9, v7, v9
	v_fmac_f32_e32 v10, v1, v10
	s_waitcnt_depctr 0xfff
	v_fma_f32 v1, -v11, v14, 1.0
	v_mul_f32_e32 v21, v16, v10
	v_div_scale_f32 v6, null, v7, v7, v8
	v_fma_f32 v19, -v12, v15, 1.0
	v_div_scale_f32 v17, s1, v8, v7, v8
	s_delay_alu instid0(VALU_DEP_3) | instskip(NEXT) | instid1(VALU_DEP_2)
	v_rcp_f32_e32 v13, v6
	v_dual_fmac_f32 v14, v1, v14 :: v_dual_fmac_f32 v15, v19, v15
	v_fma_f32 v1, -v3, v21, v16
	s_delay_alu instid0(VALU_DEP_2) | instskip(SKIP_3) | instid1(VALU_DEP_2)
	v_mul_f32_e32 v22, v18, v14
	s_waitcnt_depctr 0xfff
	v_fma_f32 v2, -v6, v13, 1.0
	v_fma_f32 v25, -v11, v22, v18
	v_fmac_f32_e32 v13, v2, v13
	v_add_lshl_u32 v2, v0, v162, 6
	v_mul_f32_e32 v23, v20, v15
	v_fmac_f32_e32 v21, v1, v10
	v_fmac_f32_e32 v22, v25, v14
	v_mul_f32_e32 v19, v17, v13
	v_add_nc_u32_e32 v0, v169, v2
	v_fma_f32 v26, -v12, v23, v20
	v_fma_f32 v3, -v3, v21, v16
	s_delay_alu instid0(VALU_DEP_4) | instskip(NEXT) | instid1(VALU_DEP_4)
	v_fma_f32 v24, -v6, v19, v17
	v_ashrrev_i32_e32 v1, 31, v0
	s_delay_alu instid0(VALU_DEP_4) | instskip(NEXT) | instid1(VALU_DEP_4)
	v_fmac_f32_e32 v23, v26, v15
	v_div_fmas_f32 v3, v3, v10, v21
	s_mov_b32 vcc_lo, s2
	v_fmac_f32_e32 v19, v24, v13
	v_lshlrev_b64 v[0:1], 3, v[0:1]
	v_fma_f32 v10, -v11, v22, v18
	v_fma_f32 v11, -v12, v23, v20
	v_div_fixup_f32 v3, v3, v7, v4
	v_fma_f32 v6, -v6, v19, v17
	s_delay_alu instid0(VALU_DEP_4) | instskip(SKIP_2) | instid1(VALU_DEP_2)
	v_div_fmas_f32 v4, v10, v14, v22
	s_mov_b32 vcc_lo, s1
	s_or_b32 s1, s75, exec_lo
	v_div_fmas_f32 v10, v6, v13, v19
	s_mov_b32 vcc_lo, s3
	v_div_fixup_f32 v4, v4, v7, v5
	v_div_fmas_f32 v11, v11, v15, v23
	v_add_co_u32 v5, vcc_lo, s49, v0
	v_add_co_ci_u32_e32 v6, vcc_lo, s67, v1, vcc_lo
	v_div_fixup_f32 v0, v10, v7, v8
	s_delay_alu instid0(VALU_DEP_4)
	v_div_fixup_f32 v1, v11, v7, v9
	global_store_b64 v[5:6], v[3:4], off
.LBB24_338:                             ;   in Loop: Header=BB24_14 Depth=1
	s_or_b32 exec_lo, exec_lo, s74
	s_delay_alu instid0(SALU_CYCLE_1) | instskip(SKIP_1) | instid1(SALU_CYCLE_1)
	s_and_not1_b32 s2, s75, exec_lo
	s_and_b32 s1, s1, exec_lo
	s_or_b32 s1, s2, s1
.LBB24_339:                             ;   in Loop: Header=BB24_14 Depth=1
	s_or_b32 exec_lo, exec_lo, s73
	s_delay_alu instid0(SALU_CYCLE_1) | instskip(SKIP_1) | instid1(SALU_CYCLE_1)
	s_and_not1_b32 s2, s75, exec_lo
	s_and_b32 s1, s1, exec_lo
	s_or_b32 s1, s2, s1
.LBB24_340:                             ;   in Loop: Header=BB24_14 Depth=1
	s_or_b32 exec_lo, exec_lo, s72
	s_delay_alu instid0(SALU_CYCLE_1) | instskip(SKIP_1) | instid1(SALU_CYCLE_1)
	s_and_not1_b32 s2, s75, exec_lo
	s_and_b32 s1, s1, exec_lo
	s_or_b32 s1, s2, s1
.LBB24_341:                             ;   in Loop: Header=BB24_14 Depth=1
	s_or_b32 exec_lo, exec_lo, s66
	s_delay_alu instid0(SALU_CYCLE_1) | instskip(SKIP_1) | instid1(SALU_CYCLE_1)
	s_and_not1_b32 s2, s75, exec_lo
	s_and_b32 s1, s1, exec_lo
	s_or_b32 s1, s2, s1
.LBB24_342:                             ;   in Loop: Header=BB24_14 Depth=1
	s_or_b32 exec_lo, exec_lo, s64
	s_delay_alu instid0(SALU_CYCLE_1) | instskip(SKIP_1) | instid1(SALU_CYCLE_1)
	s_and_not1_b32 s2, s75, exec_lo
	s_and_b32 s1, s1, exec_lo
	s_or_b32 s1, s2, s1
.LBB24_343:                             ;   in Loop: Header=BB24_14 Depth=1
	s_or_b32 exec_lo, exec_lo, s61
	s_delay_alu instid0(SALU_CYCLE_1) | instskip(SKIP_1) | instid1(SALU_CYCLE_1)
	s_and_not1_b32 s2, s75, exec_lo
	s_and_b32 s1, s1, exec_lo
	s_or_b32 s1, s2, s1
.LBB24_344:                             ;   in Loop: Header=BB24_14 Depth=1
	s_or_b32 exec_lo, exec_lo, s54
	s_delay_alu instid0(SALU_CYCLE_1) | instskip(SKIP_1) | instid1(SALU_CYCLE_1)
	s_and_not1_b32 s2, s75, exec_lo
	s_and_b32 s1, s1, exec_lo
	s_or_b32 s1, s2, s1
.LBB24_345:                             ;   in Loop: Header=BB24_14 Depth=1
	s_or_b32 exec_lo, exec_lo, s60
	s_delay_alu instid0(SALU_CYCLE_1) | instskip(SKIP_1) | instid1(SALU_CYCLE_1)
	s_and_not1_b32 s2, s75, exec_lo
	s_and_b32 s1, s1, exec_lo
	s_or_b32 s1, s2, s1
.LBB24_346:                             ;   in Loop: Header=BB24_14 Depth=1
	s_or_b32 exec_lo, exec_lo, s59
	s_delay_alu instid0(SALU_CYCLE_1) | instskip(SKIP_1) | instid1(SALU_CYCLE_1)
	s_and_not1_b32 s2, s75, exec_lo
	s_and_b32 s1, s1, exec_lo
	s_or_b32 s1, s2, s1
.LBB24_347:                             ;   in Loop: Header=BB24_14 Depth=1
	s_or_b32 exec_lo, exec_lo, s55
	s_delay_alu instid0(SALU_CYCLE_1) | instskip(SKIP_1) | instid1(SALU_CYCLE_1)
	s_and_not1_b32 s2, s75, exec_lo
	s_and_b32 s1, s1, exec_lo
	s_or_b32 s1, s2, s1
.LBB24_348:                             ;   in Loop: Header=BB24_14 Depth=1
	s_or_b32 exec_lo, exec_lo, s46
	s_delay_alu instid0(SALU_CYCLE_1) | instskip(SKIP_1) | instid1(SALU_CYCLE_1)
	s_and_not1_b32 s2, s75, exec_lo
	s_and_b32 s1, s1, exec_lo
	s_or_b32 s1, s2, s1
.LBB24_349:                             ;   in Loop: Header=BB24_14 Depth=1
	s_or_b32 exec_lo, exec_lo, s15
	s_delay_alu instid0(SALU_CYCLE_1) | instskip(SKIP_1) | instid1(SALU_CYCLE_1)
	s_and_not1_b32 s2, s75, exec_lo
	s_and_b32 s1, s1, exec_lo
	s_or_b32 s1, s2, s1
.LBB24_350:                             ;   in Loop: Header=BB24_14 Depth=1
	s_or_b32 exec_lo, exec_lo, s7
	s_delay_alu instid0(SALU_CYCLE_1) | instskip(SKIP_1) | instid1(SALU_CYCLE_1)
	s_and_not1_b32 s2, s75, exec_lo
	s_and_b32 s1, s1, exec_lo
	s_or_b32 s1, s2, s1
.LBB24_351:                             ;   in Loop: Header=BB24_14 Depth=1
	s_or_b32 exec_lo, exec_lo, s6
	s_delay_alu instid0(SALU_CYCLE_1) | instskip(SKIP_1) | instid1(SALU_CYCLE_1)
	s_and_not1_b32 s2, s75, exec_lo
	s_and_b32 s1, s1, exec_lo
	s_or_b32 s1, s2, s1
.LBB24_352:                             ;   in Loop: Header=BB24_14 Depth=1
	s_or_b32 exec_lo, exec_lo, s5
	s_delay_alu instid0(SALU_CYCLE_1) | instskip(SKIP_1) | instid1(SALU_CYCLE_1)
	s_and_not1_b32 s2, s75, exec_lo
	s_and_b32 s1, s1, exec_lo
	s_or_b32 s75, s2, s1
.LBB24_353:                             ;   in Loop: Header=BB24_14 Depth=1
	s_or_b32 exec_lo, exec_lo, s4
.LBB24_354:                             ;   in Loop: Header=BB24_14 Depth=1
	s_and_saveexec_b32 s1, s75
	s_cbranch_execz .LBB24_13
; %bb.355:                              ;   in Loop: Header=BB24_14 Depth=1
	v_ashrrev_i32_e32 v3, 31, v2
	v_add_co_u32 v2, vcc_lo, v169, v2
	s_delay_alu instid0(VALU_DEP_2) | instskip(NEXT) | instid1(VALU_DEP_1)
	v_add_co_ci_u32_e32 v3, vcc_lo, 0, v3, vcc_lo
	v_lshlrev_b64 v[2:3], 3, v[2:3]
	s_delay_alu instid0(VALU_DEP_1) | instskip(NEXT) | instid1(VALU_DEP_2)
	v_add_co_u32 v2, vcc_lo, s49, v2
	v_add_co_ci_u32_e32 v3, vcc_lo, s67, v3, vcc_lo
	global_store_b64 v[2:3], v[0:1], off offset:256
	s_branch .LBB24_13
.LBB24_356:
	v_readlane_b32 s54, v255, 22
	v_readlane_b32 s55, v255, 23
	s_and_not1_b32 vcc_lo, exec_lo, s1
	s_cbranch_vccnz .LBB24_11
.LBB24_357:
	v_readlane_b32 s6, v255, 3
	s_abs_i32 s3, s58
	v_readlane_b32 s9, v255, 2
	v_readlane_b32 s11, v255, 1
	s_delay_alu instid0(VALU_DEP_3) | instskip(NEXT) | instid1(SALU_CYCLE_1)
	s_abs_i32 s0, s6
	v_cvt_f32_u32_e32 v0, s0
	s_sub_i32 s2, 0, s0
	s_delay_alu instid0(VALU_DEP_1) | instskip(SKIP_2) | instid1(VALU_DEP_1)
	v_rcp_iflag_f32_e32 v0, v0
	s_waitcnt_depctr 0xfff
	v_mul_f32_e32 v0, 0x4f7ffffe, v0
	v_cvt_u32_f32_e32 v0, v0
	s_delay_alu instid0(VALU_DEP_1) | instskip(NEXT) | instid1(VALU_DEP_1)
	v_readfirstlane_b32 s1, v0
	s_mul_i32 s2, s2, s1
	s_delay_alu instid0(SALU_CYCLE_1) | instskip(NEXT) | instid1(SALU_CYCLE_1)
	s_mul_hi_u32 s2, s1, s2
	s_add_i32 s1, s1, s2
	s_xor_b32 s2, s58, s6
	s_mul_hi_u32 s1, s3, s1
	s_ashr_i32 s2, s2, 31
	s_mul_i32 s4, s1, s0
	s_delay_alu instid0(SALU_CYCLE_1)
	s_sub_i32 s3, s3, s4
	s_add_i32 s4, s1, 1
	s_sub_i32 s5, s3, s0
	s_cmp_ge_u32 s3, s0
	s_cselect_b32 s1, s4, s1
	s_cselect_b32 s3, s5, s3
	s_add_i32 s4, s1, 1
	s_cmp_ge_u32 s3, s0
	s_cselect_b32 s0, s4, s1
	s_abs_i32 s1, s9
	s_xor_b32 s0, s0, s2
	v_cvt_f32_u32_e32 v0, s1
	s_sub_i32 s2, s0, s2
	s_sub_i32 s0, 0, s1
	s_mul_i32 s4, s2, s6
	s_delay_alu instid0(VALU_DEP_1) | instskip(SKIP_1) | instid1(SALU_CYCLE_1)
	v_rcp_iflag_f32_e32 v0, v0
	s_sub_i32 s4, s58, s4
	s_abs_i32 s5, s4
	s_waitcnt_depctr 0xfff
	v_mul_f32_e32 v0, 0x4f7ffffe, v0
	s_delay_alu instid0(VALU_DEP_1) | instskip(NEXT) | instid1(VALU_DEP_1)
	v_cvt_u32_f32_e32 v0, v0
	v_readfirstlane_b32 s3, v0
	s_delay_alu instid0(VALU_DEP_1) | instskip(NEXT) | instid1(SALU_CYCLE_1)
	s_mul_i32 s0, s0, s3
	s_mul_hi_u32 s0, s3, s0
	s_delay_alu instid0(SALU_CYCLE_1) | instskip(NEXT) | instid1(SALU_CYCLE_1)
	s_add_i32 s3, s3, s0
	s_mul_hi_u32 s0, s5, s3
	s_xor_b32 s3, s4, s9
	s_mul_i32 s6, s0, s1
	s_ashr_i32 s3, s3, 31
	s_sub_i32 s5, s5, s6
	s_add_i32 s6, s0, 1
	s_sub_i32 s7, s5, s1
	s_cmp_ge_u32 s5, s1
	s_cselect_b32 s0, s6, s0
	s_cselect_b32 s5, s7, s5
	s_add_i32 s6, s0, 1
	s_cmp_ge_u32 s5, s1
	s_cselect_b32 s0, s6, s0
	s_abs_i32 s1, s11
	s_xor_b32 s0, s0, s3
	v_cvt_f32_u32_e32 v0, s1
	s_sub_i32 s3, s0, s3
	s_sub_i32 s0, 0, s1
	s_mul_i32 s6, s3, s9
	s_delay_alu instid0(VALU_DEP_1) | instskip(SKIP_1) | instid1(SALU_CYCLE_1)
	v_rcp_iflag_f32_e32 v0, v0
	s_sub_i32 s4, s4, s6
	s_abs_i32 s6, s4
	s_waitcnt_depctr 0xfff
	v_mul_f32_e32 v0, 0x4f7ffffe, v0
	s_delay_alu instid0(VALU_DEP_1) | instskip(NEXT) | instid1(VALU_DEP_1)
	v_cvt_u32_f32_e32 v0, v0
	v_readfirstlane_b32 s5, v0
	s_delay_alu instid0(VALU_DEP_1) | instskip(NEXT) | instid1(SALU_CYCLE_1)
	s_mul_i32 s0, s0, s5
	s_mul_hi_u32 s0, s5, s0
	s_delay_alu instid0(SALU_CYCLE_1) | instskip(NEXT) | instid1(SALU_CYCLE_1)
	s_add_i32 s5, s5, s0
	s_mul_hi_u32 s0, s6, s5
	s_xor_b32 s5, s4, s11
	s_mul_i32 s7, s0, s1
	s_ashr_i32 s5, s5, 31
	s_sub_i32 s6, s6, s7
	s_add_i32 s7, s0, 1
	s_sub_i32 s9, s6, s1
	s_cmp_ge_u32 s6, s1
	s_cselect_b32 s0, s7, s0
	s_cselect_b32 s6, s9, s6
	s_add_i32 s7, s0, 1
	s_cmp_ge_u32 s6, s1
	s_cselect_b32 s0, s7, s0
	s_delay_alu instid0(SALU_CYCLE_1) | instskip(NEXT) | instid1(SALU_CYCLE_1)
	s_xor_b32 s0, s0, s5
	s_sub_i32 s0, s0, s5
	s_delay_alu instid0(SALU_CYCLE_1) | instskip(NEXT) | instid1(SALU_CYCLE_1)
	s_mul_i32 s1, s0, s11
	s_sub_i32 s1, s4, s1
	s_delay_alu instid0(SALU_CYCLE_1) | instskip(SKIP_4) | instid1(SALU_CYCLE_1)
	s_abs_i32 s4, s1
	s_ashr_i32 s1, s1, 31
	s_mul_hi_u32 s5, s4, s83
	s_xor_b32 s1, s1, s82
	s_mul_i32 s6, s5, s63
	s_sub_i32 s4, s4, s6
	s_add_i32 s6, s5, 1
	s_sub_i32 s7, s4, s63
	s_cmp_ge_u32 s4, s63
	s_cselect_b32 s5, s6, s5
	s_cselect_b32 s4, s7, s4
	s_add_i32 s6, s5, 1
	s_cmp_ge_u32 s4, s63
	s_cselect_b32 s5, s6, s5
	s_abs_i32 s4, s54
	s_xor_b32 s5, s5, s1
	v_cvt_f32_u32_e32 v0, s4
	s_sub_i32 s1, s5, s1
	s_cmp_eq_u64 s[26:27], 0
	s_delay_alu instid0(VALU_DEP_1) | instskip(SKIP_2) | instid1(VALU_DEP_1)
	v_rcp_iflag_f32_e32 v0, v0
	s_waitcnt_depctr 0xfff
	v_mul_f32_e32 v0, 0x4f7ffffe, v0
	v_cvt_u32_f32_e32 v0, v0
	s_delay_alu instid0(VALU_DEP_1)
	v_readfirstlane_b32 s7, v0
	v_mov_b32_e32 v0, s101
	s_cbranch_scc1 .LBB24_359
; %bb.358:
	v_readlane_b32 s5, v255, 0
	v_mov_b32_e32 v0, 0
	s_delay_alu instid0(VALU_DEP_2) | instskip(NEXT) | instid1(SALU_CYCLE_1)
	s_mul_i32 s5, s2, s5
	s_add_i32 s24, s1, s5
	s_delay_alu instid0(SALU_CYCLE_1) | instskip(NEXT) | instid1(SALU_CYCLE_1)
	s_ashr_i32 s25, s24, 31
	s_lshl_b64 s[24:25], s[24:25], 2
	s_delay_alu instid0(SALU_CYCLE_1) | instskip(SKIP_4) | instid1(VALU_DEP_1)
	s_add_u32 s24, s26, s24
	s_addc_u32 s25, s27, s25
	global_load_b32 v0, v0, s[24:25]
	s_waitcnt vmcnt(0)
	v_ashrrev_i32_e32 v1, 31, v0
	v_lshrrev_b32_e32 v1, 26, v1
	s_delay_alu instid0(VALU_DEP_1) | instskip(NEXT) | instid1(VALU_DEP_1)
	v_add_nc_u32_e32 v0, v0, v1
	v_ashrrev_i32_e32 v0, 6, v0
	s_delay_alu instid0(VALU_DEP_1)
	v_min_i32_e32 v0, s101, v0
.LBB24_359:
	s_mul_i32 s5, s3, s76
	s_lshl_b32 s0, s0, 2
	s_mul_i32 s6, s2, s57
	s_add_i32 s5, s0, s5
	s_ashr_i32 s9, s6, 31
	s_mul_i32 s5, s5, s56
	s_add_u32 s6, s16, s6
	s_addc_u32 s9, s17, s9
	s_ashr_i32 s11, s5, 31
	s_add_u32 s5, s6, s5
	s_addc_u32 s6, s9, s11
	s_lshl_b32 s1, s1, 4
	v_or_b32_e32 v2, s0, v162
	v_add_nc_u32_e32 v1, s1, v164
	v_mad_u32_u24 v184, 0x44, v193, v169
	s_delay_alu instid0(VALU_DEP_3) | instskip(NEXT) | instid1(VALU_DEP_3)
	v_cmp_gt_i32_e32 vcc_lo, s76, v2
	v_cmp_le_i32_e64 s0, s8, v1
	s_xor_b32 s9, vcc_lo, -1
	s_delay_alu instid0(VALU_DEP_1) | instid1(SALU_CYCLE_1)
	s_or_b32 s0, s0, s9
	s_delay_alu instid0(SALU_CYCLE_1) | instskip(NEXT) | instid1(SALU_CYCLE_1)
	s_and_saveexec_b32 s11, s0
	s_xor_b32 s0, exec_lo, s11
	s_cbranch_execz .LBB24_361
; %bb.360:
	v_lshl_add_u32 v1, v184, 2, 0
	v_mov_b32_e32 v2, 0
	ds_store_2addr_b32 v1, v2, v2 offset1:32
                                        ; implicit-def: $vgpr1
.LBB24_361:
	s_or_saveexec_b32 s0, s0
	v_readlane_b32 s16, v255, 10
	s_xor_b32 exec_lo, exec_lo, s0
	s_cbranch_execz .LBB24_363
; %bb.362:
	v_mul_lo_u32 v1, v1, s33
	s_delay_alu instid0(VALU_DEP_2) | instskip(NEXT) | instid1(VALU_DEP_1)
	v_mul_lo_u32 v2, v162, s16
	v_add3_u32 v1, v1, v2, v169
	s_delay_alu instid0(VALU_DEP_1) | instskip(NEXT) | instid1(VALU_DEP_1)
	v_ashrrev_i32_e32 v2, 31, v1
	v_lshlrev_b64 v[1:2], 3, v[1:2]
	s_delay_alu instid0(VALU_DEP_1) | instskip(NEXT) | instid1(VALU_DEP_2)
	v_add_co_u32 v1, vcc_lo, s5, v1
	v_add_co_ci_u32_e32 v2, vcc_lo, s6, v2, vcc_lo
	s_clause 0x1
	global_load_b64 v[3:4], v[1:2], off
	global_load_b64 v[1:2], v[1:2], off offset:256
	s_waitcnt vmcnt(1)
	v_cvt_f16_f32_e32 v3, v3
	v_cvt_f16_f32_e32 v4, v4
	s_waitcnt vmcnt(0)
	v_cvt_f16_f32_e32 v1, v1
	v_cvt_f16_f32_e32 v2, v2
	s_delay_alu instid0(VALU_DEP_3) | instskip(NEXT) | instid1(VALU_DEP_2)
	v_pack_b32_f16 v3, v3, v4
	v_pack_b32_f16 v1, v1, v2
	v_lshl_add_u32 v2, v184, 2, 0
	s_delay_alu instid0(VALU_DEP_3) | instskip(NEXT) | instid1(VALU_DEP_3)
	v_pk_mul_f16 v3, v163, v3
	v_pk_mul_f16 v1, v163, v1
	ds_store_2addr_b32 v2, v3, v1 offset1:32
.LBB24_363:
	s_or_b32 exec_lo, exec_lo, s0
	v_lshrrev_b32_e32 v1, 2, v189
	s_delay_alu instid0(VALU_DEP_1) | instskip(NEXT) | instid1(VALU_DEP_1)
	v_add_nc_u32_e32 v1, s1, v1
	v_cmp_le_i32_e32 vcc_lo, s8, v1
	s_or_b32 s0, vcc_lo, s9
	s_delay_alu instid0(SALU_CYCLE_1) | instskip(NEXT) | instid1(SALU_CYCLE_1)
	s_and_saveexec_b32 s11, s0
	s_xor_b32 s0, exec_lo, s11
	s_cbranch_execz .LBB24_365
; %bb.364:
	v_mad_u32_u24 v1, 0x44, v189, v169
	v_mov_b32_e32 v2, 0
	s_delay_alu instid0(VALU_DEP_2)
	v_lshl_add_u32 v1, v1, 2, 0
	ds_store_2addr_b32 v1, v2, v2 offset1:32
                                        ; implicit-def: $vgpr1
.LBB24_365:
	s_and_not1_saveexec_b32 s0, s0
	s_cbranch_execz .LBB24_367
; %bb.366:
	v_mul_lo_u32 v1, v1, s33
	v_mul_lo_u32 v2, v162, s16
	v_mad_u32_u24 v5, 0x44, v189, v169
	s_delay_alu instid0(VALU_DEP_2) | instskip(NEXT) | instid1(VALU_DEP_1)
	v_add3_u32 v1, v1, v2, v169
	v_ashrrev_i32_e32 v2, 31, v1
	s_delay_alu instid0(VALU_DEP_1) | instskip(NEXT) | instid1(VALU_DEP_1)
	v_lshlrev_b64 v[1:2], 3, v[1:2]
	v_add_co_u32 v1, vcc_lo, s5, v1
	s_delay_alu instid0(VALU_DEP_2)
	v_add_co_ci_u32_e32 v2, vcc_lo, s6, v2, vcc_lo
	s_clause 0x1
	global_load_b64 v[3:4], v[1:2], off
	global_load_b64 v[1:2], v[1:2], off offset:256
	s_waitcnt vmcnt(1)
	v_cvt_f16_f32_e32 v3, v3
	v_cvt_f16_f32_e32 v4, v4
	s_waitcnt vmcnt(0)
	v_cvt_f16_f32_e32 v1, v1
	v_cvt_f16_f32_e32 v2, v2
	s_delay_alu instid0(VALU_DEP_3) | instskip(NEXT) | instid1(VALU_DEP_2)
	v_pack_b32_f16 v3, v3, v4
	v_pack_b32_f16 v1, v1, v2
	v_lshl_add_u32 v2, v5, 2, 0
	s_delay_alu instid0(VALU_DEP_3) | instskip(NEXT) | instid1(VALU_DEP_3)
	v_pk_mul_f16 v3, v163, v3
	v_pk_mul_f16 v1, v163, v1
	ds_store_2addr_b32 v2, v3, v1 offset1:32
.LBB24_367:
	s_or_b32 exec_lo, exec_lo, s0
	v_lshrrev_b32_e32 v1, 2, v187
	s_delay_alu instid0(VALU_DEP_1) | instskip(NEXT) | instid1(VALU_DEP_1)
	v_add_nc_u32_e32 v1, s1, v1
	v_cmp_le_i32_e32 vcc_lo, s8, v1
	s_or_b32 s0, vcc_lo, s9
	s_delay_alu instid0(SALU_CYCLE_1) | instskip(NEXT) | instid1(SALU_CYCLE_1)
	s_and_saveexec_b32 s11, s0
	s_xor_b32 s0, exec_lo, s11
	s_cbranch_execz .LBB24_369
; %bb.368:
	v_mad_u32_u24 v1, 0x44, v187, v169
	v_mov_b32_e32 v2, 0
	s_delay_alu instid0(VALU_DEP_2)
	v_lshl_add_u32 v1, v1, 2, 0
	ds_store_2addr_b32 v1, v2, v2 offset1:32
                                        ; implicit-def: $vgpr1
.LBB24_369:
	s_and_not1_saveexec_b32 s0, s0
	s_cbranch_execz .LBB24_371
; %bb.370:
	v_mul_lo_u32 v1, v1, s33
	v_mul_lo_u32 v2, v162, s16
	v_mad_u32_u24 v5, 0x44, v187, v169
	s_delay_alu instid0(VALU_DEP_2) | instskip(NEXT) | instid1(VALU_DEP_1)
	v_add3_u32 v1, v1, v2, v169
	v_ashrrev_i32_e32 v2, 31, v1
	s_delay_alu instid0(VALU_DEP_1) | instskip(NEXT) | instid1(VALU_DEP_1)
	v_lshlrev_b64 v[1:2], 3, v[1:2]
	v_add_co_u32 v1, vcc_lo, s5, v1
	s_delay_alu instid0(VALU_DEP_2)
	v_add_co_ci_u32_e32 v2, vcc_lo, s6, v2, vcc_lo
	s_clause 0x1
	global_load_b64 v[3:4], v[1:2], off
	global_load_b64 v[1:2], v[1:2], off offset:256
	s_waitcnt vmcnt(1)
	v_cvt_f16_f32_e32 v3, v3
	v_cvt_f16_f32_e32 v4, v4
	s_waitcnt vmcnt(0)
	v_cvt_f16_f32_e32 v1, v1
	v_cvt_f16_f32_e32 v2, v2
	s_delay_alu instid0(VALU_DEP_3) | instskip(NEXT) | instid1(VALU_DEP_2)
	v_pack_b32_f16 v3, v3, v4
	v_pack_b32_f16 v1, v1, v2
	v_lshl_add_u32 v2, v5, 2, 0
	s_delay_alu instid0(VALU_DEP_3) | instskip(NEXT) | instid1(VALU_DEP_3)
	v_pk_mul_f16 v3, v163, v3
	v_pk_mul_f16 v1, v163, v1
	ds_store_2addr_b32 v2, v3, v1 offset1:32
.LBB24_371:
	;; [unrolled: 50-line block ×12, first 2 shown]
	s_or_b32 exec_lo, exec_lo, s0
	v_lshrrev_b32_e32 v1, 2, v172
	s_sub_i32 s0, 0, s4
	s_delay_alu instid0(VALU_DEP_1) | instskip(NEXT) | instid1(VALU_DEP_1)
	v_add_nc_u32_e32 v1, s1, v1
	v_cmp_le_i32_e32 vcc_lo, s8, v1
	s_or_b32 s11, vcc_lo, s9
	s_delay_alu instid0(SALU_CYCLE_1) | instskip(NEXT) | instid1(SALU_CYCLE_1)
	s_and_saveexec_b32 s13, s11
	s_xor_b32 s11, exec_lo, s13
	s_cbranch_execz .LBB24_413
; %bb.412:
	v_mad_u32_u24 v1, 0x44, v172, v169
	v_mov_b32_e32 v2, 0
	s_delay_alu instid0(VALU_DEP_2)
	v_lshl_add_u32 v1, v1, 2, 0
	ds_store_2addr_b32 v1, v2, v2 offset1:32
                                        ; implicit-def: $vgpr1
.LBB24_413:
	s_or_saveexec_b32 s11, s11
	s_mul_i32 s0, s0, s7
	s_xor_b32 exec_lo, exec_lo, s11
	s_cbranch_execz .LBB24_415
; %bb.414:
	v_mul_lo_u32 v1, v1, s33
	v_mul_lo_u32 v2, v162, s16
	v_mad_u32_u24 v5, 0x44, v172, v169
	s_delay_alu instid0(VALU_DEP_2) | instskip(NEXT) | instid1(VALU_DEP_1)
	v_add3_u32 v1, v1, v2, v169
	v_ashrrev_i32_e32 v2, 31, v1
	s_delay_alu instid0(VALU_DEP_1) | instskip(NEXT) | instid1(VALU_DEP_1)
	v_lshlrev_b64 v[1:2], 3, v[1:2]
	v_add_co_u32 v1, vcc_lo, s5, v1
	s_delay_alu instid0(VALU_DEP_2)
	v_add_co_ci_u32_e32 v2, vcc_lo, s6, v2, vcc_lo
	s_clause 0x1
	global_load_b64 v[3:4], v[1:2], off
	global_load_b64 v[1:2], v[1:2], off offset:256
	s_waitcnt vmcnt(1)
	v_cvt_f16_f32_e32 v3, v3
	v_cvt_f16_f32_e32 v4, v4
	s_waitcnt vmcnt(0)
	v_cvt_f16_f32_e32 v1, v1
	v_cvt_f16_f32_e32 v2, v2
	s_delay_alu instid0(VALU_DEP_3) | instskip(NEXT) | instid1(VALU_DEP_2)
	v_pack_b32_f16 v3, v3, v4
	v_pack_b32_f16 v1, v1, v2
	v_lshl_add_u32 v2, v5, 2, 0
	s_delay_alu instid0(VALU_DEP_3) | instskip(NEXT) | instid1(VALU_DEP_3)
	v_pk_mul_f16 v3, v163, v3
	v_pk_mul_f16 v1, v163, v1
	ds_store_2addr_b32 v2, v3, v1 offset1:32
.LBB24_415:
	s_or_b32 exec_lo, exec_lo, s11
	v_lshrrev_b32_e32 v1, 2, v171
	s_mul_hi_u32 s11, s7, s0
	s_delay_alu instid0(VALU_DEP_1) | instskip(NEXT) | instid1(VALU_DEP_1)
	v_add_nc_u32_e32 v1, s1, v1
	v_cmp_le_i32_e32 vcc_lo, s8, v1
	s_or_b32 s0, vcc_lo, s9
	s_delay_alu instid0(SALU_CYCLE_1) | instskip(NEXT) | instid1(SALU_CYCLE_1)
	s_and_saveexec_b32 s13, s0
	s_xor_b32 s0, exec_lo, s13
	s_cbranch_execz .LBB24_417
; %bb.416:
	v_mad_u32_u24 v1, 0x44, v171, v169
	v_mov_b32_e32 v2, 0
	s_delay_alu instid0(VALU_DEP_2)
	v_lshl_add_u32 v1, v1, 2, 0
	ds_store_2addr_b32 v1, v2, v2 offset1:32
                                        ; implicit-def: $vgpr1
.LBB24_417:
	s_or_saveexec_b32 s0, s0
	s_abs_i32 s15, s2
	s_add_i32 s7, s7, s11
	s_xor_b32 exec_lo, exec_lo, s0
	s_cbranch_execz .LBB24_419
; %bb.418:
	v_mul_lo_u32 v1, v1, s33
	v_mul_lo_u32 v2, v162, s16
	v_mad_u32_u24 v5, 0x44, v171, v169
	s_delay_alu instid0(VALU_DEP_2) | instskip(NEXT) | instid1(VALU_DEP_1)
	v_add3_u32 v1, v1, v2, v169
	v_ashrrev_i32_e32 v2, 31, v1
	s_delay_alu instid0(VALU_DEP_1) | instskip(NEXT) | instid1(VALU_DEP_1)
	v_lshlrev_b64 v[1:2], 3, v[1:2]
	v_add_co_u32 v1, vcc_lo, s5, v1
	s_delay_alu instid0(VALU_DEP_2)
	v_add_co_ci_u32_e32 v2, vcc_lo, s6, v2, vcc_lo
	s_clause 0x1
	global_load_b64 v[3:4], v[1:2], off
	global_load_b64 v[1:2], v[1:2], off offset:256
	s_waitcnt vmcnt(1)
	v_cvt_f16_f32_e32 v3, v3
	v_cvt_f16_f32_e32 v4, v4
	s_waitcnt vmcnt(0)
	v_cvt_f16_f32_e32 v1, v1
	v_cvt_f16_f32_e32 v2, v2
	s_delay_alu instid0(VALU_DEP_3) | instskip(NEXT) | instid1(VALU_DEP_2)
	v_pack_b32_f16 v3, v3, v4
	v_pack_b32_f16 v1, v1, v2
	v_lshl_add_u32 v2, v5, 2, 0
	s_delay_alu instid0(VALU_DEP_3) | instskip(NEXT) | instid1(VALU_DEP_3)
	v_pk_mul_f16 v3, v163, v3
	v_pk_mul_f16 v1, v163, v1
	ds_store_2addr_b32 v2, v3, v1 offset1:32
.LBB24_419:
	s_or_b32 exec_lo, exec_lo, s0
	v_lshrrev_b32_e32 v1, 2, v170
	s_mul_hi_u32 s7, s15, s7
	s_delay_alu instid0(VALU_DEP_1) | instskip(NEXT) | instid1(VALU_DEP_1)
	v_add_nc_u32_e32 v1, s1, v1
	v_cmp_le_i32_e32 vcc_lo, s8, v1
	s_or_b32 s0, vcc_lo, s9
	s_delay_alu instid0(SALU_CYCLE_1) | instskip(NEXT) | instid1(SALU_CYCLE_1)
	s_and_saveexec_b32 s9, s0
	s_xor_b32 s0, exec_lo, s9
	s_cbranch_execz .LBB24_421
; %bb.420:
	v_mad_u32_u24 v1, 0x44, v170, v169
	v_mov_b32_e32 v2, 0
                                        ; implicit-def: $vgpr162
                                        ; implicit-def: $vgpr163
	s_delay_alu instid0(VALU_DEP_2)
	v_lshl_add_u32 v1, v1, 2, 0
	ds_store_2addr_b32 v1, v2, v2 offset1:32
                                        ; implicit-def: $vgpr1
.LBB24_421:
	s_or_saveexec_b32 s9, s0
	s_ashr_i32 s0, s2, 31
	s_xor_b32 exec_lo, exec_lo, s9
	s_cbranch_execz .LBB24_423
; %bb.422:
	v_mul_lo_u32 v1, v1, s33
	v_mul_lo_u32 v2, v162, s16
	v_mad_u32_u24 v5, 0x44, v170, v169
	s_delay_alu instid0(VALU_DEP_2) | instskip(NEXT) | instid1(VALU_DEP_1)
	v_add3_u32 v1, v1, v2, v169
	v_ashrrev_i32_e32 v2, 31, v1
	s_delay_alu instid0(VALU_DEP_1) | instskip(NEXT) | instid1(VALU_DEP_1)
	v_lshlrev_b64 v[1:2], 3, v[1:2]
	v_add_co_u32 v1, vcc_lo, s5, v1
	s_delay_alu instid0(VALU_DEP_2)
	v_add_co_ci_u32_e32 v2, vcc_lo, s6, v2, vcc_lo
	s_clause 0x1
	global_load_b64 v[3:4], v[1:2], off
	global_load_b64 v[1:2], v[1:2], off offset:256
	s_waitcnt vmcnt(1)
	v_cvt_f16_f32_e32 v3, v3
	v_cvt_f16_f32_e32 v4, v4
	s_waitcnt vmcnt(0)
	v_cvt_f16_f32_e32 v1, v1
	v_cvt_f16_f32_e32 v2, v2
	s_delay_alu instid0(VALU_DEP_3) | instskip(NEXT) | instid1(VALU_DEP_2)
	v_pack_b32_f16 v3, v3, v4
	v_pack_b32_f16 v1, v1, v2
	v_lshl_add_u32 v2, v5, 2, 0
	s_delay_alu instid0(VALU_DEP_3) | instskip(NEXT) | instid1(VALU_DEP_3)
	v_pk_mul_f16 v3, v163, v3
	v_pk_mul_f16 v1, v163, v1
	ds_store_2addr_b32 v2, v3, v1 offset1:32
.LBB24_423:
	s_or_b32 exec_lo, exec_lo, s9
	v_and_b32_e32 v185, 15, v169
	v_mul_u32_u24_e32 v2, 0x1100, v193
	v_readlane_b32 s16, v255, 8
	s_mul_i32 s5, s2, s45
	s_mul_hi_u32 s6, s2, s44
	v_mul_u32_u24_e32 v1, 0x110, v185
	v_readlane_b32 s17, v255, 9
	s_add_i32 s5, s6, s5
	s_mul_i32 s6, s0, s44
	s_mul_i32 s9, s2, s44
	v_add3_u32 v2, 0, v2, v1
	s_add_i32 s5, s5, s6
	s_add_u32 s6, s18, s9
	s_mul_i32 s9, s3, s17
	s_addc_u32 s5, s19, s5
	s_ashr_i32 s13, s9, 31
	s_mul_i32 s7, s7, s4
	s_waitcnt lgkmcnt(0)
	s_waitcnt_vscnt null, 0x0
	s_barrier
	buffer_gl0_inv
	ds_load_b128 v[56:59], v2
	ds_load_b128 v[60:63], v2 offset:16
	ds_load_b128 v[64:67], v2 offset:32
	;; [unrolled: 1-line block ×15, first 2 shown]
	s_add_u32 s11, s6, s9
	s_addc_u32 s13, s5, s13
	s_sub_i32 s5, s15, s7
	v_add_nc_u32_e32 v39, -1, v0
	s_sub_i32 s6, s5, s4
	s_cmp_ge_u32 s5, s4
	s_mul_i32 s3, s3, s47
	s_cselect_b32 s5, s6, s5
	v_cmp_lt_i32_e32 vcc_lo, s14, v39
	s_sub_i32 s6, s5, s4
	s_cmp_ge_u32 s5, s4
	v_dual_mov_b32 v197, v195 :: v_dual_lshlrev_b32 v0, 1, v169
	s_cselect_b32 s4, s6, s5
	s_waitcnt lgkmcnt(0)
	s_xor_b32 s4, s4, s0
	s_barrier
	s_sub_i32 s4, s4, s0
	s_mul_i32 s0, s0, s50
	s_mul_i32 s5, s4, s53
	s_mul_hi_u32 s6, s4, s52
	s_ashr_i32 s7, s4, 31
	s_add_i32 s5, s6, s5
	s_mul_i32 s7, s7, s52
	s_mul_i32 s4, s4, s52
	s_add_i32 s5, s5, s7
	s_add_u32 s15, s22, s4
	s_addc_u32 s26, s23, s5
	s_mul_i32 s4, s2, s51
	s_mul_hi_u32 s5, s2, s50
	s_mul_i32 s2, s2, s50
	s_add_i32 s4, s5, s4
	buffer_gl0_inv
	s_add_i32 s4, s4, s0
	s_add_u32 s0, s20, s2
	s_addc_u32 s2, s21, s4
	s_ashr_i32 s4, s3, 31
	s_add_u32 s6, s0, s3
	s_addc_u32 s7, s2, s4
	s_mov_b32 s0, 0
	s_movk_i32 s2, 0x110
	s_mov_b32 s3, -1
	s_cbranch_vccnz .LBB24_425
; %bb.424:
	v_lshrrev_b32_e32 v191, 4, v169
	v_add_nc_u32_e32 v2, s1, v193
	s_movk_i32 s4, 0x480
	v_dual_mov_b32 v108, 0 :: v_dual_add_nc_u32 v3, s1, v189
	s_delay_alu instid0(VALU_DEP_3) | instskip(NEXT) | instid1(VALU_DEP_3)
	v_lshl_add_u32 v10, v193, 1, v191
	v_mul_hi_u32 v6, s34, v2
	v_add_nc_u32_e32 v4, s1, v187
	v_dual_mov_b32 v186, 32 :: v_dual_add_nc_u32 v5, s1, v183
	s_delay_alu instid0(VALU_DEP_4)
	v_mul_lo_u32 v44, s12, v10
	v_mul_lo_u32 v126, s10, v10
	s_movk_i32 s3, 0x240
	v_mad_u32_u24 v110, 0x90, v193, s4
	s_movk_i32 s4, 0x880
	v_add_nc_u32_e32 v6, v2, v6
	v_mad_u32_u24 v109, 0x90, v193, s3
	s_lshl_b32 s3, s12, 3
	v_mad_u32_u24 v118, 0x110, v10, s4
	s_lshl_b32 s4, s10, 3
	v_add_nc_u32_e32 v119, s3, v44
	v_add_nc_u32_e32 v124, s4, v126
	v_mul_hi_u32 v7, s34, v3
	v_mul_hi_u32 v8, s34, v4
	;; [unrolled: 1-line block ×3, first 2 shown]
	v_lshrrev_b32_e32 v6, s35, v6
	v_add_nc_u32_e32 v129, s3, v119
	v_add_nc_u32_e32 v194, s4, v124
	v_lshlrev_b32_e32 v190, 4, v193
	v_mad_u32_u24 v116, v10, s2, 0x1100
	v_mul_lo_u32 v6, v6, s8
	v_add_nc_u32_e32 v7, v3, v7
	v_add_nc_u32_e32 v8, v4, v8
	;; [unrolled: 1-line block ×5, first 2 shown]
	v_lshrrev_b32_e32 v7, s35, v7
	v_lshrrev_b32_e32 v8, s35, v8
	;; [unrolled: 1-line block ×3, first 2 shown]
	v_sub_nc_u32_e32 v2, v2, v6
	v_add_nc_u32_e32 v135, s3, v131
	v_add_nc_u32_e32 v212, s4, v206
	v_mul_lo_u32 v7, v7, s8
	v_mul_lo_u32 v8, v8, s8
	;; [unrolled: 1-line block ×3, first 2 shown]
	v_mad_i64_i32 v[37:38], null, v2, s48, 0
	v_lshlrev_b32_e32 v2, 2, v169
	v_add_nc_u32_e32 v42, s3, v135
	v_add_nc_u32_e32 v208, s4, v212
	s_movk_i32 s2, 0x1980
	v_sub_nc_u32_e32 v3, v3, v7
	v_and_b32_e32 v107, 60, v2
	v_add_nc_u32_e32 v90, s3, v42
	v_and_or_b32 v2, v169, 12, v190
	v_add_nc_u32_e32 v210, s4, v208
	v_sub_nc_u32_e32 v4, v4, v8
	v_sub_nc_u32_e32 v5, v5, v9
	v_mad_u32_u24 v133, 0x110, v10, s2
	s_movk_i32 s2, 0x2200
	v_add_nc_u32_e32 v94, s3, v90
	v_mad_u32_u24 v134, 0x110, v10, s2
	s_movk_i32 s2, 0x2a80
	v_lshrrev_b32_e32 v2, 2, v2
	v_mbcnt_lo_u32_b32 v112, -1, 0
	v_add_nc_u32_e32 v253, s4, v210
	v_mad_u32_u24 v137, 0x110, v10, s2
	s_movk_i32 s2, 0x3300
	v_mad_i64_i32 v[35:36], null, v3, s48, 0
	v_mad_i64_i32 v[92:93], null, v4, s48, 0
	v_mad_i64_i32 v[32:33], null, v5, s48, 0
	s_movk_i32 s5, 0x6c0
	v_mad_u32_u24 v88, 0x110, v10, s2
	s_movk_i32 s2, 0x3b80
	v_mul_u32_u24_e32 v106, 0x90, v193
	v_mad_u32_u24 v115, 0x90, v193, s5
	v_mul_u32_u24_e32 v111, 0x110, v10
	v_ashrrev_i32_e32 v45, 31, v44
	v_ashrrev_i32_e32 v120, 31, v119
	;; [unrolled: 1-line block ×7, first 2 shown]
	v_mad_u32_u24 v89, 0x110, v10, s2
	v_ashrrev_i32_e32 v95, 31, v94
	v_mul_u32_u24_e32 v40, 0x90, v2
	v_xor_b32_e32 v128, 16, v112
	v_xor_b32_e32 v205, 1, v191
	v_ashrrev_i32_e32 v127, 31, v126
	v_ashrrev_i32_e32 v125, 31, v124
	;; [unrolled: 1-line block ×8, first 2 shown]
	v_or_b32_e32 v123, 0x110, v185
	v_or_b32_e32 v122, 0x220, v185
	;; [unrolled: 1-line block ×3, first 2 shown]
	s_ashr_i32 s25, s12, 31
	s_ashr_i32 s5, s10, 31
	s_mov_b32 s2, 0xfeffffff
	s_mov_b32 s3, 0
	s_branch .LBB24_426
.LBB24_425:
                                        ; implicit-def: $vgpr205_vgpr206
                                        ; implicit-def: $sgpr0
                                        ; implicit-def: $sgpr2
                                        ; implicit-def: $vgpr106
                                        ; implicit-def: $vgpr37_vgpr38
                                        ; implicit-def: $vgpr109
                                        ; implicit-def: $vgpr35_vgpr36
                                        ; implicit-def: $vgpr110
                                        ; implicit-def: $vgpr92_vgpr93
                                        ; implicit-def: $vgpr115
                                        ; implicit-def: $vgpr32_vgpr33
                                        ; implicit-def: $vgpr191
                                        ; implicit-def: $vgpr111
                                        ; implicit-def: $vgpr107
                                        ; implicit-def: $vgpr44_vgpr45
                                        ; implicit-def: $vgpr118
                                        ; implicit-def: $vgpr119_vgpr120
                                        ; implicit-def: $vgpr116
                                        ; implicit-def: $vgpr129_vgpr130
                                        ; implicit-def: $vgpr133
                                        ; implicit-def: $vgpr131_vgpr132
                                        ; implicit-def: $vgpr134
                                        ; implicit-def: $vgpr135_vgpr136
                                        ; implicit-def: $vgpr137
                                        ; implicit-def: $vgpr42_vgpr43
                                        ; implicit-def: $vgpr88
                                        ; implicit-def: $vgpr90_vgpr91
                                        ; implicit-def: $vgpr89
                                        ; implicit-def: $vgpr94_vgpr95
                                        ; implicit-def: $vgpr190
                                        ; implicit-def: $vgpr40
                                        ; implicit-def: $vgpr112
                                        ; implicit-def: $vgpr128
                                        ; implicit-def: $vgpr186
                                        ; implicit-def: $vgpr126_vgpr127
                                        ; implicit-def: $vgpr124_vgpr125
                                        ; implicit-def: $vgpr194_vgpr195
                                        ; implicit-def: $vgpr212_vgpr213
                                        ; implicit-def: $vgpr208_vgpr209
                                        ; implicit-def: $vgpr210_vgpr211
                                        ; implicit-def: $vgpr253_vgpr254
                                        ; implicit-def: $vgpr123
                                        ; implicit-def: $vgpr122
                                        ; implicit-def: $vgpr121
                                        ; implicit-def: $sgpr24_sgpr25
                                        ; implicit-def: $sgpr4_sgpr5
                                        ; implicit-def: $vgpr206_vgpr207
.LBB24_426:
	v_readlane_b32 s24, v255, 6
	v_dual_mov_b32 v31, s0 :: v_dual_mov_b32 v188, s0
	v_dual_mov_b32 v192, s2 :: v_dual_mov_b32 v29, s0
	v_dual_mov_b32 v27, s0 :: v_dual_lshlrev_b32 v34, 1, v0
	v_dual_mov_b32 v25, s0 :: v_dual_add_nc_u32 v196, 0, v1
	v_dual_mov_b32 v30, s0 :: v_dual_mov_b32 v23, s0
	v_dual_mov_b32 v28, s0 :: v_dual_mov_b32 v21, s0
	;; [unrolled: 1-line block ×12, first 2 shown]
	v_mov_b32_e32 v6, s0
	v_mov_b32_e32 v4, s0
	;; [unrolled: 1-line block ×4, first 2 shown]
	s_and_not1_b32 vcc_lo, exec_lo, s3
	s_cbranch_vccnz .LBB24_430
; %bb.427:
	v_dual_mov_b32 v97, 0 :: v_dual_add_nc_u32 v0, s1, v193
	v_dual_mov_b32 v192, 0xfeffffff :: v_dual_add_nc_u32 v1, s1, v189
	v_add_nc_u32_e32 v4, s1, v187
	s_delay_alu instid0(VALU_DEP_3) | instskip(NEXT) | instid1(VALU_DEP_4)
	v_mul_hi_u32 v2, s34, v0
	v_dual_mov_b32 v188, v97 :: v_dual_add_nc_u32 v5, s1, v183
	s_delay_alu instid0(VALU_DEP_4) | instskip(NEXT) | instid1(VALU_DEP_4)
	v_mul_hi_u32 v3, s34, v1
	v_mul_hi_u32 v7, s34, v4
	v_add_co_u32 v9, s0, s15, v34
	s_delay_alu instid0(VALU_DEP_4)
	v_mul_hi_u32 v8, s34, v5
	v_add_nc_u32_e32 v2, v0, v2
	s_clause 0x1
	scratch_store_b32 off, v184, off offset:392
	scratch_store_b32 off, v9, off offset:140
	v_add_nc_u32_e32 v3, v1, v3
	v_add_nc_u32_e32 v7, v4, v7
	v_lshrrev_b32_e32 v2, s35, v2
	v_add_co_ci_u32_e64 v9, null, s26, 0, s0
	s_delay_alu instid0(VALU_DEP_4) | instskip(NEXT) | instid1(VALU_DEP_4)
	v_lshrrev_b32_e32 v3, s35, v3
	v_lshrrev_b32_e32 v7, s35, v7
	s_delay_alu instid0(VALU_DEP_4)
	v_mul_lo_u32 v2, v2, s8
	v_add_nc_u32_e32 v8, v5, v8
	s_movk_i32 s0, 0x240
	v_mul_lo_u32 v3, v3, s8
	v_mad_u32_u24 v10, 0x90, v193, s0
	s_movk_i32 s0, 0x480
	v_lshrrev_b32_e32 v8, s35, v8
	v_lshrrev_b32_e32 v191, 4, v169
	v_sub_nc_u32_e32 v0, v0, v2
	v_mul_lo_u32 v2, v7, s8
	s_movk_i32 s1, 0x880
	v_sub_nc_u32_e32 v1, v1, v3
	v_mul_lo_u32 v3, v8, s8
	v_mad_i64_i32 v[37:38], null, v0, s48, 0
	v_lshlrev_b32_e32 v0, 2, v169
	s_delay_alu instid0(VALU_DEP_4) | instskip(SKIP_2) | instid1(VALU_DEP_4)
	v_mad_i64_i32 v[35:36], null, v1, s48, 0
	v_sub_nc_u32_e32 v1, v4, v2
	v_mad_u32_u24 v2, 0x90, v193, s0
	v_dual_mov_b32 v7, v97 :: v_dual_and_b32 v96, 60, v0
	v_sub_nc_u32_e32 v0, v5, v3
	s_delay_alu instid0(VALU_DEP_4)
	v_mad_i64_i32 v[92:93], null, v1, s48, 0
	scratch_store_b32 off, v2, off offset:440 ; 4-byte Folded Spill
	v_lshl_add_u32 v2, v193, 1, v191
	v_lshlrev_b32_e32 v1, 2, v96
	v_mad_i64_i32 v[32:33], null, v0, s48, 0
	s_movk_i32 s0, 0x6c0
	s_delay_alu instid0(VALU_DEP_3)
	v_mul_u32_u24_e32 v3, 0x110, v2
	v_mad_u32_u24 v0, 0x110, v2, s1
	s_movk_i32 s1, 0x1100
	v_mad_u32_u24 v4, 0x90, v193, s0
	v_mul_lo_u32 v44, s12, v2
	s_clause 0x1
	scratch_store_b32 off, v3, off offset:444
	scratch_store_b32 off, v0, off offset:456
	v_add3_u32 v3, 0, v3, v1
	scratch_store_b32 off, v9, off offset:144 ; 4-byte Folded Spill
	v_mul_lo_u32 v126, s10, v2
	v_mul_u32_u24_e32 v9, 0x90, v193
	s_lshl_b32 s0, s12, 3
	scratch_store_b32 off, v3, off offset:148 ; 4-byte Folded Spill
	v_add_nc_u32_e32 v0, 0x880, v3
	scratch_store_b32 off, v10, off offset:436 ; 4-byte Folded Spill
	v_mov_b32_e32 v11, v97
	s_lshl_b32 s2, s10, 3
	v_add_nc_u32_e32 v119, s0, v44
	scratch_store_b32 off, v0, off offset:152 ; 4-byte Folded Spill
	v_mad_u32_u24 v0, 0x110, v2, s1
	s_movk_i32 s1, 0x1980
	v_dual_mov_b32 v25, v97 :: v_dual_add_nc_u32 v124, s2, v126
	v_add_nc_u32_e32 v6, 0, v34
	scratch_store_b32 off, v0, off offset:452 ; 4-byte Folded Spill
	v_add_nc_u32_e32 v0, 0x1100, v3
	scratch_store_b32 off, v4, off offset:448 ; 4-byte Folded Spill
	v_dual_mov_b32 v13, v97 :: v_dual_add_nc_u32 v194, s2, v124
	v_mov_b32_e32 v27, v97
	scratch_store_b32 off, v0, off offset:160 ; 4-byte Folded Spill
	v_mad_u32_u24 v0, 0x110, v2, s1
	s_movk_i32 s1, 0x2200
	v_dual_mov_b32 v4, v97 :: v_dual_add_nc_u32 v129, s0, v119
	v_mov_b32_e32 v15, v97
	scratch_store_b32 off, v0, off offset:460 ; 4-byte Folded Spill
	v_add_nc_u32_e32 v0, 0x1980, v3
	scratch_store_b32 off, v34, off offset:536 ; 4-byte Folded Spill
	v_dual_mov_b32 v31, v97 :: v_dual_add_nc_u32 v206, s2, v194
	v_ashrrev_i32_e32 v45, 31, v44
	scratch_store_b32 off, v0, off offset:168 ; 4-byte Folded Spill
	v_mad_u32_u24 v0, 0x110, v2, s1
	s_movk_i32 s1, 0x2a80
	v_dual_mov_b32 v19, v97 :: v_dual_add_nc_u32 v212, s2, v206
	v_mov_b32_e32 v12, v97
	scratch_store_b32 off, v0, off offset:492 ; 4-byte Folded Spill
	v_dual_mov_b32 v29, v97 :: v_dual_add_nc_u32 v0, 0x2200, v3
	v_dual_mov_b32 v23, v97 :: v_dual_add_nc_u32 v208, s2, v212
	v_ashrrev_i32_e32 v120, 31, v119
	scratch_store_b32 off, v0, off offset:176 ; 4-byte Folded Spill
	v_mad_u32_u24 v0, 0x110, v2, s1
	s_movk_i32 s1, 0x3300
	v_add_nc_u32_e32 v210, s2, v208
	v_mad_u32_u24 v1, 0x110, v2, s1
	s_movk_i32 s1, 0x3b80
	scratch_store_b32 off, v0, off offset:524 ; 4-byte Folded Spill
	v_add_nc_u32_e32 v0, 0x2a80, v3
	v_mad_u32_u24 v2, 0x110, v2, s1
	scratch_store_b32 off, v1, off offset:528 ; 4-byte Folded Spill
	v_add_nc_u32_e32 v1, 0x3300, v3
	v_dual_mov_b32 v14, v97 :: v_dual_add_nc_u32 v253, s2, v210
	scratch_store_b32 off, v0, off offset:184 ; 4-byte Folded Spill
	v_lshlrev_b32_e32 v0, 4, v193
	scratch_store_b32 off, v2, off offset:532 ; 4-byte Folded Spill
	v_add_nc_u32_e32 v2, 0x3b80, v3
	scratch_store_b32 off, v1, off offset:192 ; 4-byte Folded Spill
	v_mbcnt_lo_u32_b32 v1, -1, 0
	scratch_store_b32 off, v0, off offset:400 ; 4-byte Folded Spill
	v_and_or_b32 v0, v169, 12, v0
	scratch_store_b32 off, v2, off offset:200 ; 4-byte Folded Spill
	v_xor_b32_e32 v205, 1, v191
	v_xor_b32_e32 v2, 16, v1
	v_ashrrev_i32_e32 v127, 31, v126
	v_lshrrev_b32_e32 v0, 2, v0
	v_ashrrev_i32_e32 v125, 31, v124
	v_ashrrev_i32_e32 v195, 31, v194
	v_cmp_gt_i32_e32 vcc_lo, 32, v2
	v_ashrrev_i32_e32 v207, 31, v206
	v_mul_u32_u24_e32 v3, 0x90, v0
	v_lshlrev_b32_e32 v0, 1, v191
	v_ashrrev_i32_e32 v213, 31, v212
	v_cndmask_b32_e32 v1, v1, v2, vcc_lo
	v_ashrrev_i32_e32 v209, 31, v208
	scratch_store_b32 off, v3, off offset:420 ; 4-byte Folded Spill
	v_add3_u32 v223, 0, v3, v0
	v_lshlrev_b32_e32 v0, 2, v185
	v_lshlrev_b32_e32 v224, 2, v1
	v_or_b32_e32 v1, 0x110, v185
	scratch_store_b32 off, v2, off offset:416 ; 4-byte Folded Spill
	v_ashrrev_i32_e32 v211, 31, v210
	v_dual_mov_b32 v16, v97 :: v_dual_add_nc_u32 v225, 0, v0
	scratch_store_b32 off, v1, off offset:412 ; 4-byte Folded Spill
	v_or_b32_e32 v1, 0x220, v185
	s_clause 0x1
	scratch_store_b32 off, v1, off offset:408
	scratch_store_b32 off, v185, off offset:396
	v_or_b32_e32 v1, 0x330, v185
	v_ashrrev_i32_e32 v254, 31, v253
	scratch_store_b32 off, v9, off offset:424 ; 4-byte Folded Spill
	v_lshlrev_b32_e32 v242, 2, v96
	v_mov_b32_e32 v2, v97
	scratch_store_b32 off, v1, off offset:404 ; 4-byte Folded Spill
	v_add3_u32 v1, 0, 0x1100, v0
	v_mov_b32_e32 v3, v97
	v_mov_b32_e32 v5, v97
	;; [unrolled: 1-line block ×4, first 2 shown]
	scratch_store_b32 off, v1, off offset:208 ; 4-byte Folded Spill
	v_add3_u32 v1, 0, 0x2200, v0
	v_mov_b32_e32 v22, v97
	v_mov_b32_e32 v24, v97
	;; [unrolled: 1-line block ×4, first 2 shown]
	s_clause 0x1
	scratch_store_b32 off, v1, off offset:216
	scratch_store_b64 off, v[96:97], off offset:428
	v_add3_u32 v1, 0, 0x3300, v0
	v_mov_b32_e32 v30, v97
	s_mov_b32 s16, 0
	s_ashr_i32 s25, s12, 31
	s_ashr_i32 s5, s10, 31
	scratch_store_b32 off, v1, off offset:224 ; 4-byte Folded Spill
	v_add3_u32 v1, 0, 64, v0
	s_lshl_b32 s8, s14, 6
	s_mov_b32 s17, s16
	s_mov_b32 s18, s16
	;; [unrolled: 1-line block ×3, first 2 shown]
	scratch_store_b32 off, v1, off offset:232 ; 4-byte Folded Spill
	v_add3_u32 v1, 0, 0x1140, v0
	s_mov_b32 s20, s16
	s_mov_b32 s21, s16
	;; [unrolled: 1-line block ×4, first 2 shown]
	scratch_store_b32 off, v1, off offset:240 ; 4-byte Folded Spill
	v_add3_u32 v1, 0, 0x2240, v0
	v_mov_b32_e32 v8, v97
	v_mov_b32_e32 v10, v97
	;; [unrolled: 1-line block ×4, first 2 shown]
	scratch_store_b32 off, v1, off offset:248 ; 4-byte Folded Spill
	v_add3_u32 v1, 0, 0x3340, v0
	scratch_store_b32 off, v1, off offset:256 ; 4-byte Folded Spill
	v_add3_u32 v1, 0, 0x80, v0
	;; [unrolled: 2-line block ×8, first 2 shown]
	v_add3_u32 v0, 0, 0x33c0, v0
	s_clause 0x1
	scratch_store_b32 off, v1, off offset:380
	scratch_store_b32 off, v0, off offset:384
	v_dual_mov_b32 v1, v97 :: v_dual_add_nc_u32 v0, v6, v9
	v_dual_mov_b32 v6, v97 :: v_dual_add_nc_u32 v131, s0, v129
	v_ashrrev_i32_e32 v130, 31, v129
	v_mov_b32_e32 v9, v97
	scratch_store_b32 off, v0, off offset:388 ; 4-byte Folded Spill
	v_dual_mov_b32 v0, v97 :: v_dual_add_nc_u32 v135, s0, v131
	v_ashrrev_i32_e32 v132, 31, v131
	s_clause 0x7
	scratch_store_b128 off, v[48:51], off offset:28
	scratch_store_b128 off, v[52:55], off offset:44
	;; [unrolled: 1-line block ×4, first 2 shown]
	scratch_store_b64 off, v[44:45], off offset:92
	scratch_store_b64 off, v[119:120], off offset:100
	scratch_store_b128 off, v[234:237], off offset:108
	scratch_store_b128 off, v[238:241], off offset:124
	v_add_nc_u32_e32 v42, s0, v135
	v_ashrrev_i32_e32 v136, 31, v135
	s_delay_alu instid0(VALU_DEP_2) | instskip(SKIP_1) | instid1(VALU_DEP_2)
	v_add_nc_u32_e32 v90, s0, v42
	v_ashrrev_i32_e32 v43, 31, v42
	v_add_nc_u32_e32 v94, s0, v90
	v_ashrrev_i32_e32 v91, 31, v90
	s_delay_alu instid0(VALU_DEP_2)
	v_ashrrev_i32_e32 v95, 31, v94
.LBB24_428:                             ; =>This Inner Loop Header: Depth=1
	scratch_load_b32 v34, off, off offset:140 ; 4-byte Folded Reload
	s_ashr_i32 s9, s8, 31
	v_lshlrev_b64 v[96:97], 1, v[37:38]
	s_lshl_b64 s[0:1], s[8:9], 1
	v_lshlrev_b64 v[98:99], 1, v[35:36]
	v_lshlrev_b64 v[100:101], 1, v[92:93]
	;; [unrolled: 1-line block ×3, first 2 shown]
	v_dual_mov_b32 v178, s23 :: v_dual_mov_b32 v173, s18
	v_dual_mov_b32 v176, s21 :: v_dual_mov_b32 v171, s16
	;; [unrolled: 1-line block ×6, first 2 shown]
	v_mov_b32_e32 v142, v219
	v_mov_b32_e32 v144, v221
	v_cmp_eq_u32_e64 s2, 0, v191
	v_mov_b32_e32 v177, s22
	v_mov_b32_e32 v175, s20
	v_add_nc_u32_e32 v193, 0xc00, v225
	s_waitcnt vmcnt(0)
	v_add_co_u32 v104, vcc_lo, v34, s0
	scratch_load_b32 v34, off, off offset:144 ; 4-byte Folded Reload
	s_mul_i32 s0, s8, s12
	s_waitcnt vmcnt(0)
	v_add_co_ci_u32_e32 v105, vcc_lo, s1, v34, vcc_lo
	v_add_co_u32 v96, vcc_lo, v104, v96
	s_mul_hi_i32 s1, s8, s12
	s_delay_alu instid0(VALU_DEP_2)
	v_add_co_ci_u32_e32 v97, vcc_lo, v105, v97, vcc_lo
	v_add_co_u32 v98, vcc_lo, v104, v98
	v_add_co_ci_u32_e32 v99, vcc_lo, v105, v99, vcc_lo
	v_add_co_u32 v100, vcc_lo, v104, v100
	;; [unrolled: 2-line block ×3, first 2 shown]
	v_add_co_ci_u32_e32 v103, vcc_lo, v105, v103, vcc_lo
	s_clause 0x3
	global_load_b32 v96, v[96:97], off
	global_load_b32 v97, v[98:99], off
	;; [unrolled: 1-line block ×4, first 2 shown]
	scratch_load_b32 v34, off, off offset:388 ; 4-byte Folded Reload
	s_lshl_b64 s[0:1], s[0:1], 2
	s_delay_alu instid0(SALU_CYCLE_1)
	s_add_u32 s0, s11, s0
	s_addc_u32 s1, s13, s1
	s_waitcnt vmcnt(0)
	v_add_nc_u32_e32 v100, 0x4400, v34
	ds_store_2addr_b32 v100, v96, v97 offset1:144
	v_add_nc_u32_e32 v96, 0x4800, v34
	ds_store_2addr_b32 v96, v98, v99 offset0:32 offset1:176
	v_lshlrev_b64 v[96:97], 2, v[44:45]
	s_delay_alu instid0(VALU_DEP_1) | instskip(NEXT) | instid1(VALU_DEP_2)
	v_add_co_u32 v98, vcc_lo, s0, v96
	v_add_co_ci_u32_e32 v99, vcc_lo, s1, v97, vcc_lo
	v_lshlrev_b64 v[96:97], 2, v[119:120]
	s_delay_alu instid0(VALU_DEP_1) | instskip(NEXT) | instid1(VALU_DEP_2)
	v_add_co_u32 v100, vcc_lo, s0, v96
	v_add_co_ci_u32_e32 v101, vcc_lo, s1, v97, vcc_lo
	v_add_co_u32 v96, vcc_lo, v98, v242
	v_add_co_ci_u32_e32 v97, vcc_lo, 0, v99, vcc_lo
	s_delay_alu instid0(VALU_DEP_4) | instskip(NEXT) | instid1(VALU_DEP_4)
	v_add_co_u32 v100, vcc_lo, v100, v242
	v_add_co_ci_u32_e32 v101, vcc_lo, 0, v101, vcc_lo
	s_clause 0x1
	global_load_b128 v[96:99], v[96:97], off
	global_load_b128 v[100:103], v[100:101], off
	s_clause 0x1
	scratch_load_b32 v34, off, off offset:148
	scratch_load_b32 v40, off, off offset:152
	s_waitcnt vmcnt(1)
	ds_store_b128 v34, v[96:99]
	s_waitcnt vmcnt(0)
	ds_store_b128 v40, v[100:103]
	v_lshlrev_b64 v[96:97], 2, v[129:130]
	s_delay_alu instid0(VALU_DEP_1) | instskip(NEXT) | instid1(VALU_DEP_2)
	v_add_co_u32 v98, vcc_lo, s0, v96
	v_add_co_ci_u32_e32 v99, vcc_lo, s1, v97, vcc_lo
	v_lshlrev_b64 v[96:97], 2, v[131:132]
	s_delay_alu instid0(VALU_DEP_1) | instskip(NEXT) | instid1(VALU_DEP_2)
	v_add_co_u32 v100, vcc_lo, s0, v96
	v_add_co_ci_u32_e32 v101, vcc_lo, s1, v97, vcc_lo
	v_add_co_u32 v96, vcc_lo, v98, v242
	v_add_co_ci_u32_e32 v97, vcc_lo, 0, v99, vcc_lo
	s_delay_alu instid0(VALU_DEP_4) | instskip(NEXT) | instid1(VALU_DEP_4)
	v_add_co_u32 v100, vcc_lo, v100, v242
	v_add_co_ci_u32_e32 v101, vcc_lo, 0, v101, vcc_lo
	s_clause 0x1
	global_load_b128 v[96:99], v[96:97], off
	global_load_b128 v[100:103], v[100:101], off
	s_clause 0x1
	scratch_load_b32 v41, off, off offset:160
	scratch_load_b32 v45, off, off offset:168
	s_waitcnt vmcnt(1)
	ds_store_b128 v41, v[96:99]
	s_waitcnt vmcnt(0)
	ds_store_b128 v45, v[100:103]
	v_lshlrev_b64 v[96:97], 2, v[135:136]
	s_delay_alu instid0(VALU_DEP_1) | instskip(NEXT) | instid1(VALU_DEP_2)
	v_add_co_u32 v98, vcc_lo, s0, v96
	v_add_co_ci_u32_e32 v99, vcc_lo, s1, v97, vcc_lo
	v_lshlrev_b64 v[96:97], 2, v[42:43]
	s_delay_alu instid0(VALU_DEP_1) | instskip(NEXT) | instid1(VALU_DEP_2)
	v_add_co_u32 v100, vcc_lo, s0, v96
	v_add_co_ci_u32_e32 v101, vcc_lo, s1, v97, vcc_lo
	v_add_co_u32 v96, vcc_lo, v98, v242
	v_add_co_ci_u32_e32 v97, vcc_lo, 0, v99, vcc_lo
	s_delay_alu instid0(VALU_DEP_4) | instskip(NEXT) | instid1(VALU_DEP_4)
	v_add_co_u32 v100, vcc_lo, v100, v242
	v_add_co_ci_u32_e32 v101, vcc_lo, 0, v101, vcc_lo
	s_clause 0x1
	global_load_b128 v[96:99], v[96:97], off
	global_load_b128 v[100:103], v[100:101], off
	s_clause 0x1
	scratch_load_b32 v46, off, off offset:176
	scratch_load_b32 v47, off, off offset:184
	s_waitcnt vmcnt(1)
	ds_store_b128 v46, v[96:99]
	v_lshlrev_b64 v[96:97], 2, v[90:91]
	s_waitcnt vmcnt(0)
	ds_store_b128 v47, v[100:103]
	v_add_co_u32 v98, vcc_lo, s0, v96
	v_add_co_ci_u32_e32 v99, vcc_lo, s1, v97, vcc_lo
	v_lshlrev_b64 v[96:97], 2, v[94:95]
	s_delay_alu instid0(VALU_DEP_1) | instskip(NEXT) | instid1(VALU_DEP_2)
	v_add_co_u32 v100, vcc_lo, s0, v96
	v_add_co_ci_u32_e32 v101, vcc_lo, s1, v97, vcc_lo
	v_add_co_u32 v96, vcc_lo, v98, v242
	v_add_co_ci_u32_e32 v97, vcc_lo, 0, v99, vcc_lo
	s_delay_alu instid0(VALU_DEP_4) | instskip(NEXT) | instid1(VALU_DEP_4)
	v_add_co_u32 v100, vcc_lo, v100, v242
	v_add_co_ci_u32_e32 v101, vcc_lo, 0, v101, vcc_lo
	s_clause 0x1
	global_load_b128 v[96:99], v[96:97], off
	global_load_b128 v[100:103], v[100:101], off
	s_clause 0x1
	scratch_load_b32 v88, off, off offset:192
	scratch_load_b32 v89, off, off offset:200
	s_mul_hi_i32 s1, s8, s10
	s_mul_i32 s0, s8, s10
	s_delay_alu instid0(SALU_CYCLE_1) | instskip(NEXT) | instid1(SALU_CYCLE_1)
	s_lshl_b64 s[0:1], s[0:1], 2
	s_add_u32 s0, s6, s0
	s_addc_u32 s1, s7, s1
	s_add_i32 s14, s14, 1
	s_add_i32 s8, s8, 64
	s_waitcnt vmcnt(1)
	ds_store_b128 v88, v[96:99]
	s_waitcnt vmcnt(0)
	ds_store_b128 v89, v[100:103]
	s_waitcnt lgkmcnt(0)
	s_waitcnt_vscnt null, 0x0
	s_barrier
	buffer_gl0_inv
	ds_load_b128 v[96:99], v196
	ds_load_b128 v[100:103], v196 offset:16
	ds_load_b128 v[104:107], v196 offset:4352
	;; [unrolled: 1-line block ×7, first 2 shown]
	s_waitcnt lgkmcnt(6)
	v_wmma_f32_16x16x16_f16 v[197:204], v[96:103], v[56:63], v[171:178]
	ds_load_b128 v[96:99], v196 offset:32
	ds_load_b128 v[100:103], v196 offset:48
	s_waitcnt lgkmcnt(6)
	v_wmma_f32_16x16x16_f16 v[243:250], v[104:111], v[56:63], v[171:178]
	s_waitcnt lgkmcnt(4)
	v_wmma_f32_16x16x16_f16 v[104:111], v[155:162], v[56:63], v[171:178]
	;; [unrolled: 2-line block ×4, first 2 shown]
	ds_load_b128 v[96:99], v196 offset:4384
	ds_load_b128 v[100:103], v196 offset:4400
	s_waitcnt lgkmcnt(0)
	v_wmma_f32_16x16x16_f16 v[243:250], v[96:103], v[64:71], v[243:250]
	ds_load_b128 v[96:99], v196 offset:8736
	ds_load_b128 v[100:103], v196 offset:8752
	s_waitcnt lgkmcnt(0)
	v_wmma_f32_16x16x16_f16 v[104:111], v[96:103], v[64:71], v[104:111]
	;; [unrolled: 4-line block ×19, first 2 shown]
	ds_load_b128 v[96:99], v196 offset:192
	ds_load_b128 v[100:103], v196 offset:208
	v_dual_mov_b32 v240, v127 :: v_dual_mov_b32 v239, v126
	v_dual_mov_b32 v236, v211 :: v_dual_mov_b32 v235, v210
	s_waitcnt lgkmcnt(0)
	v_wmma_f32_16x16x16_f16 v[197:204], v[96:103], v[226:233], v[197:204]
	ds_load_b128 v[96:99], v196 offset:4544
	ds_load_b128 v[100:103], v196 offset:4560
	s_waitcnt lgkmcnt(0)
	v_wmma_f32_16x16x16_f16 v[243:250], v[96:103], v[226:233], v[243:250]
	ds_load_b128 v[96:99], v196 offset:8896
	ds_load_b128 v[100:103], v196 offset:8912
	;; [unrolled: 4-line block ×4, first 2 shown]
	v_dual_mov_b32 v227, v195 :: v_dual_mov_b32 v232, v213
	v_dual_mov_b32 v234, v209 :: v_dual_mov_b32 v233, v208
	v_mov_b32_e32 v231, v212
	s_waitcnt lgkmcnt(0)
	v_wmma_f32_16x16x16_f16 v[197:204], v[96:103], v[48:55], v[197:204]
	ds_load_b128 v[96:99], v196 offset:4576
	ds_load_b128 v[100:103], v196 offset:4592
	s_waitcnt lgkmcnt(0)
	v_wmma_f32_16x16x16_f16 v[243:250], v[96:103], v[48:55], v[243:250]
	ds_load_b128 v[96:99], v196 offset:8928
	ds_load_b128 v[100:103], v196 offset:8944
	;; [unrolled: 4-line block ×3, first 2 shown]
	s_waitcnt lgkmcnt(0)
	s_barrier
	buffer_gl0_inv
	v_wmma_f32_16x16x16_f16 v[155:162], v[96:103], v[48:55], v[155:162]
	ds_load_u16 v96, v223 offset:17408
	ds_load_u16 v97, v223 offset:17412
	;; [unrolled: 1-line block ×16, first 2 shown]
	s_waitcnt lgkmcnt(15)
	v_cvt_f32_f16_e32 v96, v96
	s_waitcnt lgkmcnt(7)
	v_cvt_f32_f16_e32 v113, v113
	v_cvt_f32_f16_e32 v98, v98
	s_waitcnt lgkmcnt(6)
	v_cvt_f32_f16_e32 v114, v114
	;; [unrolled: 3-line block ×3, first 2 shown]
	v_cvt_f32_f16_e32 v102, v102
	v_cvt_f32_f16_e32 v103, v103
	s_waitcnt lgkmcnt(4)
	v_cvt_f32_f16_e32 v116, v116
	s_waitcnt lgkmcnt(3)
	;; [unrolled: 2-line block ×5, first 2 shown]
	v_cvt_f32_f16_e32 v120, v120
	v_cvt_f32_f16_e32 v101, v101
	v_add_f32_e32 v96, v197, v96
	v_dual_add_f32 v98, v199, v98 :: v_dual_add_f32 v103, v204, v103
	v_dual_add_f32 v100, v201, v100 :: v_dual_add_f32 v197, v244, v114
	;; [unrolled: 1-line block ×5, first 2 shown]
	v_add_f32_e32 v190, v249, v119
	v_add_f32_e32 v186, v250, v120
	ds_load_u16 v113, v223 offset:17472
	ds_load_u16 v114, v223 offset:17476
	;; [unrolled: 1-line block ×8, first 2 shown]
	v_cvt_f32_f16_e32 v99, v99
	v_add_f32_e32 v101, v202, v101
	v_mov_b32_e32 v226, v194
	v_cvt_f32_f16_e32 v97, v97
	s_delay_alu instid0(VALU_DEP_4) | instskip(SKIP_1) | instid1(VALU_DEP_3)
	v_dual_add_f32 v99, v200, v99 :: v_dual_add_nc_u32 v202, 0x800, v225
	v_dual_mov_b32 v250, v63 :: v_dual_mov_b32 v245, v58
	v_dual_add_f32 v97, v198, v97 :: v_dual_mov_b32 v244, v57
	v_dual_mov_b32 v249, v62 :: v_dual_mov_b32 v248, v61
	v_mov_b32_e32 v243, v56
	s_waitcnt lgkmcnt(7)
	v_cvt_f32_f16_e32 v113, v113
	s_waitcnt lgkmcnt(6)
	v_cvt_f32_f16_e32 v114, v114
	;; [unrolled: 2-line block ×8, first 2 shown]
	v_add_f32_e32 v183, v104, v113
	v_dual_add_f32 v215, v105, v114 :: v_dual_add_f32 v200, v106, v115
	v_dual_add_f32 v229, v107, v116 :: v_dual_add_f32 v230, v108, v117
	v_add_f32_e32 v228, v109, v118
	v_add_f32_e32 v44, v110, v119
	;; [unrolled: 1-line block ×3, first 2 shown]
	ds_load_u16 v104, v223 offset:17504
	ds_load_u16 v105, v223 offset:17508
	ds_load_u16 v106, v223 offset:17512
	ds_load_u16 v107, v223 offset:17516
	ds_load_u16 v108, v223 offset:17520
	ds_load_u16 v109, v223 offset:17524
	ds_load_u16 v110, v223 offset:17528
	ds_load_u16 v111, v223 offset:17532
	v_mov_b32_e32 v247, v60
	s_waitcnt lgkmcnt(7)
	v_cvt_f32_f16_e32 v104, v104
	s_waitcnt lgkmcnt(6)
	v_cvt_f32_f16_e32 v105, v105
	;; [unrolled: 2-line block ×5, first 2 shown]
	v_dual_add_f32 v54, v155, v104 :: v_dual_add_f32 v55, v156, v105
	v_lshlrev_b64 v[104:105], 2, v[126:127]
	v_dual_add_f32 v53, v157, v106 :: v_dual_add_f32 v52, v158, v107
	s_waitcnt lgkmcnt(2)
	v_cvt_f32_f16_e32 v109, v109
	v_add_f32_e32 v50, v159, v108
	s_waitcnt lgkmcnt(1)
	v_cvt_f32_f16_e32 v110, v110
	v_add_co_u32 v106, vcc_lo, s0, v104
	v_add_co_ci_u32_e32 v107, vcc_lo, s1, v105, vcc_lo
	v_lshlrev_b64 v[104:105], 2, v[124:125]
	s_delay_alu instid0(VALU_DEP_4)
	v_dual_add_f32 v49, v160, v109 :: v_dual_add_f32 v48, v161, v110
	s_waitcnt lgkmcnt(0)
	v_cvt_f32_f16_e32 v111, v111
	s_clause 0x1
	scratch_store_b32 off, v54, off offset:20
	scratch_store_b32 off, v55, off offset:24
	v_add_co_u32 v108, vcc_lo, s0, v104
	v_add_co_ci_u32_e32 v109, vcc_lo, s1, v105, vcc_lo
	v_add_co_u32 v104, vcc_lo, v106, v242
	v_add_co_ci_u32_e32 v105, vcc_lo, 0, v107, vcc_lo
	s_delay_alu instid0(VALU_DEP_4) | instskip(NEXT) | instid1(VALU_DEP_4)
	v_add_co_u32 v108, vcc_lo, v108, v242
	v_add_co_ci_u32_e32 v109, vcc_lo, 0, v109, vcc_lo
	s_clause 0x4
	scratch_store_b32 off, v53, off offset:16
	scratch_store_b32 off, v52, off offset:12
	;; [unrolled: 1-line block ×4, first 2 shown]
	scratch_store_b32 off, v48, off
	v_add_f32_e32 v51, v162, v111
	s_clause 0x1
	global_load_b128 v[104:107], v[104:105], off
	global_load_b128 v[108:111], v[108:109], off
	s_waitcnt vmcnt(1)
	ds_store_b128 v34, v[104:107]
	s_waitcnt vmcnt(0)
	ds_store_b128 v40, v[108:111]
	v_lshlrev_b64 v[104:105], 2, v[226:227]
	v_dual_mov_b32 v195, v112 :: v_dual_mov_b32 v34, v205
	s_delay_alu instid0(VALU_DEP_2) | instskip(NEXT) | instid1(VALU_DEP_3)
	v_add_co_u32 v106, vcc_lo, s0, v104
	v_add_co_ci_u32_e32 v107, vcc_lo, s1, v105, vcc_lo
	v_lshlrev_b64 v[104:105], 2, v[206:207]
	s_delay_alu instid0(VALU_DEP_1) | instskip(NEXT) | instid1(VALU_DEP_2)
	v_add_co_u32 v108, vcc_lo, s0, v104
	v_add_co_ci_u32_e32 v109, vcc_lo, s1, v105, vcc_lo
	v_add_co_u32 v104, vcc_lo, v106, v242
	v_add_co_ci_u32_e32 v105, vcc_lo, 0, v107, vcc_lo
	s_delay_alu instid0(VALU_DEP_4) | instskip(NEXT) | instid1(VALU_DEP_4)
	v_add_co_u32 v108, vcc_lo, v108, v242
	v_add_co_ci_u32_e32 v109, vcc_lo, 0, v109, vcc_lo
	s_clause 0x1
	global_load_b128 v[104:107], v[104:105], off
	global_load_b128 v[108:111], v[108:109], off
	s_waitcnt vmcnt(1)
	ds_store_b128 v41, v[104:107]
	s_waitcnt vmcnt(0)
	ds_store_b128 v45, v[108:111]
	v_lshlrev_b64 v[104:105], 2, v[212:213]
	v_mov_b32_e32 v41, v39
	v_dual_mov_b32 v39, v129 :: v_dual_mov_b32 v40, v130
	v_dual_mov_b32 v130, v125 :: v_dual_mov_b32 v129, v124
	s_delay_alu instid0(VALU_DEP_4) | instskip(SKIP_4) | instid1(VALU_DEP_3)
	v_add_co_u32 v106, vcc_lo, s0, v104
	v_add_co_ci_u32_e32 v107, vcc_lo, s1, v105, vcc_lo
	v_lshlrev_b64 v[104:105], 2, v[208:209]
	v_add_nc_u32_e32 v124, 0x1000, v225
	v_add_nc_u32_e32 v208, 0x1c00, v225
	v_add_co_u32 v108, vcc_lo, s0, v104
	s_delay_alu instid0(VALU_DEP_4) | instskip(SKIP_2) | instid1(VALU_DEP_4)
	v_add_co_ci_u32_e32 v109, vcc_lo, s1, v105, vcc_lo
	v_add_co_u32 v104, vcc_lo, v106, v242
	v_add_co_ci_u32_e32 v105, vcc_lo, 0, v107, vcc_lo
	v_add_co_u32 v108, vcc_lo, v108, v242
	s_delay_alu instid0(VALU_DEP_4)
	v_add_co_ci_u32_e32 v109, vcc_lo, 0, v109, vcc_lo
	s_clause 0x1
	global_load_b128 v[104:107], v[104:105], off
	global_load_b128 v[108:111], v[108:109], off
	s_waitcnt vmcnt(1)
	ds_store_b128 v46, v[104:107]
	s_waitcnt vmcnt(0)
	ds_store_b128 v47, v[108:111]
	v_lshlrev_b64 v[104:105], 2, v[210:211]
	v_dual_mov_b32 v47, v38 :: v_dual_mov_b32 v46, v37
	v_dual_mov_b32 v37, v206 :: v_dual_mov_b32 v38, v207
	s_delay_alu instid0(VALU_DEP_3) | instskip(NEXT) | instid1(VALU_DEP_4)
	v_add_co_u32 v106, vcc_lo, s0, v104
	v_add_co_ci_u32_e32 v107, vcc_lo, s1, v105, vcc_lo
	v_lshlrev_b64 v[104:105], 2, v[253:254]
	s_delay_alu instid0(VALU_DEP_1) | instskip(NEXT) | instid1(VALU_DEP_2)
	v_add_co_u32 v108, vcc_lo, s0, v104
	v_add_co_ci_u32_e32 v109, vcc_lo, s1, v105, vcc_lo
	v_add_co_u32 v104, vcc_lo, v106, v242
	v_add_co_ci_u32_e32 v105, vcc_lo, 0, v107, vcc_lo
	s_delay_alu instid0(VALU_DEP_4) | instskip(NEXT) | instid1(VALU_DEP_4)
	v_add_co_u32 v108, vcc_lo, v108, v242
	v_add_co_ci_u32_e32 v109, vcc_lo, 0, v109, vcc_lo
	s_clause 0x1
	global_load_b128 v[104:107], v[104:105], off
	global_load_b128 v[108:111], v[108:109], off
	s_waitcnt vmcnt(1)
	ds_store_b128 v88, v[104:107]
	s_waitcnt vmcnt(0)
	ds_store_b128 v89, v[108:111]
	v_dual_mov_b32 v104, v192 :: v_dual_add_f32 v105, 0x40051340, v96
	v_dual_add_f32 v106, 0x40051340, v97 :: v_dual_add_f32 v107, 0x40051340, v99
	v_cmp_eq_u32_e64 s1, 1, v191
	s_waitcnt lgkmcnt(0)
	s_waitcnt_vscnt null, 0x0
	s_barrier
	v_max3_f32 v105, v104, v105, v106
	v_add_f32_e32 v106, 0x40051340, v98
	buffer_gl0_inv
	ds_load_2addr_b32 v[165:166], v225 offset1:16
	ds_load_2addr_b32 v[167:168], v225 offset0:68 offset1:84
	ds_load_2addr_b32 v[169:170], v225 offset0:136 offset1:152
	;; [unrolled: 1-line block ×3, first 2 shown]
	v_mov_b32_e32 v89, v87
	v_mov_b32_e32 v246, v59
	v_max3_f32 v105, v105, v106, v107
	v_dual_add_f32 v106, 0x40051340, v100 :: v_dual_add_f32 v107, 0x40051340, v101
	v_dual_mov_b32 v88, v86 :: v_dual_mov_b32 v87, v85
	v_mov_b32_e32 v86, v84
	v_mov_b32_e32 v85, v83
	s_delay_alu instid0(VALU_DEP_4) | instskip(SKIP_4) | instid1(VALU_DEP_4)
	v_max3_f32 v105, v105, v106, v107
	v_dual_add_f32 v106, 0x40051340, v102 :: v_dual_add_f32 v107, 0x40051340, v103
	v_mov_b32_e32 v84, v82
	v_mov_b32_e32 v83, v81
	v_dual_mov_b32 v82, v80 :: v_dual_mov_b32 v81, v79
	v_max3_f32 v105, v105, v106, v107
	v_dual_add_f32 v106, 0x40051340, v184 :: v_dual_add_f32 v107, 0x40051340, v197
	s_waitcnt lgkmcnt(2)
	v_perm_b32 v113, v167, v165, 0x5040100
	s_waitcnt lgkmcnt(0)
	v_perm_b32 v114, v171, v169, 0x5040100
	v_dual_mov_b32 v80, v78 :: v_dual_mov_b32 v79, v77
	v_max3_f32 v105, v105, v106, v107
	v_dual_add_f32 v106, 0x40051340, v185 :: v_dual_add_f32 v107, 0x40051340, v187
	v_mov_b32_e32 v78, v76
	v_mov_b32_e32 v77, v75
	;; [unrolled: 1-line block ×4, first 2 shown]
	v_max3_f32 v105, v105, v106, v107
	v_dual_add_f32 v106, 0x40051340, v204 :: v_dual_add_f32 v107, 0x40051340, v201
	v_dual_mov_b32 v74, v72 :: v_dual_mov_b32 v73, v71
	v_dual_mov_b32 v72, v70 :: v_dual_mov_b32 v71, v69
	s_delay_alu instid0(VALU_DEP_3)
	v_max3_f32 v105, v105, v106, v107
	v_add_f32_e32 v106, 0x40051340, v190
	v_dual_add_f32 v107, 0x40051340, v186 :: v_dual_mov_b32 v70, v68
	v_mov_b32_e32 v69, v67
	v_mov_b32_e32 v68, v66
	;; [unrolled: 1-line block ×3, first 2 shown]
	s_delay_alu instid0(VALU_DEP_4) | instskip(SKIP_4) | instid1(VALU_DEP_3)
	v_max3_f32 v105, v105, v106, v107
	v_add_f32_e32 v106, 0x40051340, v183
	v_dual_add_f32 v107, 0x40051340, v215 :: v_dual_mov_b32 v66, v64
	v_dual_mov_b32 v58, v137 :: v_dual_mov_b32 v65, v144
	v_dual_mov_b32 v62, v141 :: v_dual_mov_b32 v57, v43
	v_max3_f32 v105, v105, v106, v107
	v_dual_add_f32 v106, 0x40051340, v200 :: v_dual_add_f32 v107, 0x40051340, v229
	v_dual_mov_b32 v59, v138 :: v_dual_mov_b32 v60, v139
	v_mov_b32_e32 v61, v140
	v_mov_b32_e32 v63, v142
	s_delay_alu instid0(VALU_DEP_4) | instskip(SKIP_3) | instid1(VALU_DEP_3)
	v_max3_f32 v105, v105, v106, v107
	v_dual_add_f32 v106, 0x40051340, v230 :: v_dual_add_f32 v107, 0x40051340, v228
	v_mov_b32_e32 v64, v143
	v_mov_b32_e32 v56, v42
	v_max3_f32 v105, v105, v106, v107
	v_add_f32_e32 v106, 0x40051340, v44
	v_add_f32_e32 v107, 0x40051340, v112
	s_delay_alu instid0(VALU_DEP_1) | instskip(SKIP_2) | instid1(VALU_DEP_2)
	v_max3_f32 v105, v105, v106, v107
	v_dual_add_f32 v106, 0x40051340, v54 :: v_dual_add_f32 v107, 0x40051340, v55
	v_dual_mov_b32 v54, v135 :: v_dual_mov_b32 v55, v136
	v_max3_f32 v105, v105, v106, v107
	v_dual_add_f32 v106, 0x40051340, v53 :: v_dual_add_f32 v107, 0x40051340, v52
	v_dual_mov_b32 v52, v131 :: v_dual_mov_b32 v53, v132
	s_delay_alu instid0(VALU_DEP_2) | instskip(SKIP_1) | instid1(VALU_DEP_1)
	v_max3_f32 v105, v105, v106, v107
	v_dual_add_f32 v106, 0x40051340, v50 :: v_dual_add_f32 v107, 0x40051340, v49
	v_max3_f32 v105, v105, v106, v107
	v_dual_add_f32 v106, 0x40051340, v48 :: v_dual_add_f32 v107, 0x40051340, v51
	s_delay_alu instid0(VALU_DEP_1) | instskip(SKIP_3) | instid1(VALU_DEP_1)
	v_max3_f32 v105, v105, v106, v107
	ds_bpermute_b32 v106, v224, v105
	s_waitcnt lgkmcnt(0)
	v_max_f32_e32 v106, v106, v106
	v_max_f32_e32 v192, v105, v106
	s_delay_alu instid0(VALU_DEP_1) | instskip(NEXT) | instid1(VALU_DEP_1)
	v_sub_f32_e32 v97, v97, v192
	v_dual_sub_f32 v96, v96, v192 :: v_dual_mul_f32 v105, 0x3fb8aa3b, v97
	v_cmp_ngt_f32_e32 vcc_lo, 0xc2ce8ed0, v97
	s_delay_alu instid0(VALU_DEP_2) | instskip(NEXT) | instid1(VALU_DEP_3)
	v_cmp_ngt_f32_e64 s0, 0xc2ce8ed0, v96
	v_fma_f32 v106, 0x3fb8aa3b, v97, -v105
	v_rndne_f32_e32 v107, v105
	s_delay_alu instid0(VALU_DEP_1) | instskip(SKIP_1) | instid1(VALU_DEP_2)
	v_dual_fmac_f32 v106, 0x32a5705f, v97 :: v_dual_sub_f32 v105, v105, v107
	v_cvt_i32_f32_e32 v107, v107
	v_dual_add_f32 v105, v105, v106 :: v_dual_mul_f32 v106, 0x3fb8aa3b, v96
	s_delay_alu instid0(VALU_DEP_1) | instskip(NEXT) | instid1(VALU_DEP_1)
	v_exp_f32_e32 v105, v105
	v_fma_f32 v108, 0x3fb8aa3b, v96, -v106
	v_rndne_f32_e32 v109, v106
	s_delay_alu instid0(VALU_DEP_2) | instskip(NEXT) | instid1(VALU_DEP_2)
	v_fmac_f32_e32 v108, 0x32a5705f, v96
	v_sub_f32_e32 v106, v106, v109
	s_waitcnt_depctr 0xfff
	v_ldexp_f32 v105, v105, v107
	v_cvt_i32_f32_e32 v107, v109
	s_delay_alu instid0(VALU_DEP_2) | instskip(SKIP_1) | instid1(VALU_DEP_2)
	v_dual_add_f32 v106, v106, v108 :: v_dual_cndmask_b32 v105, 0, v105
	v_cmp_nlt_f32_e32 vcc_lo, 0x42b17218, v97
	v_exp_f32_e32 v106, v106
	s_delay_alu instid0(VALU_DEP_2) | instskip(SKIP_3) | instid1(VALU_DEP_1)
	v_cndmask_b32_e32 v252, 0x7f800000, v105, vcc_lo
	v_cmp_eq_u32_e32 vcc_lo, 1, v205
	ds_bpermute_b32 v105, v224, v252
	v_ldexp_f32 v106, v106, v107
	v_cndmask_b32_e64 v97, 0, v106, s0
	v_cmp_nlt_f32_e64 s0, 0x42b17218, v96
	s_delay_alu instid0(VALU_DEP_1)
	v_cndmask_b32_e64 v251, 0x7f800000, v97, s0
	v_cmp_eq_u32_e64 s0, 0, v205
	ds_bpermute_b32 v96, v224, v251
	s_waitcnt lgkmcnt(0)
	v_cndmask_b32_e32 v97, v251, v96, vcc_lo
	v_cndmask_b32_e64 v96, v251, v96, s0
	v_sub_f32_e32 v98, v98, v192
	v_sub_f32_e32 v100, v100, v192
	;; [unrolled: 1-line block ×3, first 2 shown]
	v_cndmask_b32_e64 v107, v97, v252, s1
	v_cndmask_b32_e64 v106, v96, v252, s2
	v_cvt_f16_f32_e32 v96, v96
	v_cvt_f16_f32_e32 v97, v97
	v_cmp_ngt_f32_e64 s3, 0xc2ce8ed0, v98
	v_sub_f32_e32 v101, v101, v192
	v_cndmask_b32_e64 v106, v106, v105, s0
	v_cndmask_b32_e32 v105, v107, v105, vcc_lo
	v_pack_b32_f16 v96, v96, v97
	v_mov_b32_e32 v112, v191
	v_sub_f32_e32 v102, v102, v192
	v_cvt_f16_f32_e32 v107, v106
	v_cvt_f16_f32_e32 v108, v105
	v_sub_f32_e32 v103, v103, v192
	v_sub_f32_e32 v104, v104, v192
	s_delay_alu instid0(VALU_DEP_3) | instskip(SKIP_1) | instid1(VALU_DEP_1)
	v_pack_b32_f16 v97, v107, v108
	v_mul_f32_e32 v107, 0x3fb8aa3b, v98
	v_fma_f32 v108, 0x3fb8aa3b, v98, -v107
	v_rndne_f32_e32 v109, v107
	s_delay_alu instid0(VALU_DEP_1) | instskip(NEXT) | instid1(VALU_DEP_1)
	v_dual_fmac_f32 v108, 0x32a5705f, v98 :: v_dual_sub_f32 v107, v107, v109
	v_add_f32_e32 v107, v107, v108
	v_cvt_i32_f32_e32 v108, v109
	s_delay_alu instid0(VALU_DEP_2) | instskip(SKIP_2) | instid1(VALU_DEP_1)
	v_exp_f32_e32 v107, v107
	s_waitcnt_depctr 0xfff
	v_ldexp_f32 v107, v107, v108
	v_cndmask_b32_e64 v107, 0, v107, s3
	v_cmp_nlt_f32_e64 s3, 0x42b17218, v98
	s_delay_alu instid0(VALU_DEP_1) | instskip(SKIP_1) | instid1(VALU_DEP_2)
	v_cndmask_b32_e64 v189, 0x7f800000, v107, s3
	v_cmp_ngt_f32_e64 s3, 0xc2ce8ed0, v99
	v_cndmask_b32_e64 v98, v105, v189, s1
	v_cndmask_b32_e64 v105, v106, v189, s2
	ds_bpermute_b32 v106, v224, v189
	s_waitcnt lgkmcnt(0)
	v_cndmask_b32_e64 v105, v105, v106, s0
	v_cndmask_b32_e32 v106, v98, v106, vcc_lo
	s_delay_alu instid0(VALU_DEP_2) | instskip(NEXT) | instid1(VALU_DEP_2)
	v_cvt_f16_f32_e32 v98, v105
	v_cvt_f16_f32_e32 v107, v106
	s_delay_alu instid0(VALU_DEP_1) | instskip(SKIP_1) | instid1(VALU_DEP_1)
	v_pack_b32_f16 v98, v98, v107
	v_mul_f32_e32 v107, 0x3fb8aa3b, v99
	v_fma_f32 v108, 0x3fb8aa3b, v99, -v107
	v_rndne_f32_e32 v109, v107
	s_delay_alu instid0(VALU_DEP_1) | instskip(NEXT) | instid1(VALU_DEP_1)
	v_dual_fmac_f32 v108, 0x32a5705f, v99 :: v_dual_sub_f32 v107, v107, v109
	v_add_f32_e32 v107, v107, v108
	v_cvt_i32_f32_e32 v108, v109
	s_delay_alu instid0(VALU_DEP_2) | instskip(SKIP_2) | instid1(VALU_DEP_1)
	v_exp_f32_e32 v107, v107
	s_waitcnt_depctr 0xfff
	v_ldexp_f32 v107, v107, v108
	v_cndmask_b32_e64 v107, 0, v107, s3
	v_cmp_nlt_f32_e64 s3, 0x42b17218, v99
	s_delay_alu instid0(VALU_DEP_1) | instskip(SKIP_1) | instid1(VALU_DEP_2)
	v_cndmask_b32_e64 v191, 0x7f800000, v107, s3
	v_cmp_ngt_f32_e64 s3, 0xc2ce8ed0, v100
	v_cndmask_b32_e64 v99, v106, v191, s1
	ds_bpermute_b32 v106, v224, v191
	v_cndmask_b32_e64 v105, v105, v191, s2
	s_waitcnt lgkmcnt(0)
	s_delay_alu instid0(VALU_DEP_1) | instskip(SKIP_1) | instid1(VALU_DEP_2)
	v_cndmask_b32_e64 v105, v105, v106, s0
	v_cndmask_b32_e32 v106, v99, v106, vcc_lo
	v_cvt_f16_f32_e32 v99, v105
	s_delay_alu instid0(VALU_DEP_2) | instskip(NEXT) | instid1(VALU_DEP_1)
	v_cvt_f16_f32_e32 v107, v106
	v_pack_b32_f16 v99, v99, v107
	v_mul_f32_e32 v107, 0x3fb8aa3b, v100
	s_delay_alu instid0(VALU_DEP_1) | instskip(SKIP_1) | instid1(VALU_DEP_1)
	v_fma_f32 v108, 0x3fb8aa3b, v100, -v107
	v_rndne_f32_e32 v109, v107
	v_dual_fmac_f32 v108, 0x32a5705f, v100 :: v_dual_sub_f32 v107, v107, v109
	s_delay_alu instid0(VALU_DEP_1) | instskip(SKIP_1) | instid1(VALU_DEP_2)
	v_add_f32_e32 v107, v107, v108
	v_cvt_i32_f32_e32 v108, v109
	v_exp_f32_e32 v107, v107
	s_waitcnt_depctr 0xfff
	v_ldexp_f32 v107, v107, v108
	s_delay_alu instid0(VALU_DEP_1) | instskip(SKIP_1) | instid1(VALU_DEP_1)
	v_cndmask_b32_e64 v107, 0, v107, s3
	v_cmp_nlt_f32_e64 s3, 0x42b17218, v100
	v_cndmask_b32_e64 v199, 0x7f800000, v107, s3
	v_cmp_ngt_f32_e64 s3, 0xc2ce8ed0, v101
	s_delay_alu instid0(VALU_DEP_2) | instskip(SKIP_3) | instid1(VALU_DEP_1)
	v_cndmask_b32_e64 v100, v106, v199, s1
	ds_bpermute_b32 v106, v224, v199
	v_cndmask_b32_e64 v105, v105, v199, s2
	s_waitcnt lgkmcnt(0)
	v_cndmask_b32_e64 v105, v105, v106, s0
	v_cndmask_b32_e32 v106, v100, v106, vcc_lo
	s_delay_alu instid0(VALU_DEP_2) | instskip(NEXT) | instid1(VALU_DEP_2)
	v_cvt_f16_f32_e32 v100, v105
	v_cvt_f16_f32_e32 v107, v106
	s_delay_alu instid0(VALU_DEP_1) | instskip(SKIP_1) | instid1(VALU_DEP_1)
	v_pack_b32_f16 v100, v100, v107
	v_mul_f32_e32 v107, 0x3fb8aa3b, v101
	v_fma_f32 v108, 0x3fb8aa3b, v101, -v107
	v_rndne_f32_e32 v109, v107
	s_delay_alu instid0(VALU_DEP_2) | instskip(NEXT) | instid1(VALU_DEP_2)
	v_fmac_f32_e32 v108, 0x32a5705f, v101
	v_sub_f32_e32 v107, v107, v109
	s_delay_alu instid0(VALU_DEP_1) | instskip(SKIP_1) | instid1(VALU_DEP_2)
	v_add_f32_e32 v107, v107, v108
	v_cvt_i32_f32_e32 v108, v109
	v_exp_f32_e32 v107, v107
	s_waitcnt_depctr 0xfff
	v_ldexp_f32 v107, v107, v108
	s_delay_alu instid0(VALU_DEP_1) | instskip(SKIP_1) | instid1(VALU_DEP_1)
	v_cndmask_b32_e64 v107, 0, v107, s3
	v_cmp_nlt_f32_e64 s3, 0x42b17218, v101
	v_cndmask_b32_e64 v203, 0x7f800000, v107, s3
	v_cmp_ngt_f32_e64 s3, 0xc2ce8ed0, v102
	s_delay_alu instid0(VALU_DEP_2) | instskip(SKIP_3) | instid1(VALU_DEP_1)
	v_cndmask_b32_e64 v101, v106, v203, s1
	ds_bpermute_b32 v106, v224, v203
	v_cndmask_b32_e64 v105, v105, v203, s2
	s_waitcnt lgkmcnt(0)
	v_cndmask_b32_e64 v105, v105, v106, s0
	v_cndmask_b32_e32 v106, v101, v106, vcc_lo
	s_delay_alu instid0(VALU_DEP_2) | instskip(NEXT) | instid1(VALU_DEP_2)
	v_cvt_f16_f32_e32 v101, v105
	v_cvt_f16_f32_e32 v107, v106
	s_delay_alu instid0(VALU_DEP_1) | instskip(SKIP_1) | instid1(VALU_DEP_1)
	v_pack_b32_f16 v101, v101, v107
	v_mul_f32_e32 v107, 0x3fb8aa3b, v102
	v_fma_f32 v108, 0x3fb8aa3b, v102, -v107
	v_rndne_f32_e32 v109, v107
	s_delay_alu instid0(VALU_DEP_1) | instskip(NEXT) | instid1(VALU_DEP_1)
	v_dual_fmac_f32 v108, 0x32a5705f, v102 :: v_dual_sub_f32 v107, v107, v109
	v_add_f32_e32 v107, v107, v108
	v_cvt_i32_f32_e32 v108, v109
	s_delay_alu instid0(VALU_DEP_2) | instskip(SKIP_2) | instid1(VALU_DEP_1)
	v_exp_f32_e32 v107, v107
	s_waitcnt_depctr 0xfff
	v_ldexp_f32 v107, v107, v108
	v_cndmask_b32_e64 v107, 0, v107, s3
	v_cmp_nlt_f32_e64 s3, 0x42b17218, v102
	s_delay_alu instid0(VALU_DEP_1) | instskip(SKIP_1) | instid1(VALU_DEP_2)
	v_cndmask_b32_e64 v205, 0x7f800000, v107, s3
	v_cmp_ngt_f32_e64 s3, 0xc2ce8ed0, v103
	v_cndmask_b32_e64 v102, v105, v205, s2
	v_cndmask_b32_e64 v105, v106, v205, s1
	ds_bpermute_b32 v106, v224, v205
	s_waitcnt lgkmcnt(0)
	v_cndmask_b32_e64 v107, v102, v106, s0
	v_cndmask_b32_e32 v105, v105, v106, vcc_lo
	s_delay_alu instid0(VALU_DEP_2) | instskip(NEXT) | instid1(VALU_DEP_2)
	v_cvt_f16_f32_e32 v102, v107
	v_cvt_f16_f32_e32 v106, v105
	s_delay_alu instid0(VALU_DEP_1) | instskip(SKIP_1) | instid1(VALU_DEP_1)
	v_pack_b32_f16 v102, v102, v106
	v_mul_f32_e32 v106, 0x3fb8aa3b, v103
	v_fma_f32 v108, 0x3fb8aa3b, v103, -v106
	v_rndne_f32_e32 v109, v106
	s_delay_alu instid0(VALU_DEP_2) | instskip(NEXT) | instid1(VALU_DEP_2)
	v_fmac_f32_e32 v108, 0x32a5705f, v103
	v_sub_f32_e32 v106, v106, v109
	s_delay_alu instid0(VALU_DEP_1) | instskip(SKIP_1) | instid1(VALU_DEP_2)
	v_add_f32_e32 v106, v106, v108
	v_cvt_i32_f32_e32 v108, v109
	v_exp_f32_e32 v106, v106
	s_waitcnt_depctr 0xfff
	v_ldexp_f32 v106, v106, v108
	s_delay_alu instid0(VALU_DEP_1) | instskip(SKIP_1) | instid1(VALU_DEP_1)
	v_cndmask_b32_e64 v106, 0, v106, s3
	v_cmp_nlt_f32_e64 s3, 0x42b17218, v103
	v_cndmask_b32_e64 v206, 0x7f800000, v106, s3
	v_cmp_ngt_f32_e64 s3, 0xc2ce8ed0, v104
	ds_bpermute_b32 v106, v224, v206
	v_cndmask_b32_e64 v103, v107, v206, s2
	v_cndmask_b32_e64 v105, v105, v206, s1
	s_waitcnt lgkmcnt(0)
	s_delay_alu instid0(VALU_DEP_2) | instskip(NEXT) | instid1(VALU_DEP_2)
	v_cndmask_b32_e64 v103, v103, v106, s0
	v_cndmask_b32_e32 v105, v105, v106, vcc_lo
	s_delay_alu instid0(VALU_DEP_2) | instskip(NEXT) | instid1(VALU_DEP_2)
	v_cvt_f16_f32_e32 v103, v103
	v_cvt_f16_f32_e32 v105, v105
	s_delay_alu instid0(VALU_DEP_1) | instskip(SKIP_1) | instid1(VALU_DEP_1)
	v_pack_b32_f16 v103, v103, v105
	v_mul_f32_e32 v105, 0x3fb8aa3b, v104
	v_fma_f32 v106, 0x3fb8aa3b, v104, -v105
	v_rndne_f32_e32 v107, v105
	s_delay_alu instid0(VALU_DEP_1) | instskip(NEXT) | instid1(VALU_DEP_1)
	v_dual_fmac_f32 v106, 0x32a5705f, v104 :: v_dual_sub_f32 v105, v105, v107
	v_add_f32_e32 v105, v105, v106
	v_cvt_i32_f32_e32 v106, v107
	v_add_nc_u32_e32 v107, 0x400, v225
	s_delay_alu instid0(VALU_DEP_3)
	v_exp_f32_e32 v105, v105
	ds_load_2addr_b32 v[179:180], v107 offset0:16 offset1:84
	ds_load_2addr_b32 v[155:156], v107 offset0:132 offset1:152
	ds_load_2addr_b32 v[157:158], v107 offset0:200 offset1:220
	ds_load_2addr_b32 v[159:160], v202 offset0:12 offset1:32
	ds_load_2addr_b32 v[173:174], v202 offset0:100 offset1:116
	ds_load_2addr_b32 v[175:176], v202 offset0:168 offset1:184
	ds_load_2addr_b32 v[177:178], v202 offset0:236 offset1:252
	ds_load_2addr_b32 v[181:182], v193 offset0:48 offset1:116
	ds_load_2addr_b32 v[161:162], v193 offset0:164 offset1:184
	ds_load_2addr_b32 v[163:164], v193 offset0:232 offset1:252
	s_clause 0x1
	scratch_load_b32 v45, off, off offset:232
	scratch_load_b32 v48, off, off offset:240
	v_ldexp_f32 v105, v105, v106
	s_delay_alu instid0(VALU_DEP_1) | instskip(SKIP_1) | instid1(VALU_DEP_1)
	v_cndmask_b32_e64 v105, 0, v105, s3
	v_cmp_nlt_f32_e64 s3, 0x42b17218, v104
	v_cndmask_b32_e64 v105, 0x7f800000, v105, s3
	v_cmp_le_f32_e64 s3, 0xc1a00000, v104
	s_waitcnt lgkmcnt(9)
	v_perm_b32 v115, v180, v179, 0x5040100
	s_waitcnt lgkmcnt(7)
	v_perm_b32 v116, v158, v156, 0x5040100
	;; [unrolled: 2-line block ×4, first 2 shown]
	v_cndmask_b32_e64 v207, 0, v105, s3
	s_waitcnt lgkmcnt(2)
	v_perm_b32 v119, v182, v181, 0x5040100
	s_waitcnt lgkmcnt(0)
	v_perm_b32 v120, v164, v162, 0x5040100
	v_perm_b32 v104, v168, v166, 0x5040100
	;; [unrolled: 1-line block ×3, first 2 shown]
	v_cvt_f16_f32_e64 v198, v207
	v_perm_b32 v109, v178, v176, 0x5040100
	s_delay_alu instid0(VALU_DEP_2)
	v_pk_mul_f16 v24, v198, v24 op_sel_hi:[0,1]
	v_pk_mul_f16 v25, v198, v25 op_sel_hi:[0,1]
	;; [unrolled: 1-line block ×12, first 2 shown]
	v_wmma_f16_16x16x16_f16 v[24:31], v[113:120], v[96:103], v[24:31]
	v_pk_mul_f16 v20, v198, v20 op_sel_hi:[0,1]
	v_pk_mul_f16 v21, v198, v21 op_sel_hi:[0,1]
	;; [unrolled: 1-line block ×20, first 2 shown]
	s_waitcnt vmcnt(1)
	ds_load_b32 v194, v45 offset:2176
	ds_load_b32 v212, v45 offset:3264
	s_waitcnt vmcnt(0)
	ds_load_b32 v125, v48 offset:1088
	ds_load_b32 v126, v48 offset:2176
	;; [unrolled: 1-line block ×4, first 2 shown]
	scratch_load_b32 v45, off, off offset:224 ; 4-byte Folded Reload
	s_waitcnt vmcnt(0)
	ds_load_b32 v115, v45 offset:3264
	ds_load_2addr_b32 v[127:128], v107 offset0:100 offset1:116
	ds_load_2addr_b32 v[147:148], v107 offset0:168 offset1:184
	;; [unrolled: 1-line block ×10, first 2 shown]
	scratch_load_b32 v49, off, off offset:264 ; 4-byte Folded Reload
	s_waitcnt lgkmcnt(16)
	v_perm_b32 v108, v174, v194, 0x5040100
	s_waitcnt lgkmcnt(9)
	v_perm_b32 v106, v127, v114, 0x5040100
	;; [unrolled: 2-line block ×7, first 2 shown]
	v_perm_b32 v119, v217, v148, 0x5040100
	v_perm_b32 v123, v154, v152, 0x5040100
	v_wmma_f16_16x16x16_f16 v[16:23], v[104:111], v[96:103], v[16:23]
	s_waitcnt vmcnt(0)
	ds_load_b32 v107, v49 offset:1088
	ds_load_b32 v111, v49 offset:2176
	scratch_load_b32 v48, off, off offset:256 ; 4-byte Folded Reload
	ds_load_2addr_b32 v[135:136], v193 offset0:12 offset1:28
	ds_load_b32 v193, v49 offset:3264
	scratch_load_b32 v49, off, off offset:272 ; 4-byte Folded Reload
	ds_load_2addr_b32 v[131:132], v202 offset0:132 offset1:148
	ds_load_2addr_b32 v[133:134], v202 offset0:200 offset1:216
	s_waitcnt lgkmcnt(5)
	v_perm_b32 v118, v128, v107, 0x5040100
	s_waitcnt lgkmcnt(2)
	v_perm_b32 v122, v150, v193, 0x5040100
	;; [unrolled: 2-line block ×4, first 2 shown]
	s_delay_alu instid0(VALU_DEP_1)
	v_wmma_f16_16x16x16_f16 v[8:15], v[116:123], v[96:103], v[8:15]
	v_perm_b32 v116, v214, v219, 0x5040100
	v_perm_b32 v117, v146, v221, 0x5040100
	;; [unrolled: 1-line block ×4, first 2 shown]
	s_waitcnt vmcnt(1)
	ds_load_b32 v104, v48 offset:3264
	s_waitcnt vmcnt(0)
	ds_load_b32 v202, v49 offset:1088
	ds_load_b32 v222, v49 offset:2176
	;; [unrolled: 1-line block ×3, first 2 shown]
	scratch_load_b32 v49, off, off offset:280 ; 4-byte Folded Reload
	s_waitcnt vmcnt(0)
	ds_load_b32 v108, v49 offset:1088
	ds_load_b32 v109, v49 offset:2176
	;; [unrolled: 1-line block ×3, first 2 shown]
	s_clause 0x1
	scratch_load_b32 v49, off, off offset:284
	scratch_load_b32 v50, off, off offset:316
	s_waitcnt vmcnt(1)
	ds_load_b32 v105, v49 offset:1088
	s_waitcnt vmcnt(0)
	ds_load_b32 v198, v50 offset:1088
	ds_load_b32 v139, v50 offset:2176
	;; [unrolled: 1-line block ×3, first 2 shown]
	scratch_load_b32 v42, off, off offset:348 ; 4-byte Folded Reload
	s_waitcnt vmcnt(0)
	ds_load_b32 v141, v42 offset:1088
	ds_load_b32 v142, v42 offset:2176
	;; [unrolled: 1-line block ×4, first 2 shown]
	ds_load_2addr_b32 v[137:138], v124 offset0:44 offset1:64
	s_waitcnt lgkmcnt(7)
	v_perm_b32 v118, v155, v198, 0x5040100
	s_waitcnt lgkmcnt(6)
	v_perm_b32 v120, v132, v139, 0x5040100
	;; [unrolled: 2-line block ×4, first 2 shown]
	s_delay_alu instid0(VALU_DEP_1)
	v_wmma_f16_16x16x16_f16 v[0:7], v[116:123], v[96:103], v[0:7]
	v_perm_b32 v118, v180, v179, 0x7060302
	v_perm_b32 v122, v182, v181, 0x7060302
	;; [unrolled: 1-line block ×8, first 2 shown]
	s_delay_alu instid0(VALU_DEP_1)
	v_wmma_f16_16x16x16_f16 v[24:31], v[116:123], v[96:103], v[24:31] op_sel:[0,0,1]
	v_perm_b32 v116, v168, v166, 0x7060302
	v_perm_b32 v117, v172, v170, 0x7060302
	;; [unrolled: 1-line block ×8, first 2 shown]
	s_delay_alu instid0(VALU_DEP_1)
	v_wmma_f16_16x16x16_f16 v[16:23], v[116:123], v[96:103], v[16:23] op_sel:[0,0,1]
	v_perm_b32 v119, v217, v148, 0x7060302
	v_perm_b32 v123, v154, v152, 0x7060302
	;; [unrolled: 1-line block ×8, first 2 shown]
	v_add_nc_u32_e32 v218, 0x2000, v225
	s_delay_alu instid0(VALU_DEP_2)
	v_wmma_f16_16x16x16_f16 v[8:15], v[116:123], v[96:103], v[8:15] op_sel:[0,0,1]
	v_perm_b32 v116, v214, v219, 0x7060302
	v_perm_b32 v117, v146, v221, 0x7060302
	;; [unrolled: 1-line block ×8, first 2 shown]
	s_delay_alu instid0(VALU_DEP_1) | instskip(SKIP_1) | instid1(VALU_DEP_1)
	v_wmma_f16_16x16x16_f16 v[0:7], v[116:123], v[96:103], v[0:7] op_sel:[0,0,1]
	v_sub_f32_e32 v96, v197, v192
	v_mul_f32_e32 v97, 0x3fb8aa3b, v96
	s_delay_alu instid0(VALU_DEP_1) | instskip(SKIP_1) | instid1(VALU_DEP_1)
	v_fma_f32 v98, 0x3fb8aa3b, v96, -v97
	v_rndne_f32_e32 v99, v97
	v_dual_fmac_f32 v98, 0x32a5705f, v96 :: v_dual_sub_f32 v97, v97, v99
	v_cvt_i32_f32_e32 v99, v99
	s_delay_alu instid0(VALU_DEP_2) | instskip(SKIP_1) | instid1(VALU_DEP_2)
	v_dual_add_f32 v97, v97, v98 :: v_dual_sub_f32 v98, v184, v192
	v_add_nc_u32_e32 v184, 0x1800, v225
	v_exp_f32_e32 v97, v97
	s_delay_alu instid0(VALU_DEP_2) | instskip(SKIP_1) | instid1(VALU_DEP_2)
	v_mul_f32_e32 v100, 0x3fb8aa3b, v98
	v_cmp_ngt_f32_e64 s4, 0xc2ce8ed0, v98
	v_fma_f32 v101, 0x3fb8aa3b, v98, -v100
	v_rndne_f32_e32 v102, v100
	s_waitcnt_depctr 0xfff
	v_ldexp_f32 v97, v97, v99
	v_fmac_f32_e32 v101, 0x32a5705f, v98
	v_sub_f32_e32 v100, v100, v102
	v_cvt_i32_f32_e32 v99, v102
	v_cmp_ngt_f32_e64 s3, 0xc2ce8ed0, v96
	s_delay_alu instid0(VALU_DEP_3) | instskip(NEXT) | instid1(VALU_DEP_2)
	v_add_f32_e32 v100, v100, v101
	v_cndmask_b32_e64 v97, 0, v97, s3
	v_cmp_nlt_f32_e64 s3, 0x42b17218, v96
	s_delay_alu instid0(VALU_DEP_3) | instskip(NEXT) | instid1(VALU_DEP_1)
	v_exp_f32_e32 v100, v100
	v_cndmask_b32_e64 v97, 0x7f800000, v97, s3
	s_waitcnt_depctr 0xfff
	v_ldexp_f32 v99, v100, v99
	ds_bpermute_b32 v100, v224, v97
	v_cndmask_b32_e64 v96, 0, v99, s4
	v_cmp_nlt_f32_e64 s4, 0x42b17218, v98
	s_delay_alu instid0(VALU_DEP_1) | instskip(SKIP_4) | instid1(VALU_DEP_2)
	v_cndmask_b32_e64 v96, 0x7f800000, v96, s4
	ds_bpermute_b32 v98, v224, v96
	s_waitcnt lgkmcnt(0)
	v_cndmask_b32_e32 v99, v96, v98, vcc_lo
	v_cndmask_b32_e64 v98, v96, v98, s0
	v_cndmask_b32_e64 v102, v99, v97, s1
	s_delay_alu instid0(VALU_DEP_2) | instskip(SKIP_1) | instid1(VALU_DEP_2)
	v_cndmask_b32_e64 v101, v98, v97, s2
	v_cvt_f16_f32_e32 v98, v98
	v_cndmask_b32_e64 v101, v101, v100, s0
	s_delay_alu instid0(VALU_DEP_4) | instskip(SKIP_1) | instid1(VALU_DEP_3)
	v_cndmask_b32_e32 v100, v102, v100, vcc_lo
	v_cvt_f16_f32_e32 v99, v99
	v_cvt_f16_f32_e32 v102, v101
	s_delay_alu instid0(VALU_DEP_3) | instskip(NEXT) | instid1(VALU_DEP_3)
	v_cvt_f16_f32_e32 v103, v100
	v_pack_b32_f16 v116, v98, v99
	v_sub_f32_e32 v98, v185, v192
	s_delay_alu instid0(VALU_DEP_3) | instskip(NEXT) | instid1(VALU_DEP_2)
	v_pack_b32_f16 v117, v102, v103
	v_mul_f32_e32 v99, 0x3fb8aa3b, v98
	s_delay_alu instid0(VALU_DEP_1) | instskip(SKIP_1) | instid1(VALU_DEP_1)
	v_fma_f32 v102, 0x3fb8aa3b, v98, -v99
	v_rndne_f32_e32 v103, v99
	v_dual_fmac_f32 v102, 0x32a5705f, v98 :: v_dual_sub_f32 v99, v99, v103
	s_delay_alu instid0(VALU_DEP_1) | instskip(SKIP_2) | instid1(VALU_DEP_3)
	v_add_f32_e32 v99, v99, v102
	v_cvt_i32_f32_e32 v102, v103
	v_cmp_ngt_f32_e64 s3, 0xc2ce8ed0, v98
	v_exp_f32_e32 v99, v99
	s_waitcnt_depctr 0xfff
	v_ldexp_f32 v99, v99, v102
	s_delay_alu instid0(VALU_DEP_1) | instskip(SKIP_1) | instid1(VALU_DEP_1)
	v_cndmask_b32_e64 v99, 0, v99, s3
	v_cmp_nlt_f32_e64 s3, 0x42b17218, v98
	v_cndmask_b32_e64 v98, 0x7f800000, v99, s3
	s_delay_alu instid0(VALU_DEP_1)
	v_cndmask_b32_e64 v99, v100, v98, s1
	v_cndmask_b32_e64 v100, v101, v98, s2
	ds_bpermute_b32 v101, v224, v98
	s_waitcnt lgkmcnt(0)
	v_cndmask_b32_e64 v100, v100, v101, s0
	v_cndmask_b32_e32 v101, v99, v101, vcc_lo
	s_delay_alu instid0(VALU_DEP_2) | instskip(NEXT) | instid1(VALU_DEP_2)
	v_cvt_f16_f32_e32 v99, v100
	v_cvt_f16_f32_e32 v102, v101
	s_delay_alu instid0(VALU_DEP_1) | instskip(SKIP_1) | instid1(VALU_DEP_1)
	v_pack_b32_f16 v118, v99, v102
	v_sub_f32_e32 v99, v187, v192
	v_mul_f32_e32 v102, 0x3fb8aa3b, v99
	v_cmp_ngt_f32_e64 s3, 0xc2ce8ed0, v99
	s_delay_alu instid0(VALU_DEP_2) | instskip(SKIP_1) | instid1(VALU_DEP_2)
	v_fma_f32 v103, 0x3fb8aa3b, v99, -v102
	v_rndne_f32_e32 v107, v102
	v_fmac_f32_e32 v103, 0x32a5705f, v99
	s_delay_alu instid0(VALU_DEP_2) | instskip(NEXT) | instid1(VALU_DEP_1)
	v_sub_f32_e32 v102, v102, v107
	v_add_f32_e32 v102, v102, v103
	v_cvt_i32_f32_e32 v103, v107
	s_delay_alu instid0(VALU_DEP_2) | instskip(SKIP_2) | instid1(VALU_DEP_1)
	v_exp_f32_e32 v102, v102
	s_waitcnt_depctr 0xfff
	v_ldexp_f32 v102, v102, v103
	v_cndmask_b32_e64 v102, 0, v102, s3
	v_cmp_nlt_f32_e64 s3, 0x42b17218, v99
	s_delay_alu instid0(VALU_DEP_1) | instskip(SKIP_4) | instid1(VALU_DEP_1)
	v_cndmask_b32_e64 v99, 0x7f800000, v102, s3
	ds_bpermute_b32 v102, v224, v99
	v_cndmask_b32_e64 v101, v101, v99, s1
	v_cndmask_b32_e64 v100, v100, v99, s2
	s_waitcnt lgkmcnt(0)
	v_cndmask_b32_e64 v103, v100, v102, s0
	s_delay_alu instid0(VALU_DEP_3) | instskip(NEXT) | instid1(VALU_DEP_2)
	v_cndmask_b32_e32 v101, v101, v102, vcc_lo
	v_cvt_f16_f32_e32 v100, v103
	s_delay_alu instid0(VALU_DEP_2) | instskip(NEXT) | instid1(VALU_DEP_1)
	v_cvt_f16_f32_e32 v102, v101
	v_pack_b32_f16 v119, v100, v102
	v_sub_f32_e32 v100, v204, v192
	s_delay_alu instid0(VALU_DEP_1) | instskip(SKIP_1) | instid1(VALU_DEP_2)
	v_mul_f32_e32 v102, 0x3fb8aa3b, v100
	v_cmp_ngt_f32_e64 s3, 0xc2ce8ed0, v100
	v_fma_f32 v107, 0x3fb8aa3b, v100, -v102
	v_rndne_f32_e32 v111, v102
	s_delay_alu instid0(VALU_DEP_1) | instskip(NEXT) | instid1(VALU_DEP_1)
	v_dual_fmac_f32 v107, 0x32a5705f, v100 :: v_dual_sub_f32 v102, v102, v111
	v_add_f32_e32 v102, v102, v107
	v_cvt_i32_f32_e32 v107, v111
	s_delay_alu instid0(VALU_DEP_2) | instskip(SKIP_2) | instid1(VALU_DEP_1)
	v_exp_f32_e32 v102, v102
	s_waitcnt_depctr 0xfff
	v_ldexp_f32 v102, v102, v107
	v_cndmask_b32_e64 v102, 0, v102, s3
	v_cmp_nlt_f32_e64 s3, 0x42b17218, v100
	s_delay_alu instid0(VALU_DEP_1) | instskip(NEXT) | instid1(VALU_DEP_1)
	v_cndmask_b32_e64 v100, 0x7f800000, v102, s3
	v_cndmask_b32_e64 v102, v103, v100, s2
	ds_bpermute_b32 v103, v224, v100
	v_cndmask_b32_e64 v101, v101, v100, s1
	s_waitcnt lgkmcnt(0)
	v_cndmask_b32_e64 v102, v102, v103, s0
	s_delay_alu instid0(VALU_DEP_2) | instskip(NEXT) | instid1(VALU_DEP_2)
	v_cndmask_b32_e32 v103, v101, v103, vcc_lo
	v_cvt_f16_f32_e32 v101, v102
	s_delay_alu instid0(VALU_DEP_2) | instskip(NEXT) | instid1(VALU_DEP_1)
	v_cvt_f16_f32_e32 v107, v103
	v_pack_b32_f16 v120, v101, v107
	v_sub_f32_e32 v101, v201, v192
	s_delay_alu instid0(VALU_DEP_1) | instskip(SKIP_1) | instid1(VALU_DEP_2)
	v_mul_f32_e32 v107, 0x3fb8aa3b, v101
	v_cmp_ngt_f32_e64 s3, 0xc2ce8ed0, v101
	v_fma_f32 v111, 0x3fb8aa3b, v101, -v107
	v_rndne_f32_e32 v114, v107
	s_delay_alu instid0(VALU_DEP_2) | instskip(NEXT) | instid1(VALU_DEP_2)
	v_fmac_f32_e32 v111, 0x32a5705f, v101
	v_sub_f32_e32 v107, v107, v114
	s_delay_alu instid0(VALU_DEP_1) | instskip(SKIP_1) | instid1(VALU_DEP_2)
	v_add_f32_e32 v107, v107, v111
	v_cvt_i32_f32_e32 v111, v114
	v_exp_f32_e32 v107, v107
	s_waitcnt_depctr 0xfff
	v_ldexp_f32 v107, v107, v111
	s_delay_alu instid0(VALU_DEP_1) | instskip(SKIP_1) | instid1(VALU_DEP_1)
	v_cndmask_b32_e64 v107, 0, v107, s3
	v_cmp_nlt_f32_e64 s3, 0x42b17218, v101
	v_cndmask_b32_e64 v101, 0x7f800000, v107, s3
	ds_bpermute_b32 v107, v224, v101
	v_cndmask_b32_e64 v103, v103, v101, s1
	v_cndmask_b32_e64 v102, v102, v101, s2
	s_waitcnt lgkmcnt(0)
	s_delay_alu instid0(VALU_DEP_1) | instskip(NEXT) | instid1(VALU_DEP_3)
	v_cndmask_b32_e64 v111, v102, v107, s0
	v_cndmask_b32_e32 v103, v103, v107, vcc_lo
	s_delay_alu instid0(VALU_DEP_2) | instskip(NEXT) | instid1(VALU_DEP_2)
	v_cvt_f16_f32_e32 v102, v111
	v_cvt_f16_f32_e32 v107, v103
	s_delay_alu instid0(VALU_DEP_1) | instskip(SKIP_2) | instid1(VALU_DEP_2)
	v_pack_b32_f16 v121, v102, v107
	v_sub_f32_e32 v102, v190, v192
	v_add_nc_u32_e32 v190, 0x2c00, v225
	v_mul_f32_e32 v107, 0x3fb8aa3b, v102
	v_cmp_ngt_f32_e64 s3, 0xc2ce8ed0, v102
	s_delay_alu instid0(VALU_DEP_2) | instskip(SKIP_1) | instid1(VALU_DEP_2)
	v_fma_f32 v114, 0x3fb8aa3b, v102, -v107
	v_rndne_f32_e32 v122, v107
	v_fmac_f32_e32 v114, 0x32a5705f, v102
	s_delay_alu instid0(VALU_DEP_2) | instskip(NEXT) | instid1(VALU_DEP_1)
	v_sub_f32_e32 v107, v107, v122
	v_add_f32_e32 v107, v107, v114
	v_cvt_i32_f32_e32 v114, v122
	s_delay_alu instid0(VALU_DEP_2) | instskip(SKIP_2) | instid1(VALU_DEP_1)
	v_exp_f32_e32 v107, v107
	s_waitcnt_depctr 0xfff
	v_ldexp_f32 v107, v107, v114
	v_cndmask_b32_e64 v107, 0, v107, s3
	v_cmp_nlt_f32_e64 s3, 0x42b17218, v102
	s_delay_alu instid0(VALU_DEP_1) | instskip(NEXT) | instid1(VALU_DEP_1)
	v_cndmask_b32_e64 v102, 0x7f800000, v107, s3
	v_cndmask_b32_e64 v107, v111, v102, s2
	ds_bpermute_b32 v111, v224, v102
	v_cndmask_b32_e64 v103, v103, v102, s1
	s_waitcnt lgkmcnt(0)
	v_cndmask_b32_e64 v107, v107, v111, s0
	s_delay_alu instid0(VALU_DEP_2) | instskip(NEXT) | instid1(VALU_DEP_2)
	v_cndmask_b32_e32 v111, v103, v111, vcc_lo
	v_cvt_f16_f32_e32 v103, v107
	s_delay_alu instid0(VALU_DEP_2) | instskip(NEXT) | instid1(VALU_DEP_1)
	v_cvt_f16_f32_e32 v114, v111
	v_pack_b32_f16 v122, v103, v114
	v_sub_f32_e32 v103, v186, v192
	s_delay_alu instid0(VALU_DEP_1) | instskip(SKIP_1) | instid1(VALU_DEP_2)
	v_mul_f32_e32 v114, 0x3fb8aa3b, v103
	v_cmp_ngt_f32_e64 s3, 0xc2ce8ed0, v103
	v_fma_f32 v123, 0x3fb8aa3b, v103, -v114
	v_rndne_f32_e32 v127, v114
	s_delay_alu instid0(VALU_DEP_2) | instskip(NEXT) | instid1(VALU_DEP_2)
	v_fmac_f32_e32 v123, 0x32a5705f, v103
	v_sub_f32_e32 v114, v114, v127
	s_delay_alu instid0(VALU_DEP_1) | instskip(SKIP_1) | instid1(VALU_DEP_2)
	v_add_f32_e32 v114, v114, v123
	v_cvt_i32_f32_e32 v123, v127
	v_exp_f32_e32 v114, v114
	s_waitcnt_depctr 0xfff
	v_ldexp_f32 v114, v114, v123
	s_delay_alu instid0(VALU_DEP_1) | instskip(SKIP_1) | instid1(VALU_DEP_1)
	v_cndmask_b32_e64 v114, 0, v114, s3
	v_cmp_nlt_f32_e64 s3, 0x42b17218, v103
	v_cndmask_b32_e64 v103, 0x7f800000, v114, s3
	ds_bpermute_b32 v114, v224, v103
	v_cndmask_b32_e64 v107, v107, v103, s2
	v_cndmask_b32_e64 v111, v111, v103, s1
	s_waitcnt lgkmcnt(0)
	s_delay_alu instid0(VALU_DEP_2) | instskip(NEXT) | instid1(VALU_DEP_2)
	v_cndmask_b32_e64 v107, v107, v114, s0
	v_dual_cndmask_b32 v111, v111, v114 :: v_dual_add_nc_u32 v114, 0x1400, v225
	s_delay_alu instid0(VALU_DEP_2) | instskip(NEXT) | instid1(VALU_DEP_2)
	v_cvt_f16_f32_e32 v107, v107
	v_cvt_f16_f32_e32 v111, v111
	s_delay_alu instid0(VALU_DEP_1)
	v_pack_b32_f16 v123, v107, v111
	v_add_nc_u32_e32 v107, 0x1200, v225
	ds_load_2addr_b32 v[127:128], v107 offset0:120 offset1:140
	ds_load_2addr_b32 v[131:132], v124 offset0:112 offset1:132
	;; [unrolled: 1-line block ×3, first 2 shown]
	scratch_load_b32 v42, off, off offset:208 ; 4-byte Folded Reload
	s_waitcnt vmcnt(0)
	ds_load_b32 v137, v42 offset:2176
	ds_load_b32 v139, v42 offset:3264
	scratch_load_b32 v43, off, off offset:216 ; 4-byte Folded Reload
	s_waitcnt lgkmcnt(3)
	v_perm_b32 v155, v132, v138, 0x5040100
	s_waitcnt lgkmcnt(2)
	v_perm_b32 v156, v128, v134, 0x5040100
	s_waitcnt vmcnt(0)
	ds_load_b32 v140, v43 offset:1088
	ds_load_b32 v144, v43 offset:2176
	;; [unrolled: 1-line block ×6, first 2 shown]
	ds_load_2addr_b32 v[135:136], v114 offset0:60 offset1:148
	ds_load_2addr_b32 v[145:146], v114 offset0:196 offset1:216
	;; [unrolled: 1-line block ×16, first 2 shown]
	v_add_nc_u32_e32 v114, 0x1a00, v225
	ds_load_2addr_b32 v[184:185], v184 offset0:180 offset1:196
	ds_load_2addr_b32 v[193:194], v114 offset0:120 offset1:136
	;; [unrolled: 1-line block ×7, first 2 shown]
	s_waitcnt lgkmcnt(22)
	v_perm_b32 v157, v136, v214, 0x5040100
	s_waitcnt lgkmcnt(20)
	v_perm_b32 v158, v148, v146, 0x5040100
	;; [unrolled: 2-line block ×6, first 2 shown]
	s_delay_alu instid0(VALU_DEP_1)
	v_wmma_f16_16x16x16_f16 v[24:31], v[155:162], v[116:123], v[24:31]
	s_waitcnt lgkmcnt(12)
	v_perm_b32 v155, v171, v169, 0x5040100
	s_waitcnt lgkmcnt(10)
	v_perm_b32 v156, v175, v173, 0x5040100
	;; [unrolled: 2-line block ×8, first 2 shown]
	s_delay_alu instid0(VALU_DEP_1)
	v_wmma_f16_16x16x16_f16 v[16:23], v[155:162], v[116:123], v[16:23]
	v_perm_b32 v155, v172, v170, 0x5040100
	v_perm_b32 v156, v176, v174, 0x5040100
	;; [unrolled: 1-line block ×8, first 2 shown]
	s_delay_alu instid0(VALU_DEP_1)
	v_wmma_f16_16x16x16_f16 v[8:15], v[155:162], v[116:123], v[8:15]
	v_perm_b32 v155, v133, v131, 0x5040100
	v_perm_b32 v156, v135, v127, 0x5040100
	;; [unrolled: 1-line block ×7, first 2 shown]
	s_waitcnt lgkmcnt(0)
	v_perm_b32 v162, v216, v167, 0x5040100
	s_delay_alu instid0(VALU_DEP_1)
	v_wmma_f16_16x16x16_f16 v[0:7], v[155:162], v[116:123], v[0:7]
	v_perm_b32 v155, v132, v138, 0x7060302
	v_perm_b32 v157, v136, v214, 0x7060302
	;; [unrolled: 1-line block ×8, first 2 shown]
	s_delay_alu instid0(VALU_DEP_1)
	v_wmma_f16_16x16x16_f16 v[24:31], v[155:162], v[116:123], v[24:31] op_sel:[0,0,1]
	v_perm_b32 v157, v177, v125, 0x7060302
	v_perm_b32 v159, v184, v126, 0x7060302
	;; [unrolled: 1-line block ×8, first 2 shown]
	v_sub_f32_e32 v113, v215, v192
	v_add_nc_u32_e32 v179, 0x2800, v225
	s_delay_alu instid0(VALU_DEP_3)
	v_wmma_f16_16x16x16_f16 v[16:23], v[155:162], v[116:123], v[16:23] op_sel:[0,0,1]
	v_perm_b32 v155, v172, v170, 0x7060302
	v_perm_b32 v156, v176, v174, 0x7060302
	;; [unrolled: 1-line block ×8, first 2 shown]
	v_mul_f32_e32 v114, 0x3fb8aa3b, v113
	v_cmp_ngt_f32_e64 s3, 0xc2ce8ed0, v113
	s_delay_alu instid0(VALU_DEP_3)
	v_wmma_f16_16x16x16_f16 v[8:15], v[155:162], v[116:123], v[8:15] op_sel:[0,0,1]
	v_perm_b32 v155, v133, v131, 0x7060302
	v_perm_b32 v156, v135, v127, 0x7060302
	;; [unrolled: 1-line block ×8, first 2 shown]
	v_add_nc_u32_e32 v143, 0x2400, v225
	s_delay_alu instid0(VALU_DEP_2) | instskip(SKIP_2) | instid1(VALU_DEP_2)
	v_wmma_f16_16x16x16_f16 v[0:7], v[155:162], v[116:123], v[0:7] op_sel:[0,0,1]
	v_fma_f32 v116, 0x3fb8aa3b, v113, -v114
	v_rndne_f32_e32 v117, v114
	v_fmac_f32_e32 v116, 0x32a5705f, v113
	s_delay_alu instid0(VALU_DEP_2) | instskip(SKIP_1) | instid1(VALU_DEP_2)
	v_sub_f32_e32 v114, v114, v117
	v_cvt_i32_f32_e32 v117, v117
	v_add_f32_e32 v114, v114, v116
	v_sub_f32_e32 v116, v183, v192
	s_delay_alu instid0(VALU_DEP_2) | instskip(NEXT) | instid1(VALU_DEP_1)
	v_exp_f32_e32 v114, v114
	v_mul_f32_e32 v118, 0x3fb8aa3b, v116
	v_cmp_ngt_f32_e64 s4, 0xc2ce8ed0, v116
	s_delay_alu instid0(VALU_DEP_2)
	v_fma_f32 v119, 0x3fb8aa3b, v116, -v118
	v_rndne_f32_e32 v120, v118
	s_waitcnt_depctr 0xfff
	v_ldexp_f32 v114, v114, v117
	v_fmac_f32_e32 v119, 0x32a5705f, v116
	v_sub_f32_e32 v118, v118, v120
	v_cvt_i32_f32_e32 v117, v120
	s_delay_alu instid0(VALU_DEP_4) | instskip(SKIP_1) | instid1(VALU_DEP_4)
	v_cndmask_b32_e64 v114, 0, v114, s3
	v_cmp_nlt_f32_e64 s3, 0x42b17218, v113
	v_add_f32_e32 v118, v118, v119
	s_delay_alu instid0(VALU_DEP_2) | instskip(NEXT) | instid1(VALU_DEP_2)
	v_cndmask_b32_e64 v114, 0x7f800000, v114, s3
	v_exp_f32_e32 v118, v118
	s_waitcnt_depctr 0xfff
	v_ldexp_f32 v117, v118, v117
	ds_bpermute_b32 v118, v224, v114
	v_cndmask_b32_e64 v113, 0, v117, s4
	v_cmp_nlt_f32_e64 s4, 0x42b17218, v116
	s_delay_alu instid0(VALU_DEP_1) | instskip(SKIP_4) | instid1(VALU_DEP_2)
	v_cndmask_b32_e64 v113, 0x7f800000, v113, s4
	ds_bpermute_b32 v116, v224, v113
	s_waitcnt lgkmcnt(0)
	v_cndmask_b32_e32 v117, v113, v116, vcc_lo
	v_cndmask_b32_e64 v116, v113, v116, s0
	v_cndmask_b32_e64 v120, v117, v114, s1
	s_delay_alu instid0(VALU_DEP_2) | instskip(SKIP_2) | instid1(VALU_DEP_4)
	v_cndmask_b32_e64 v119, v116, v114, s2
	v_cvt_f16_f32_e32 v116, v116
	v_cvt_f16_f32_e32 v117, v117
	v_cndmask_b32_e32 v120, v120, v118, vcc_lo
	s_delay_alu instid0(VALU_DEP_4) | instskip(NEXT) | instid1(VALU_DEP_3)
	v_cndmask_b32_e64 v119, v119, v118, s0
	v_pack_b32_f16 v117, v116, v117
	v_sub_f32_e32 v116, v200, v192
	s_delay_alu instid0(VALU_DEP_4) | instskip(NEXT) | instid1(VALU_DEP_4)
	v_cvt_f16_f32_e32 v121, v120
	v_cvt_f16_f32_e32 v118, v119
	v_add_nc_u32_e32 v200, 0x4000, v225
	s_delay_alu instid0(VALU_DEP_4) | instskip(NEXT) | instid1(VALU_DEP_3)
	v_cmp_ngt_f32_e64 s3, 0xc2ce8ed0, v116
	v_pack_b32_f16 v118, v118, v121
	v_mul_f32_e32 v121, 0x3fb8aa3b, v116
	s_delay_alu instid0(VALU_DEP_1) | instskip(SKIP_1) | instid1(VALU_DEP_1)
	v_fma_f32 v122, 0x3fb8aa3b, v116, -v121
	v_rndne_f32_e32 v123, v121
	v_dual_fmac_f32 v122, 0x32a5705f, v116 :: v_dual_sub_f32 v121, v121, v123
	s_delay_alu instid0(VALU_DEP_1) | instskip(SKIP_1) | instid1(VALU_DEP_2)
	v_add_f32_e32 v121, v121, v122
	v_cvt_i32_f32_e32 v122, v123
	v_exp_f32_e32 v121, v121
	s_waitcnt_depctr 0xfff
	v_ldexp_f32 v121, v121, v122
	s_delay_alu instid0(VALU_DEP_1) | instskip(SKIP_1) | instid1(VALU_DEP_1)
	v_cndmask_b32_e64 v121, 0, v121, s3
	v_cmp_nlt_f32_e64 s3, 0x42b17218, v116
	v_cndmask_b32_e64 v116, 0x7f800000, v121, s3
	ds_bpermute_b32 v121, v224, v116
	v_cndmask_b32_e64 v120, v120, v116, s1
	v_cndmask_b32_e64 v119, v119, v116, s2
	s_waitcnt lgkmcnt(0)
	s_delay_alu instid0(VALU_DEP_1) | instskip(NEXT) | instid1(VALU_DEP_3)
	v_cndmask_b32_e64 v122, v119, v121, s0
	v_cndmask_b32_e32 v120, v120, v121, vcc_lo
	s_delay_alu instid0(VALU_DEP_2) | instskip(NEXT) | instid1(VALU_DEP_2)
	v_cvt_f16_f32_e32 v119, v122
	v_cvt_f16_f32_e32 v121, v120
	s_delay_alu instid0(VALU_DEP_1) | instskip(SKIP_1) | instid1(VALU_DEP_1)
	v_pack_b32_f16 v119, v119, v121
	v_sub_f32_e32 v121, v229, v192
	v_mul_f32_e32 v123, 0x3fb8aa3b, v121
	v_cmp_ngt_f32_e64 s3, 0xc2ce8ed0, v121
	s_delay_alu instid0(VALU_DEP_2) | instskip(SKIP_1) | instid1(VALU_DEP_2)
	v_fma_f32 v124, 0x3fb8aa3b, v121, -v123
	v_rndne_f32_e32 v125, v123
	v_fmac_f32_e32 v124, 0x32a5705f, v121
	s_delay_alu instid0(VALU_DEP_2) | instskip(NEXT) | instid1(VALU_DEP_1)
	v_sub_f32_e32 v123, v123, v125
	v_add_f32_e32 v123, v123, v124
	v_cvt_i32_f32_e32 v124, v125
	s_delay_alu instid0(VALU_DEP_2) | instskip(SKIP_2) | instid1(VALU_DEP_1)
	v_exp_f32_e32 v123, v123
	s_waitcnt_depctr 0xfff
	v_ldexp_f32 v123, v123, v124
	v_cndmask_b32_e64 v123, 0, v123, s3
	v_cmp_nlt_f32_e64 s3, 0x42b17218, v121
	s_delay_alu instid0(VALU_DEP_1) | instskip(NEXT) | instid1(VALU_DEP_1)
	v_cndmask_b32_e64 v125, 0x7f800000, v123, s3
	v_cndmask_b32_e64 v121, v122, v125, s2
	ds_bpermute_b32 v122, v224, v125
	v_cndmask_b32_e64 v120, v120, v125, s1
	s_waitcnt lgkmcnt(0)
	v_cndmask_b32_e64 v121, v121, v122, s0
	s_delay_alu instid0(VALU_DEP_2) | instskip(NEXT) | instid1(VALU_DEP_2)
	v_cndmask_b32_e32 v122, v120, v122, vcc_lo
	v_cvt_f16_f32_e32 v120, v121
	s_delay_alu instid0(VALU_DEP_2) | instskip(NEXT) | instid1(VALU_DEP_1)
	v_cvt_f16_f32_e32 v123, v122
	v_pack_b32_f16 v120, v120, v123
	v_sub_f32_e32 v123, v230, v192
	s_delay_alu instid0(VALU_DEP_1) | instskip(SKIP_1) | instid1(VALU_DEP_2)
	v_mul_f32_e32 v124, 0x3fb8aa3b, v123
	v_cmp_ngt_f32_e64 s3, 0xc2ce8ed0, v123
	v_fma_f32 v126, 0x3fb8aa3b, v123, -v124
	v_rndne_f32_e32 v127, v124
	s_delay_alu instid0(VALU_DEP_2) | instskip(NEXT) | instid1(VALU_DEP_2)
	v_fmac_f32_e32 v126, 0x32a5705f, v123
	v_sub_f32_e32 v124, v124, v127
	s_delay_alu instid0(VALU_DEP_1) | instskip(SKIP_1) | instid1(VALU_DEP_2)
	v_add_f32_e32 v124, v124, v126
	v_cvt_i32_f32_e32 v126, v127
	v_exp_f32_e32 v124, v124
	s_waitcnt_depctr 0xfff
	v_ldexp_f32 v124, v124, v126
	s_delay_alu instid0(VALU_DEP_1) | instskip(SKIP_1) | instid1(VALU_DEP_1)
	v_cndmask_b32_e64 v124, 0, v124, s3
	v_cmp_nlt_f32_e64 s3, 0x42b17218, v123
	v_cndmask_b32_e64 v128, 0x7f800000, v124, s3
	ds_bpermute_b32 v123, v224, v128
	v_cndmask_b32_e64 v122, v122, v128, s1
	v_cndmask_b32_e64 v121, v121, v128, s2
	s_waitcnt lgkmcnt(0)
	s_delay_alu instid0(VALU_DEP_1) | instskip(NEXT) | instid1(VALU_DEP_3)
	v_cndmask_b32_e64 v124, v121, v123, s0
	v_cndmask_b32_e32 v122, v122, v123, vcc_lo
	s_delay_alu instid0(VALU_DEP_2) | instskip(NEXT) | instid1(VALU_DEP_2)
	v_cvt_f16_f32_e32 v121, v124
	v_cvt_f16_f32_e32 v123, v122
	s_delay_alu instid0(VALU_DEP_1) | instskip(SKIP_1) | instid1(VALU_DEP_1)
	v_pack_b32_f16 v121, v121, v123
	v_sub_f32_e32 v123, v228, v192
	v_mul_f32_e32 v126, 0x3fb8aa3b, v123
	v_cmp_ngt_f32_e64 s3, 0xc2ce8ed0, v123
	s_delay_alu instid0(VALU_DEP_2) | instskip(SKIP_1) | instid1(VALU_DEP_2)
	v_fma_f32 v127, 0x3fb8aa3b, v123, -v126
	v_rndne_f32_e32 v131, v126
	v_fmac_f32_e32 v127, 0x32a5705f, v123
	s_delay_alu instid0(VALU_DEP_2) | instskip(NEXT) | instid1(VALU_DEP_1)
	v_sub_f32_e32 v126, v126, v131
	v_add_f32_e32 v126, v126, v127
	v_cvt_i32_f32_e32 v127, v131
	s_delay_alu instid0(VALU_DEP_2) | instskip(SKIP_2) | instid1(VALU_DEP_1)
	v_exp_f32_e32 v126, v126
	s_waitcnt_depctr 0xfff
	v_ldexp_f32 v126, v126, v127
	v_cndmask_b32_e64 v126, 0, v126, s3
	v_cmp_nlt_f32_e64 s3, 0x42b17218, v123
	s_delay_alu instid0(VALU_DEP_1) | instskip(NEXT) | instid1(VALU_DEP_1)
	v_cndmask_b32_e64 v139, 0x7f800000, v126, s3
	v_cndmask_b32_e64 v123, v124, v139, s2
	ds_bpermute_b32 v124, v224, v139
	v_cndmask_b32_e64 v122, v122, v139, s1
	s_waitcnt lgkmcnt(0)
	v_cndmask_b32_e64 v123, v123, v124, s0
	s_delay_alu instid0(VALU_DEP_2) | instskip(NEXT) | instid1(VALU_DEP_2)
	v_cndmask_b32_e32 v124, v122, v124, vcc_lo
	v_cvt_f16_f32_e32 v122, v123
	s_delay_alu instid0(VALU_DEP_2) | instskip(NEXT) | instid1(VALU_DEP_1)
	v_cvt_f16_f32_e32 v126, v124
	v_pack_b32_f16 v122, v122, v126
	v_sub_f32_e32 v126, v44, v192
	s_delay_alu instid0(VALU_DEP_1) | instskip(SKIP_1) | instid1(VALU_DEP_2)
	v_mul_f32_e32 v127, 0x3fb8aa3b, v126
	v_cmp_ngt_f32_e64 s3, 0xc2ce8ed0, v126
	v_fma_f32 v131, 0x3fb8aa3b, v126, -v127
	v_rndne_f32_e32 v132, v127
	s_delay_alu instid0(VALU_DEP_2) | instskip(NEXT) | instid1(VALU_DEP_2)
	v_fmac_f32_e32 v131, 0x32a5705f, v126
	v_sub_f32_e32 v127, v127, v132
	s_delay_alu instid0(VALU_DEP_1) | instskip(SKIP_1) | instid1(VALU_DEP_2)
	v_add_f32_e32 v127, v127, v131
	v_cvt_i32_f32_e32 v131, v132
	v_exp_f32_e32 v127, v127
	s_waitcnt_depctr 0xfff
	v_ldexp_f32 v127, v127, v131
	s_delay_alu instid0(VALU_DEP_1) | instskip(SKIP_1) | instid1(VALU_DEP_1)
	v_cndmask_b32_e64 v127, 0, v127, s3
	v_cmp_nlt_f32_e64 s3, 0x42b17218, v126
	v_cndmask_b32_e64 v141, 0x7f800000, v127, s3
	ds_bpermute_b32 v126, v224, v141
	v_cndmask_b32_e64 v123, v123, v141, s2
	v_cndmask_b32_e64 v124, v124, v141, s1
	s_waitcnt lgkmcnt(0)
	s_delay_alu instid0(VALU_DEP_2) | instskip(NEXT) | instid1(VALU_DEP_2)
	v_cndmask_b32_e64 v127, v123, v126, s0
	v_cndmask_b32_e32 v124, v124, v126, vcc_lo
	s_delay_alu instid0(VALU_DEP_2) | instskip(NEXT) | instid1(VALU_DEP_2)
	v_cvt_f16_f32_e32 v123, v127
	v_cvt_f16_f32_e32 v126, v124
	s_delay_alu instid0(VALU_DEP_1) | instskip(SKIP_1) | instid1(VALU_DEP_1)
	v_pack_b32_f16 v123, v123, v126
	v_dual_sub_f32 v126, v195, v192 :: v_dual_add_nc_u32 v195, 0x3000, v225
	v_mul_f32_e32 v131, 0x3fb8aa3b, v126
	v_cmp_ngt_f32_e64 s3, 0xc2ce8ed0, v126
	s_delay_alu instid0(VALU_DEP_2) | instskip(SKIP_1) | instid1(VALU_DEP_1)
	v_fma_f32 v132, 0x3fb8aa3b, v126, -v131
	v_rndne_f32_e32 v133, v131
	v_dual_fmac_f32 v132, 0x32a5705f, v126 :: v_dual_sub_f32 v131, v131, v133
	s_delay_alu instid0(VALU_DEP_1) | instskip(SKIP_1) | instid1(VALU_DEP_2)
	v_add_f32_e32 v131, v131, v132
	v_cvt_i32_f32_e32 v132, v133
	v_exp_f32_e32 v131, v131
	s_waitcnt_depctr 0xfff
	v_ldexp_f32 v131, v131, v132
	s_delay_alu instid0(VALU_DEP_1) | instskip(SKIP_1) | instid1(VALU_DEP_1)
	v_cndmask_b32_e64 v131, 0, v131, s3
	v_cmp_nlt_f32_e64 s3, 0x42b17218, v126
	v_cndmask_b32_e64 v142, 0x7f800000, v131, s3
	s_delay_alu instid0(VALU_DEP_1) | instskip(SKIP_4) | instid1(VALU_DEP_2)
	v_cndmask_b32_e64 v126, v127, v142, s2
	ds_bpermute_b32 v127, v224, v142
	v_cndmask_b32_e64 v124, v124, v142, s1
	s_waitcnt lgkmcnt(0)
	v_cndmask_b32_e64 v126, v126, v127, s0
	v_cndmask_b32_e32 v124, v124, v127, vcc_lo
	s_delay_alu instid0(VALU_DEP_2) | instskip(NEXT) | instid1(VALU_DEP_2)
	v_cvt_f16_f32_e32 v126, v126
	v_cvt_f16_f32_e32 v124, v124
	s_delay_alu instid0(VALU_DEP_1)
	v_pack_b32_f16 v124, v126, v124
	v_add_nc_u32_e32 v126, 0x2200, v225
	ds_load_2addr_b32 v[126:127], v126 offset0:116 offset1:136
	ds_load_2addr_b32 v[131:132], v218 offset0:176 offset1:196
	;; [unrolled: 1-line block ×16, first 2 shown]
	scratch_load_b32 v42, off, off offset:248 ; 4-byte Folded Reload
	ds_load_2addr_b32 v[175:176], v143 offset0:228 offset1:244
	s_waitcnt vmcnt(0)
	ds_load_b32 v143, v42 offset:1088
	ds_load_b32 v204, v42 offset:2176
	;; [unrolled: 1-line block ×5, first 2 shown]
	s_waitcnt lgkmcnt(20)
	v_perm_b32 v155, v132, v217, 0x5040100
	s_waitcnt lgkmcnt(19)
	v_perm_b32 v156, v134, v127, 0x5040100
	;; [unrolled: 2-line block ×8, first 2 shown]
	ds_load_2addr_b32 v[177:178], v179 offset0:40 offset1:56
	ds_load_2addr_b32 v[179:180], v179 offset0:108 offset1:124
	v_wmma_f16_16x16x16_f16 v[24:31], v[155:162], v[117:124], v[24:31]
	v_add_nc_u32_e32 v159, 0x2a00, v225
	s_waitcnt lgkmcnt(10)
	v_perm_b32 v155, v169, v167, 0x5040100
	s_waitcnt lgkmcnt(8)
	v_perm_b32 v156, v173, v171, 0x5040100
	;; [unrolled: 2-line block ×3, first 2 shown]
	ds_load_2addr_b32 v[181:182], v159 offset0:116 offset1:132
	ds_load_2addr_b32 v[184:185], v190 offset0:56 offset1:72
	;; [unrolled: 1-line block ×6, first 2 shown]
	scratch_load_b32 v42, off, off offset:380 ; 4-byte Folded Reload
	s_waitcnt vmcnt(0)
	ds_load_b32 v190, v42 offset:1088
	ds_load_b32 v216, v42 offset:2176
	;; [unrolled: 1-line block ×3, first 2 shown]
	scratch_load_b32 v42, off, off offset:384 ; 4-byte Folded Reload
	s_waitcnt vmcnt(0)
	ds_load_b32 v219, v42 offset:1088
	ds_load_b32 v220, v42 offset:2176
	;; [unrolled: 1-line block ×3, first 2 shown]
	scratch_load_b32 v42, off, off offset:24 ; 4-byte Folded Reload
	ds_load_2addr_b32 v[210:211], v195 offset0:172 offset1:192
	s_waitcnt lgkmcnt(13)
	v_perm_b32 v158, v179, v177, 0x5040100
	s_waitcnt lgkmcnt(12)
	v_perm_b32 v159, v181, v204, 0x5040100
	s_waitcnt lgkmcnt(10)
	v_perm_b32 v160, v193, v184, 0x5040100
	s_waitcnt lgkmcnt(9)
	v_perm_b32 v161, v197, v212, 0x5040100
	s_waitcnt lgkmcnt(7)
	v_perm_b32 v162, v208, v201, 0x5040100
	s_delay_alu instid0(VALU_DEP_1)
	v_wmma_f16_16x16x16_f16 v[16:23], v[155:162], v[117:124], v[16:23]
	v_perm_b32 v155, v170, v168, 0x5040100
	v_perm_b32 v156, v174, v172, 0x5040100
	;; [unrolled: 1-line block ×8, first 2 shown]
	s_delay_alu instid0(VALU_DEP_1)
	v_wmma_f16_16x16x16_f16 v[8:15], v[155:162], v[117:124], v[8:15]
	v_perm_b32 v155, v126, v131, 0x5040100
	v_perm_b32 v156, v135, v133, 0x5040100
	s_waitcnt lgkmcnt(6)
	v_perm_b32 v157, v137, v190, 0x5040100
	v_perm_b32 v158, v147, v145, 0x5040100
	s_waitcnt lgkmcnt(5)
	v_perm_b32 v159, v149, v216, 0x5040100
	v_perm_b32 v160, v153, v151, 0x5040100
	s_waitcnt lgkmcnt(4)
	v_perm_b32 v161, v163, v218, 0x5040100
	s_waitcnt lgkmcnt(0)
	v_perm_b32 v162, v210, v165, 0x5040100
	s_delay_alu instid0(VALU_DEP_1)
	v_wmma_f16_16x16x16_f16 v[0:7], v[155:162], v[117:124], v[0:7]
	v_perm_b32 v155, v132, v217, 0x7060302
	v_perm_b32 v157, v136, v140, 0x7060302
	;; [unrolled: 1-line block ×8, first 2 shown]
	s_delay_alu instid0(VALU_DEP_1)
	v_wmma_f16_16x16x16_f16 v[24:31], v[155:162], v[117:124], v[24:31] op_sel:[0,0,1]
	v_perm_b32 v157, v175, v143, 0x7060302
	v_perm_b32 v159, v181, v204, 0x7060302
	;; [unrolled: 1-line block ×8, first 2 shown]
	v_add_nc_u32_e32 v193, 0x3800, v225
	v_add_nc_u32_e32 v197, 0x3c00, v225
	;; [unrolled: 1-line block ×3, first 2 shown]
	s_delay_alu instid0(VALU_DEP_4)
	v_wmma_f16_16x16x16_f16 v[16:23], v[155:162], v[117:124], v[16:23] op_sel:[0,0,1]
	v_perm_b32 v157, v176, v108, 0x7060302
	v_perm_b32 v155, v170, v168, 0x7060302
	;; [unrolled: 1-line block ×8, first 2 shown]
	s_delay_alu instid0(VALU_DEP_1)
	v_wmma_f16_16x16x16_f16 v[8:15], v[155:162], v[117:124], v[8:15] op_sel:[0,0,1]
	v_perm_b32 v155, v126, v131, 0x7060302
	v_perm_b32 v156, v135, v133, 0x7060302
	;; [unrolled: 1-line block ×8, first 2 shown]
	v_add_nc_u32_e32 v147, 0x3e00, v225
	v_add_nc_u32_e32 v133, 0x3600, v225
	;; [unrolled: 1-line block ×3, first 2 shown]
	s_delay_alu instid0(VALU_DEP_4)
	v_wmma_f16_16x16x16_f16 v[0:7], v[155:162], v[117:124], v[0:7] op_sel:[0,0,1]
	s_waitcnt vmcnt(0)
	v_sub_f32_e32 v108, v42, v192
	scratch_load_b32 v42, off, off offset:20 ; 4-byte Folded Reload
	v_mul_f32_e32 v109, 0x3fb8aa3b, v108
	v_cmp_ngt_f32_e64 s3, 0xc2ce8ed0, v108
	s_delay_alu instid0(VALU_DEP_2) | instskip(SKIP_1) | instid1(VALU_DEP_1)
	v_fma_f32 v110, 0x3fb8aa3b, v108, -v109
	v_rndne_f32_e32 v117, v109
	v_dual_fmac_f32 v110, 0x32a5705f, v108 :: v_dual_sub_f32 v109, v109, v117
	v_cvt_i32_f32_e32 v117, v117
	s_delay_alu instid0(VALU_DEP_2) | instskip(NEXT) | instid1(VALU_DEP_1)
	v_add_f32_e32 v109, v109, v110
	v_exp_f32_e32 v109, v109
	s_waitcnt_depctr 0xfff
	v_ldexp_f32 v109, v109, v117
	s_delay_alu instid0(VALU_DEP_1) | instskip(SKIP_1) | instid1(VALU_DEP_1)
	v_cndmask_b32_e64 v109, 0, v109, s3
	v_cmp_nlt_f32_e64 s3, 0x42b17218, v108
	v_cndmask_b32_e64 v140, 0x7f800000, v109, s3
	s_waitcnt vmcnt(0)
	v_sub_f32_e32 v110, v42, v192
	scratch_load_b32 v42, off, off offset:16 ; 4-byte Folded Reload
	v_mul_f32_e32 v118, 0x3fb8aa3b, v110
	v_cmp_ngt_f32_e64 s4, 0xc2ce8ed0, v110
	s_delay_alu instid0(VALU_DEP_2) | instskip(SKIP_2) | instid1(VALU_DEP_2)
	v_fma_f32 v119, 0x3fb8aa3b, v110, -v118
	v_rndne_f32_e32 v120, v118
	v_dual_mov_b32 v208, v233 :: v_dual_mov_b32 v209, v234
	v_dual_fmac_f32 v119, 0x32a5705f, v110 :: v_dual_sub_f32 v118, v118, v120
	v_cvt_i32_f32_e32 v117, v120
	s_delay_alu instid0(VALU_DEP_2) | instskip(NEXT) | instid1(VALU_DEP_1)
	v_add_f32_e32 v118, v118, v119
	v_exp_f32_e32 v118, v118
	s_waitcnt_depctr 0xfff
	v_ldexp_f32 v117, v118, v117
	s_delay_alu instid0(VALU_DEP_1)
	v_cndmask_b32_e64 v108, 0, v117, s4
	v_cmp_nlt_f32_e64 s4, 0x42b17218, v110
	ds_bpermute_b32 v117, v224, v140
	v_cndmask_b32_e64 v110, 0x7f800000, v108, s4
	ds_bpermute_b32 v108, v224, v110
	s_waitcnt lgkmcnt(0)
	v_cndmask_b32_e32 v109, v110, v108, vcc_lo
	v_cndmask_b32_e64 v108, v110, v108, s0
	s_delay_alu instid0(VALU_DEP_1) | instskip(SKIP_1) | instid1(VALU_DEP_2)
	v_cndmask_b32_e64 v118, v108, v140, s2
	v_cvt_f16_f32_e32 v108, v108
	v_cndmask_b32_e64 v119, v118, v117, s0
	v_cndmask_b32_e64 v118, v109, v140, s1
	v_cvt_f16_f32_e32 v109, v109
	s_delay_alu instid0(VALU_DEP_2) | instskip(NEXT) | instid1(VALU_DEP_2)
	v_cndmask_b32_e32 v120, v118, v117, vcc_lo
	v_pack_b32_f16 v117, v108, v109
	v_cvt_f16_f32_e32 v118, v119
	s_delay_alu instid0(VALU_DEP_3) | instskip(NEXT) | instid1(VALU_DEP_1)
	v_cvt_f16_f32_e32 v121, v120
	v_pack_b32_f16 v118, v118, v121
	s_waitcnt vmcnt(0)
	v_sub_f32_e32 v108, v42, v192
	scratch_load_b32 v42, off, off offset:12 ; 4-byte Folded Reload
	v_mul_f32_e32 v109, 0x3fb8aa3b, v108
	v_cmp_ngt_f32_e64 s3, 0xc2ce8ed0, v108
	s_delay_alu instid0(VALU_DEP_2) | instskip(SKIP_1) | instid1(VALU_DEP_2)
	v_fma_f32 v121, 0x3fb8aa3b, v108, -v109
	v_rndne_f32_e32 v122, v109
	v_fmac_f32_e32 v121, 0x32a5705f, v108
	s_delay_alu instid0(VALU_DEP_2) | instskip(NEXT) | instid1(VALU_DEP_1)
	v_sub_f32_e32 v109, v109, v122
	v_add_f32_e32 v109, v109, v121
	v_cvt_i32_f32_e32 v121, v122
	s_delay_alu instid0(VALU_DEP_2) | instskip(SKIP_2) | instid1(VALU_DEP_1)
	v_exp_f32_e32 v109, v109
	s_waitcnt_depctr 0xfff
	v_ldexp_f32 v109, v109, v121
	v_cndmask_b32_e64 v109, 0, v109, s3
	v_cmp_nlt_f32_e64 s3, 0x42b17218, v108
	s_delay_alu instid0(VALU_DEP_1) | instskip(NEXT) | instid1(VALU_DEP_1)
	v_cndmask_b32_e64 v143, 0x7f800000, v109, s3
	v_cndmask_b32_e64 v108, v119, v143, s2
	ds_bpermute_b32 v119, v224, v143
	v_cndmask_b32_e64 v109, v120, v143, s1
	s_waitcnt lgkmcnt(0)
	v_cndmask_b32_e64 v108, v108, v119, s0
	s_delay_alu instid0(VALU_DEP_2) | instskip(NEXT) | instid1(VALU_DEP_2)
	v_cndmask_b32_e32 v109, v109, v119, vcc_lo
	v_cvt_f16_f32_e32 v119, v108
	s_delay_alu instid0(VALU_DEP_2) | instskip(NEXT) | instid1(VALU_DEP_1)
	v_cvt_f16_f32_e32 v120, v109
	v_pack_b32_f16 v119, v119, v120
	s_waitcnt vmcnt(0)
	v_sub_f32_e32 v120, v42, v192
	scratch_load_b32 v42, off, off offset:8 ; 4-byte Folded Reload
	v_mul_f32_e32 v121, 0x3fb8aa3b, v120
	v_cmp_ngt_f32_e64 s3, 0xc2ce8ed0, v120
	s_delay_alu instid0(VALU_DEP_2) | instskip(SKIP_1) | instid1(VALU_DEP_1)
	v_fma_f32 v122, 0x3fb8aa3b, v120, -v121
	v_rndne_f32_e32 v123, v121
	v_dual_fmac_f32 v122, 0x32a5705f, v120 :: v_dual_sub_f32 v121, v121, v123
	s_delay_alu instid0(VALU_DEP_1) | instskip(SKIP_1) | instid1(VALU_DEP_2)
	v_add_f32_e32 v121, v121, v122
	v_cvt_i32_f32_e32 v122, v123
	v_exp_f32_e32 v121, v121
	s_waitcnt_depctr 0xfff
	v_ldexp_f32 v121, v121, v122
	s_delay_alu instid0(VALU_DEP_1) | instskip(SKIP_1) | instid1(VALU_DEP_1)
	v_cndmask_b32_e64 v121, 0, v121, s3
	v_cmp_nlt_f32_e64 s3, 0x42b17218, v120
	v_cndmask_b32_e64 v144, 0x7f800000, v121, s3
	ds_bpermute_b32 v120, v224, v144
	v_cndmask_b32_e64 v108, v108, v144, s2
	v_cndmask_b32_e64 v109, v109, v144, s1
	s_waitcnt lgkmcnt(0)
	s_delay_alu instid0(VALU_DEP_2) | instskip(NEXT) | instid1(VALU_DEP_2)
	v_cndmask_b32_e64 v108, v108, v120, s0
	v_cndmask_b32_e32 v109, v109, v120, vcc_lo
	s_delay_alu instid0(VALU_DEP_2) | instskip(NEXT) | instid1(VALU_DEP_2)
	v_cvt_f16_f32_e32 v120, v108
	v_cvt_f16_f32_e32 v121, v109
	s_delay_alu instid0(VALU_DEP_1)
	v_pack_b32_f16 v120, v120, v121
	s_waitcnt vmcnt(0)
	v_sub_f32_e32 v121, v42, v192
	scratch_load_b32 v42, off, off offset:4 ; 4-byte Folded Reload
	v_mul_f32_e32 v122, 0x3fb8aa3b, v121
	v_cmp_ngt_f32_e64 s3, 0xc2ce8ed0, v121
	s_delay_alu instid0(VALU_DEP_2) | instskip(SKIP_1) | instid1(VALU_DEP_1)
	v_fma_f32 v123, 0x3fb8aa3b, v121, -v122
	v_rndne_f32_e32 v124, v122
	v_dual_fmac_f32 v123, 0x32a5705f, v121 :: v_dual_sub_f32 v122, v122, v124
	s_delay_alu instid0(VALU_DEP_1) | instskip(SKIP_1) | instid1(VALU_DEP_2)
	v_add_f32_e32 v122, v122, v123
	v_cvt_i32_f32_e32 v123, v124
	v_exp_f32_e32 v122, v122
	s_waitcnt_depctr 0xfff
	v_ldexp_f32 v122, v122, v123
	s_delay_alu instid0(VALU_DEP_1) | instskip(SKIP_1) | instid1(VALU_DEP_1)
	v_cndmask_b32_e64 v122, 0, v122, s3
	v_cmp_nlt_f32_e64 s3, 0x42b17218, v121
	v_cndmask_b32_e64 v185, 0x7f800000, v122, s3
	ds_bpermute_b32 v121, v224, v185
	v_cndmask_b32_e64 v108, v108, v185, s2
	v_cndmask_b32_e64 v109, v109, v185, s1
	s_waitcnt lgkmcnt(0)
	s_delay_alu instid0(VALU_DEP_2) | instskip(NEXT) | instid1(VALU_DEP_2)
	v_cndmask_b32_e64 v108, v108, v121, s0
	v_cndmask_b32_e32 v109, v109, v121, vcc_lo
	s_delay_alu instid0(VALU_DEP_2) | instskip(NEXT) | instid1(VALU_DEP_2)
	v_cvt_f16_f32_e32 v121, v108
	v_cvt_f16_f32_e32 v122, v109
	s_delay_alu instid0(VALU_DEP_1)
	v_pack_b32_f16 v121, v121, v122
	s_waitcnt vmcnt(0)
	v_sub_f32_e32 v122, v42, v192
	scratch_load_b32 v42, off, off          ; 4-byte Folded Reload
	v_mul_f32_e32 v123, 0x3fb8aa3b, v122
	v_cmp_ngt_f32_e64 s3, 0xc2ce8ed0, v122
	s_delay_alu instid0(VALU_DEP_2) | instskip(SKIP_1) | instid1(VALU_DEP_2)
	v_fma_f32 v124, 0x3fb8aa3b, v122, -v123
	v_rndne_f32_e32 v126, v123
	v_fmac_f32_e32 v124, 0x32a5705f, v122
	s_delay_alu instid0(VALU_DEP_2) | instskip(NEXT) | instid1(VALU_DEP_1)
	v_sub_f32_e32 v123, v123, v126
	v_add_f32_e32 v123, v123, v124
	v_cvt_i32_f32_e32 v124, v126
	s_delay_alu instid0(VALU_DEP_2) | instskip(SKIP_2) | instid1(VALU_DEP_1)
	v_exp_f32_e32 v123, v123
	s_waitcnt_depctr 0xfff
	v_ldexp_f32 v123, v123, v124
	v_cndmask_b32_e64 v123, 0, v123, s3
	v_cmp_nlt_f32_e64 s3, 0x42b17218, v122
	s_delay_alu instid0(VALU_DEP_1) | instskip(SKIP_4) | instid1(VALU_DEP_2)
	v_cndmask_b32_e64 v187, 0x7f800000, v123, s3
	ds_bpermute_b32 v122, v224, v187
	v_cndmask_b32_e64 v108, v108, v187, s2
	v_cndmask_b32_e64 v109, v109, v187, s1
	s_waitcnt lgkmcnt(0)
	v_cndmask_b32_e64 v108, v108, v122, s0
	s_delay_alu instid0(VALU_DEP_2) | instskip(NEXT) | instid1(VALU_DEP_2)
	v_cndmask_b32_e32 v109, v109, v122, vcc_lo
	v_cvt_f16_f32_e32 v122, v108
	s_delay_alu instid0(VALU_DEP_2) | instskip(NEXT) | instid1(VALU_DEP_1)
	v_cvt_f16_f32_e32 v123, v109
	v_pack_b32_f16 v122, v122, v123
	s_waitcnt vmcnt(0)
	v_dual_sub_f32 v123, v42, v192 :: v_dual_mov_b32 v42, v56
	s_delay_alu instid0(VALU_DEP_1) | instskip(NEXT) | instid1(VALU_DEP_1)
	v_dual_mov_b32 v43, v57 :: v_dual_mul_f32 v124, 0x3fb8aa3b, v123
	v_fma_f32 v126, 0x3fb8aa3b, v123, -v124
	v_rndne_f32_e32 v127, v124
	s_delay_alu instid0(VALU_DEP_2) | instskip(NEXT) | instid1(VALU_DEP_2)
	v_fmac_f32_e32 v126, 0x32a5705f, v123
	v_sub_f32_e32 v124, v124, v127
	s_delay_alu instid0(VALU_DEP_1) | instskip(SKIP_2) | instid1(VALU_DEP_3)
	v_add_f32_e32 v124, v124, v126
	v_cvt_i32_f32_e32 v126, v127
	v_cmp_ngt_f32_e64 s3, 0xc2ce8ed0, v123
	v_exp_f32_e32 v124, v124
	s_waitcnt_depctr 0xfff
	v_ldexp_f32 v124, v124, v126
	s_delay_alu instid0(VALU_DEP_1) | instskip(SKIP_1) | instid1(VALU_DEP_1)
	v_cndmask_b32_e64 v124, 0, v124, s3
	v_cmp_nlt_f32_e64 s3, 0x42b17218, v123
	v_cndmask_b32_e64 v190, 0x7f800000, v124, s3
	ds_bpermute_b32 v123, v224, v190
	v_cndmask_b32_e64 v108, v108, v190, s2
	v_cndmask_b32_e64 v109, v109, v190, s1
	s_waitcnt lgkmcnt(0)
	s_delay_alu instid0(VALU_DEP_2) | instskip(NEXT) | instid1(VALU_DEP_2)
	v_cndmask_b32_e64 v108, v108, v123, s0
	v_cndmask_b32_e32 v109, v109, v123, vcc_lo
	s_delay_alu instid0(VALU_DEP_2) | instskip(NEXT) | instid1(VALU_DEP_2)
	v_cvt_f16_f32_e32 v123, v108
	v_cvt_f16_f32_e32 v124, v109
	s_delay_alu instid0(VALU_DEP_1) | instskip(SKIP_1) | instid1(VALU_DEP_1)
	v_pack_b32_f16 v123, v123, v124
	v_sub_f32_e32 v124, v51, v192
	v_mul_f32_e32 v126, 0x3fb8aa3b, v124
	v_cmp_ngt_f32_e64 s3, 0xc2ce8ed0, v124
	s_delay_alu instid0(VALU_DEP_2) | instskip(SKIP_1) | instid1(VALU_DEP_1)
	v_fma_f32 v127, 0x3fb8aa3b, v124, -v126
	v_rndne_f32_e32 v131, v126
	v_dual_fmac_f32 v127, 0x32a5705f, v124 :: v_dual_sub_f32 v126, v126, v131
	s_delay_alu instid0(VALU_DEP_1) | instskip(SKIP_1) | instid1(VALU_DEP_2)
	v_add_f32_e32 v126, v126, v127
	v_cvt_i32_f32_e32 v127, v131
	v_exp_f32_e32 v126, v126
	s_waitcnt_depctr 0xfff
	v_ldexp_f32 v126, v126, v127
	s_delay_alu instid0(VALU_DEP_1) | instskip(SKIP_1) | instid1(VALU_DEP_1)
	v_cndmask_b32_e64 v126, 0, v126, s3
	v_cmp_nlt_f32_e64 s3, 0x42b17218, v124
	v_cndmask_b32_e64 v202, 0x7f800000, v126, s3
	ds_bpermute_b32 v124, v224, v202
	v_cndmask_b32_e64 v108, v108, v202, s2
	v_cndmask_b32_e64 v109, v109, v202, s1
	s_waitcnt lgkmcnt(0)
	s_delay_alu instid0(VALU_DEP_2) | instskip(NEXT) | instid1(VALU_DEP_2)
	v_cndmask_b32_e64 v108, v108, v124, s0
	v_cndmask_b32_e32 v109, v109, v124, vcc_lo
	s_delay_alu instid0(VALU_DEP_2) | instskip(NEXT) | instid1(VALU_DEP_2)
	v_cvt_f16_f32_e32 v108, v108
	v_cvt_f16_f32_e32 v109, v109
	s_delay_alu instid0(VALU_DEP_1)
	v_pack_b32_f16 v124, v108, v109
	v_add_nc_u32_e32 v108, 0x3200, v225
	ds_load_2addr_b32 v[108:109], v108 offset0:112 offset1:132
	ds_load_2addr_b32 v[126:127], v171 offset0:52 offset1:72
	ds_load_2addr_b32 v[131:132], v171 offset0:120 offset1:140
	ds_load_2addr_b32 v[133:134], v133 offset0:60 offset1:148
	ds_load_b32 v204, v45 offset:2176
	ds_load_2addr_b32 v[135:136], v135 offset0:76 offset1:164
	ds_load_2addr_b32 v[137:138], v193 offset0:136 offset1:156
	;; [unrolled: 1-line block ×21, first 2 shown]
	ds_load_b32 v195, v49 offset:2176
	s_waitcnt lgkmcnt(26)
	v_perm_b32 v155, v109, v211, 0x5040100
	s_waitcnt lgkmcnt(24)
	v_perm_b32 v156, v132, v127, 0x5040100
	;; [unrolled: 2-line block ×8, first 2 shown]
	s_delay_alu instid0(VALU_DEP_1)
	v_wmma_f16_16x16x16_f16 v[24:31], v[155:162], v[117:124], v[24:31]
	s_waitcnt lgkmcnt(12)
	v_perm_b32 v155, v167, v165, 0x5040100
	s_waitcnt lgkmcnt(10)
	v_perm_b32 v156, v171, v169, 0x5040100
	;; [unrolled: 2-line block ×8, first 2 shown]
	s_delay_alu instid0(VALU_DEP_1)
	v_wmma_f16_16x16x16_f16 v[16:23], v[155:162], v[117:124], v[16:23]
	v_perm_b32 v155, v168, v166, 0x5040100
	v_perm_b32 v156, v172, v170, 0x5040100
	;; [unrolled: 1-line block ×6, first 2 shown]
	s_waitcnt lgkmcnt(0)
	v_perm_b32 v159, v198, v195, 0x5040100
	v_perm_b32 v161, v201, v106, 0x5040100
	s_delay_alu instid0(VALU_DEP_1)
	v_wmma_f16_16x16x16_f16 v[8:15], v[155:162], v[117:124], v[8:15]
	v_perm_b32 v155, v126, v108, 0x5040100
	v_perm_b32 v156, v133, v131, 0x5040100
	;; [unrolled: 1-line block ×8, first 2 shown]
	s_delay_alu instid0(VALU_DEP_1)
	v_wmma_f16_16x16x16_f16 v[0:7], v[155:162], v[117:124], v[0:7]
	v_perm_b32 v155, v109, v211, 0x7060302
	v_perm_b32 v157, v134, v111, 0x7060302
	;; [unrolled: 1-line block ×8, first 2 shown]
	v_dual_mov_b32 v210, v235 :: v_dual_mov_b32 v211, v236
	s_delay_alu instid0(VALU_DEP_2)
	v_wmma_f16_16x16x16_f16 v[24:31], v[155:162], v[117:124], v[24:31] op_sel:[0,0,1]
	v_perm_b32 v157, v193, v213, 0x7060302
	v_perm_b32 v159, v197, v214, 0x7060302
	;; [unrolled: 1-line block ×8, first 2 shown]
	v_dual_mov_b32 v212, v231 :: v_dual_mov_b32 v213, v232
	v_add_f32_e32 v104, v251, v252
	s_delay_alu instid0(VALU_DEP_3)
	v_wmma_f16_16x16x16_f16 v[16:23], v[155:162], v[117:124], v[16:23] op_sel:[0,0,1]
	v_perm_b32 v155, v168, v166, 0x7060302
	v_perm_b32 v156, v172, v170, 0x7060302
	;; [unrolled: 1-line block ×8, first 2 shown]
	v_dual_mov_b32 v194, v226 :: v_dual_mov_b32 v195, v227
	v_add_f32_e32 v104, v189, v104
	s_delay_alu instid0(VALU_DEP_3)
	v_wmma_f16_16x16x16_f16 v[8:15], v[155:162], v[117:124], v[8:15] op_sel:[0,0,1]
	v_perm_b32 v155, v126, v108, 0x7060302
	v_perm_b32 v156, v133, v131, 0x7060302
	v_perm_b32 v158, v135, v137, 0x7060302
	v_perm_b32 v160, v147, v149, 0x7060302
	v_perm_b32 v157, v145, v219, 0x7060302
	v_perm_b32 v159, v151, v220, 0x7060302
	v_perm_b32 v161, v153, v221, 0x7060302
	v_perm_b32 v162, v107, v163, 0x7060302
	v_dual_mov_b32 v126, v239 :: v_dual_mov_b32 v127, v240
	v_dual_mov_b32 v132, v53 :: v_dual_mov_b32 v131, v52
	;; [unrolled: 1-line block ×3, first 2 shown]
	s_delay_alu instid0(VALU_DEP_4)
	v_wmma_f16_16x16x16_f16 v[0:7], v[155:162], v[117:124], v[0:7] op_sel:[0,0,1]
	s_clause 0x7
	scratch_load_b64 v[119:120], off, off offset:100
	scratch_load_b128 v[234:237], off, off offset:108
	scratch_load_b128 v[238:241], off, off offset:124
	;; [unrolled: 1-line block ×6, first 2 shown]
	scratch_load_b64 v[44:45], off, off offset:92
	v_dual_add_f32 v104, v191, v104 :: v_dual_mov_b32 v221, v65
	v_mov_b32_e32 v219, v63
	v_dual_mov_b32 v215, v59 :: v_dual_mov_b32 v220, v64
	s_delay_alu instid0(VALU_DEP_3) | instskip(SKIP_3) | instid1(VALU_DEP_4)
	v_add_f32_e32 v104, v199, v104
	v_dual_mov_b32 v218, v62 :: v_dual_mov_b32 v217, v61
	v_mov_b32_e32 v216, v60
	v_mov_b32_e32 v214, v58
	v_add_f32_e32 v104, v203, v104
	v_mov_b32_e32 v64, v66
	v_dual_mov_b32 v65, v67 :: v_dual_mov_b32 v66, v68
	v_mov_b32_e32 v67, v69
	s_delay_alu instid0(VALU_DEP_4) | instskip(SKIP_3) | instid1(VALU_DEP_4)
	v_add_f32_e32 v104, v205, v104
	v_mov_b32_e32 v68, v70
	v_mov_b32_e32 v69, v71
	;; [unrolled: 1-line block ×3, first 2 shown]
	v_dual_mov_b32 v71, v73 :: v_dual_add_f32 v104, v206, v104
	v_mov_b32_e32 v72, v74
	v_dual_mov_b32 v73, v75 :: v_dual_mov_b32 v74, v76
	s_delay_alu instid0(VALU_DEP_3)
	v_dual_mov_b32 v75, v77 :: v_dual_add_f32 v96, v96, v104
	v_mov_b32_e32 v76, v78
	v_mov_b32_e32 v77, v79
	v_mov_b32_e32 v78, v80
	v_mov_b32_e32 v79, v81
	v_add_f32_e32 v96, v97, v96
	v_mov_b32_e32 v80, v82
	v_dual_mov_b32 v81, v83 :: v_dual_mov_b32 v82, v84
	s_delay_alu instid0(VALU_DEP_3) | instskip(SKIP_3) | instid1(VALU_DEP_4)
	v_dual_mov_b32 v83, v85 :: v_dual_add_f32 v96, v98, v96
	v_mov_b32_e32 v84, v86
	v_mov_b32_e32 v85, v87
	v_dual_mov_b32 v56, v243 :: v_dual_mov_b32 v57, v244
	v_dual_add_f32 v96, v99, v96 :: v_dual_mov_b32 v63, v250
	v_mov_b32_e32 v61, v248
	v_mov_b32_e32 v86, v88
	;; [unrolled: 1-line block ×3, first 2 shown]
	s_delay_alu instid0(VALU_DEP_4)
	v_add_f32_e32 v96, v100, v96
	v_mov_b32_e32 v191, v112
	v_mov_b32_e32 v205, v34
	;; [unrolled: 1-line block ×4, first 2 shown]
	v_dual_add_f32 v96, v101, v96 :: v_dual_mov_b32 v59, v246
	v_mov_b32_e32 v60, v247
	v_mov_b32_e32 v62, v249
	s_waitcnt vmcnt(0)
	s_delay_alu instid0(VALU_DEP_3) | instskip(SKIP_3) | instid1(VALU_DEP_1)
	v_add_f32_e32 v96, v102, v96
	s_barrier
	buffer_gl0_inv
	v_add_f32_e32 v96, v103, v96
	v_add_f32_e32 v96, v113, v96
	s_delay_alu instid0(VALU_DEP_1) | instskip(NEXT) | instid1(VALU_DEP_1)
	v_add_f32_e32 v96, v114, v96
	v_add_f32_e32 v96, v116, v96
	s_delay_alu instid0(VALU_DEP_1) | instskip(SKIP_2) | instid1(VALU_DEP_3)
	v_add_f32_e32 v96, v125, v96
	v_dual_mov_b32 v124, v129 :: v_dual_mov_b32 v125, v130
	v_dual_mov_b32 v130, v40 :: v_dual_mov_b32 v129, v39
	v_dual_add_f32 v96, v128, v96 :: v_dual_mov_b32 v39, v41
	s_delay_alu instid0(VALU_DEP_1) | instskip(NEXT) | instid1(VALU_DEP_2)
	v_add_f32_e32 v96, v139, v96
	v_cmp_lt_i32_e32 vcc_lo, s14, v39
	s_delay_alu instid0(VALU_DEP_2) | instskip(SKIP_1) | instid1(VALU_DEP_1)
	v_add_f32_e32 v96, v141, v96
	s_and_b32 vcc_lo, exec_lo, vcc_lo
	v_add_f32_e32 v96, v142, v96
	s_delay_alu instid0(VALU_DEP_1) | instskip(NEXT) | instid1(VALU_DEP_1)
	v_add_f32_e32 v96, v110, v96
	v_add_f32_e32 v96, v140, v96
	s_delay_alu instid0(VALU_DEP_1) | instskip(NEXT) | instid1(VALU_DEP_1)
	v_add_f32_e32 v96, v143, v96
	;; [unrolled: 3-line block ×4, first 2 shown]
	v_add_f32_e32 v188, v202, v96
	s_delay_alu instid0(VALU_DEP_1)
	v_dual_fmac_f32 v188, v97, v207 :: v_dual_mov_b32 v207, v38
	v_dual_mov_b32 v206, v37 :: v_dual_mov_b32 v37, v46
	v_mov_b32_e32 v38, v47
	s_cbranch_vccnz .LBB24_428
; %bb.429:
	s_clause 0x18
	scratch_load_b32 v169, off, off offset:660
	scratch_load_b32 v193, off, off offset:664
	;; [unrolled: 1-line block ×12, first 2 shown]
	scratch_load_b64 v[107:108], off, off offset:428
	scratch_load_b32 v109, off, off offset:436
	scratch_load_b32 v110, off, off offset:440
	;; [unrolled: 1-line block ×12, first 2 shown]
	v_mbcnt_lo_u32_b32 v112, -1, 0
	v_mov_b32_e32 v186, 32
	s_waitcnt vmcnt(23)
	v_add_nc_u32_e32 v170, 60, v193
	v_add_nc_u32_e32 v171, 56, v193
	;; [unrolled: 1-line block ×5, first 2 shown]
	v_and_b32_e32 v175, 15, v193
	v_add_nc_u32_e32 v176, 40, v193
	v_add_nc_u32_e32 v177, 36, v193
	;; [unrolled: 1-line block ×10, first 2 shown]
.LBB24_430:
	s_lshl_b32 s0, s14, 6
	v_lshlrev_b64 v[96:97], 1, v[37:38]
	s_ashr_i32 s1, s0, 31
	v_lshlrev_b64 v[98:99], 1, v[92:93]
	s_lshl_b64 s[2:3], s[0:1], 1
	v_lshlrev_b64 v[100:101], 1, v[32:33]
	s_add_u32 s2, s15, s2
	s_addc_u32 s3, s26, s3
	s_waitcnt vmcnt(0)
	v_add_co_u32 v104, s2, s2, v34
	s_delay_alu instid0(VALU_DEP_1) | instskip(SKIP_1) | instid1(VALU_DEP_2)
	v_add_co_ci_u32_e64 v105, null, s3, 0, s2
	s_mov_b32 s16, 0
	v_add_co_u32 v102, vcc_lo, v104, v96
	s_delay_alu instid0(VALU_DEP_2)
	v_add_co_ci_u32_e32 v103, vcc_lo, v105, v97, vcc_lo
	v_lshlrev_b64 v[96:97], 1, v[35:36]
	s_mov_b32 s17, s16
	s_mov_b32 s18, s16
	;; [unrolled: 1-line block ×5, first 2 shown]
	v_add_co_u32 v96, vcc_lo, v104, v96
	v_add_co_ci_u32_e32 v97, vcc_lo, v105, v97, vcc_lo
	v_add_co_u32 v98, vcc_lo, v104, v98
	v_add_co_ci_u32_e32 v99, vcc_lo, v105, v99, vcc_lo
	;; [unrolled: 2-line block ×3, first 2 shown]
	s_clause 0x3
	global_load_b32 v102, v[102:103], off
	global_load_b32 v96, v[96:97], off
	;; [unrolled: 1-line block ×4, first 2 shown]
	s_mov_b32 s22, s16
	s_mov_b32 s23, s16
	v_add_nc_u32_e32 v98, 0, v34
	v_dual_mov_b32 v160, s23 :: v_dual_lshlrev_b32 v117, 2, v107
	v_mov_b32_e32 v159, s22
	s_delay_alu instid0(VALU_DEP_3)
	v_dual_mov_b32 v157, s20 :: v_dual_add_nc_u32 v100, v98, v106
	s_mul_hi_u32 s2, s12, s0
	s_mul_i32 s3, s12, s1
	s_mul_i32 s4, s25, s0
	s_add_i32 s3, s2, s3
	s_mul_i32 s2, s12, s0
	s_add_i32 s3, s3, s4
	v_mov_b32_e32 v158, s21
	s_lshl_b64 s[2:3], s[2:3], 2
	v_mov_b32_e32 v156, s19
	s_add_u32 s2, s11, s2
	s_addc_u32 s3, s13, s3
	v_mov_b32_e32 v154, s17
	s_mul_i32 s1, s10, s1
	v_mov_b32_e32 v155, s18
	v_mov_b32_e32 v153, s16
	s_waitcnt vmcnt(3)
	ds_store_b32 v100, v102 offset:17408
	v_add_nc_u32_e32 v100, v98, v109
	s_waitcnt vmcnt(2)
	ds_store_b32 v100, v96 offset:17408
	v_add_nc_u32_e32 v96, v98, v110
	;; [unrolled: 3-line block ×3, first 2 shown]
	s_waitcnt vmcnt(0)
	ds_store_b32 v96, v99 offset:17408
	v_lshlrev_b64 v[96:97], 2, v[44:45]
	s_delay_alu instid0(VALU_DEP_1) | instskip(NEXT) | instid1(VALU_DEP_2)
	v_add_co_u32 v99, vcc_lo, s2, v96
	v_add_co_ci_u32_e32 v101, vcc_lo, s3, v97, vcc_lo
	v_lshlrev_b64 v[96:97], 2, v[119:120]
	s_delay_alu instid0(VALU_DEP_1) | instskip(NEXT) | instid1(VALU_DEP_2)
	v_add_co_u32 v102, vcc_lo, s2, v96
	v_add_co_ci_u32_e32 v103, vcc_lo, s3, v97, vcc_lo
	;; [unrolled: 4-line block ×3, first 2 shown]
	v_add_co_u32 v104, vcc_lo, v102, v96
	v_add_co_ci_u32_e32 v105, vcc_lo, v103, v97, vcc_lo
	s_clause 0x1
	global_load_b128 v[100:103], v[100:101], off
	global_load_b128 v[104:107], v[104:105], off
	v_add3_u32 v99, 0, v111, v117
	s_waitcnt vmcnt(1)
	ds_store_b128 v99, v[100:103]
	v_lshlrev_b64 v[101:102], 2, v[129:130]
	v_add3_u32 v100, 0, v118, v117
	s_delay_alu instid0(VALU_DEP_2) | instskip(SKIP_4) | instid1(VALU_DEP_1)
	v_add_co_u32 v103, vcc_lo, s2, v101
	s_waitcnt vmcnt(0)
	ds_store_b128 v100, v[104:107]
	v_add_co_ci_u32_e32 v104, vcc_lo, s3, v102, vcc_lo
	v_lshlrev_b64 v[101:102], 2, v[131:132]
	v_add_co_u32 v101, vcc_lo, s2, v101
	s_delay_alu instid0(VALU_DEP_2) | instskip(SKIP_2) | instid1(VALU_DEP_4)
	v_add_co_ci_u32_e32 v105, vcc_lo, s3, v102, vcc_lo
	v_add_co_u32 v102, vcc_lo, v103, v96
	v_add_co_ci_u32_e32 v103, vcc_lo, v104, v97, vcc_lo
	v_add_co_u32 v106, vcc_lo, v101, v96
	s_delay_alu instid0(VALU_DEP_4)
	v_add_co_ci_u32_e32 v107, vcc_lo, v105, v97, vcc_lo
	s_clause 0x1
	global_load_b128 v[102:105], v[102:103], off
	global_load_b128 v[106:109], v[106:107], off
	v_add3_u32 v101, 0, v116, v117
	s_waitcnt vmcnt(1)
	ds_store_b128 v101, v[102:105]
	v_lshlrev_b64 v[103:104], 2, v[135:136]
	v_add3_u32 v102, 0, v133, v117
	s_delay_alu instid0(VALU_DEP_2) | instskip(SKIP_4) | instid1(VALU_DEP_1)
	v_add_co_u32 v105, vcc_lo, s2, v103
	s_waitcnt vmcnt(0)
	ds_store_b128 v102, v[106:109]
	v_add_co_ci_u32_e32 v106, vcc_lo, s3, v104, vcc_lo
	v_lshlrev_b64 v[103:104], 2, v[42:43]
	v_add_co_u32 v103, vcc_lo, s2, v103
	s_delay_alu instid0(VALU_DEP_2) | instskip(SKIP_2) | instid1(VALU_DEP_4)
	v_add_co_ci_u32_e32 v107, vcc_lo, s3, v104, vcc_lo
	v_add_co_u32 v104, vcc_lo, v105, v96
	v_add_co_ci_u32_e32 v105, vcc_lo, v106, v97, vcc_lo
	v_add_co_u32 v108, vcc_lo, v103, v96
	s_delay_alu instid0(VALU_DEP_4)
	;; [unrolled: 22-line block ×3, first 2 shown]
	v_add_co_ci_u32_e32 v114, vcc_lo, v109, v97, vcc_lo
	s_clause 0x1
	global_load_b128 v[107:110], v[107:108], off
	global_load_b128 v[113:116], v[113:114], off
	v_add3_u32 v106, 0, v88, v117
	v_add3_u32 v104, 0, v89, v117
	v_cmp_lt_i32_e32 vcc_lo, v128, v186
	s_mul_hi_u32 s2, s10, s0
	s_mul_i32 s3, s5, s0
	s_add_i32 s1, s2, s1
	s_mul_i32 s0, s10, s0
	s_add_i32 s1, s1, s3
	v_cmp_eq_u32_e64 s2, 1, v191
	s_lshl_b64 s[0:1], s[0:1], 2
	s_delay_alu instid0(SALU_CYCLE_1)
	s_add_u32 s0, s6, s0
	s_addc_u32 s1, s7, s1
	s_waitcnt vmcnt(1)
	ds_store_b128 v106, v[107:110]
	s_waitcnt vmcnt(0)
	ds_store_b128 v104, v[113:116]
	s_waitcnt lgkmcnt(0)
	s_barrier
	buffer_gl0_inv
	ds_load_b128 v[113:116], v196
	ds_load_b128 v[117:120], v196 offset:16
	ds_load_b128 v[129:132], v196 offset:4352
	ds_load_b128 v[133:136], v196 offset:4368
	ds_load_b128 v[137:140], v196 offset:8704
	ds_load_b128 v[141:144], v196 offset:8720
	ds_load_b128 v[145:148], v196 offset:13056
	ds_load_b128 v[149:152], v196 offset:13072
	ds_load_b128 v[88:91], v196 offset:32
	ds_load_b128 v[92:95], v196 offset:48
	s_waitcnt lgkmcnt(8)
	v_wmma_f32_16x16x16_f16 v[161:168], v[113:120], v[56:63], v[153:160]
	s_waitcnt lgkmcnt(6)
	v_wmma_f32_16x16x16_f16 v[113:120], v[129:136], v[56:63], v[153:160]
	;; [unrolled: 2-line block ×5, first 2 shown]
	ds_load_b128 v[88:91], v196 offset:4384
	ds_load_b128 v[92:95], v196 offset:4400
	s_waitcnt lgkmcnt(0)
	v_wmma_f32_16x16x16_f16 v[113:120], v[88:95], v[64:71], v[113:120]
	ds_load_b128 v[88:91], v196 offset:8736
	ds_load_b128 v[92:95], v196 offset:8752
	s_waitcnt lgkmcnt(0)
	v_wmma_f32_16x16x16_f16 v[129:136], v[88:95], v[64:71], v[129:136]
	;; [unrolled: 4-line block ×14, first 2 shown]
	ds_load_b128 v[64:67], v196 offset:13184
	ds_load_b128 v[68:71], v196 offset:13200
	;; [unrolled: 1-line block ×4, first 2 shown]
	s_waitcnt lgkmcnt(2)
	v_wmma_f32_16x16x16_f16 v[153:160], v[64:71], v[214:221], v[153:160]
	s_waitcnt lgkmcnt(0)
	v_wmma_f32_16x16x16_f16 v[161:168], v[56:63], v[234:241], v[161:168]
	ds_load_b128 v[56:59], v196 offset:4512
	ds_load_b128 v[60:63], v196 offset:4528
	s_waitcnt lgkmcnt(0)
	v_wmma_f32_16x16x16_f16 v[113:120], v[56:63], v[234:241], v[113:120]
	ds_load_b128 v[56:59], v196 offset:8864
	ds_load_b128 v[60:63], v196 offset:8880
	;; [unrolled: 4-line block ×3, first 2 shown]
	ds_load_b128 v[32:35], v196 offset:192
	ds_load_b128 v[36:39], v196 offset:208
	s_waitcnt lgkmcnt(2)
	v_wmma_f32_16x16x16_f16 v[153:160], v[56:63], v[234:241], v[153:160]
	s_waitcnt lgkmcnt(0)
	v_wmma_f32_16x16x16_f16 v[161:168], v[32:39], v[226:233], v[161:168]
	ds_load_b128 v[32:35], v196 offset:4544
	ds_load_b128 v[36:39], v196 offset:4560
	s_waitcnt lgkmcnt(0)
	v_wmma_f32_16x16x16_f16 v[113:120], v[32:39], v[226:233], v[113:120]
	ds_load_b128 v[32:35], v196 offset:8896
	ds_load_b128 v[36:39], v196 offset:8912
	;; [unrolled: 4-line block ×7, first 2 shown]
	s_waitcnt lgkmcnt(0)
	s_barrier
	buffer_gl0_inv
	v_wmma_f32_16x16x16_f16 v[153:160], v[32:39], v[48:55], v[153:160]
	v_lshlrev_b32_e32 v32, 1, v191
	s_delay_alu instid0(VALU_DEP_1)
	v_add3_u32 v40, 0, v40, v32
	ds_load_u16 v32, v40 offset:17408
	ds_load_u16 v33, v40 offset:17412
	;; [unrolled: 1-line block ×8, first 2 shown]
	s_waitcnt lgkmcnt(7)
	v_cvt_f32_f16_e32 v32, v32
	s_waitcnt lgkmcnt(6)
	v_cvt_f32_f16_e32 v41, v33
	;; [unrolled: 2-line block ×5, first 2 shown]
	v_dual_add_f32 v33, v161, v32 :: v_dual_add_f32 v32, v162, v41
	ds_load_u16 v41, v40 offset:17440
	ds_load_u16 v42, v40 offset:17444
	;; [unrolled: 1-line block ×8, first 2 shown]
	s_waitcnt lgkmcnt(9)
	v_cvt_f32_f16_e32 v38, v38
	v_cvt_f32_f16_e32 v37, v37
	v_add_f32_e32 v35, v164, v35
	s_waitcnt lgkmcnt(8)
	v_cvt_f32_f16_e32 v39, v39
	s_delay_alu instid0(VALU_DEP_3) | instskip(NEXT) | instid1(VALU_DEP_2)
	v_add_f32_e32 v37, v166, v37
	v_add_f32_e32 v39, v168, v39
	s_waitcnt lgkmcnt(7)
	v_cvt_f32_f16_e32 v41, v41
	s_waitcnt lgkmcnt(6)
	v_cvt_f32_f16_e32 v42, v42
	;; [unrolled: 2-line block ×7, first 2 shown]
	v_add_f32_e32 v63, v115, v43
	s_waitcnt lgkmcnt(0)
	v_cvt_f32_f16_e32 v48, v48
	v_dual_add_f32 v34, v163, v34 :: v_dual_add_f32 v61, v117, v45
	v_dual_add_f32 v36, v165, v36 :: v_dual_add_f32 v59, v119, v47
	;; [unrolled: 1-line block ×3, first 2 shown]
	v_add_f32_e32 v62, v116, v44
	v_add_f32_e32 v60, v118, v46
	;; [unrolled: 1-line block ×3, first 2 shown]
	ds_load_u16 v41, v40 offset:17472
	ds_load_u16 v42, v40 offset:17476
	;; [unrolled: 1-line block ×8, first 2 shown]
	s_waitcnt lgkmcnt(7)
	v_cvt_f32_f16_e32 v41, v41
	s_waitcnt lgkmcnt(6)
	v_cvt_f32_f16_e32 v42, v42
	;; [unrolled: 2-line block ×7, first 2 shown]
	v_add_f32_e32 v38, v167, v38
	v_dual_add_f32 v56, v129, v41 :: v_dual_add_f32 v57, v130, v42
	v_dual_add_f32 v55, v131, v43 :: v_dual_add_f32 v54, v132, v44
	;; [unrolled: 1-line block ×3, first 2 shown]
	v_add_f32_e32 v51, v135, v47
	ds_load_u16 v41, v40 offset:17504
	ds_load_u16 v42, v40 offset:17508
	;; [unrolled: 1-line block ×8, first 2 shown]
	s_waitcnt lgkmcnt(8)
	v_cvt_f32_f16_e32 v48, v48
	s_delay_alu instid0(VALU_DEP_1)
	v_add_f32_e32 v50, v136, v48
	s_waitcnt lgkmcnt(7)
	v_cvt_f32_f16_e32 v41, v41
	s_waitcnt lgkmcnt(6)
	v_cvt_f32_f16_e32 v42, v42
	;; [unrolled: 2-line block ×6, first 2 shown]
	v_dual_add_f32 v48, v153, v41 :: v_dual_add_f32 v41, 0x40051340, v32
	s_waitcnt lgkmcnt(0)
	v_cvt_f32_f16_e32 v40, v40
	v_dual_add_f32 v49, v154, v42 :: v_dual_add_f32 v46, v156, v44
	v_add_f32_e32 v44, v158, v66
	v_add_f32_e32 v66, 0x40051340, v35
	s_delay_alu instid0(VALU_DEP_4) | instskip(SKIP_4) | instid1(VALU_DEP_4)
	v_add_f32_e32 v42, v160, v40
	v_add_f32_e32 v40, 0x40051340, v33
	v_cvt_f32_f16_e32 v67, v47
	v_add_f32_e32 v47, v155, v43
	v_add_f32_e32 v45, v157, v45
	v_max3_f32 v40, v192, v40, v41
	v_add_f32_e32 v41, 0x40051340, v34
	v_add_f32_e32 v43, v159, v67
	s_delay_alu instid0(VALU_DEP_2) | instskip(SKIP_1) | instid1(VALU_DEP_1)
	v_max3_f32 v40, v40, v41, v66
	v_dual_add_f32 v41, 0x40051340, v36 :: v_dual_add_f32 v66, 0x40051340, v37
	v_max3_f32 v40, v40, v41, v66
	v_dual_add_f32 v41, 0x40051340, v38 :: v_dual_add_f32 v66, 0x40051340, v39
	s_delay_alu instid0(VALU_DEP_1) | instskip(SKIP_1) | instid1(VALU_DEP_1)
	v_max3_f32 v40, v40, v41, v66
	v_dual_add_f32 v41, 0x40051340, v64 :: v_dual_add_f32 v66, 0x40051340, v65
	v_max3_f32 v40, v40, v41, v66
	v_dual_add_f32 v41, 0x40051340, v63 :: v_dual_add_f32 v66, 0x40051340, v62
	s_delay_alu instid0(VALU_DEP_1) | instskip(SKIP_1) | instid1(VALU_DEP_1)
	;; [unrolled: 5-line block ×7, first 2 shown]
	v_max3_f32 v40, v40, v41, v66
	v_cndmask_b32_e32 v41, v112, v128, vcc_lo
	v_lshlrev_b32_e32 v41, 2, v41
	ds_bpermute_b32 v66, v41, v40
	s_waitcnt lgkmcnt(0)
	v_max_f32_e32 v66, v66, v66
	s_delay_alu instid0(VALU_DEP_1) | instskip(NEXT) | instid1(VALU_DEP_1)
	v_max_f32_e32 v40, v40, v66
	v_sub_f32_e32 v66, v192, v40
	v_sub_f32_e32 v33, v33, v40
	s_delay_alu instid0(VALU_DEP_2) | instskip(SKIP_1) | instid1(VALU_DEP_2)
	v_mul_f32_e32 v67, 0x3fb8aa3b, v66
	v_cmp_ngt_f32_e32 vcc_lo, 0xc2ce8ed0, v66
	v_fma_f32 v68, 0x3fb8aa3b, v66, -v67
	v_rndne_f32_e32 v69, v67
	s_delay_alu instid0(VALU_DEP_1) | instskip(NEXT) | instid1(VALU_DEP_1)
	v_dual_fmac_f32 v68, 0x32a5705f, v66 :: v_dual_sub_f32 v67, v67, v69
	v_add_f32_e32 v67, v67, v68
	v_cvt_i32_f32_e32 v68, v69
	s_delay_alu instid0(VALU_DEP_2) | instskip(SKIP_2) | instid1(VALU_DEP_1)
	v_exp_f32_e32 v67, v67
	s_waitcnt_depctr 0xfff
	v_ldexp_f32 v67, v67, v68
	v_cndmask_b32_e32 v67, 0, v67, vcc_lo
	v_cmp_nlt_f32_e32 vcc_lo, 0x42b17218, v66
	s_delay_alu instid0(VALU_DEP_2) | instskip(SKIP_1) | instid1(VALU_DEP_2)
	v_cndmask_b32_e32 v67, 0x7f800000, v67, vcc_lo
	v_cmp_le_f32_e32 vcc_lo, 0xc1a00000, v66
	v_cndmask_b32_e32 v66, 0, v67, vcc_lo
	s_delay_alu instid0(VALU_DEP_1) | instskip(NEXT) | instid1(VALU_DEP_1)
	v_cvt_f16_f32_e32 v67, v66
	v_pk_mul_f16 v24, v67, v24 op_sel_hi:[0,1]
	v_pk_mul_f16 v25, v67, v25 op_sel_hi:[0,1]
	;; [unrolled: 1-line block ×32, first 2 shown]
	v_lshlrev_b64 v[67:68], 2, v[126:127]
	s_delay_alu instid0(VALU_DEP_1) | instskip(NEXT) | instid1(VALU_DEP_2)
	v_add_co_u32 v69, vcc_lo, s0, v67
	v_add_co_ci_u32_e32 v70, vcc_lo, s1, v68, vcc_lo
	v_lshlrev_b64 v[67:68], 2, v[124:125]
	s_delay_alu instid0(VALU_DEP_1) | instskip(NEXT) | instid1(VALU_DEP_2)
	v_add_co_u32 v71, vcc_lo, s0, v67
	v_add_co_ci_u32_e32 v72, vcc_lo, s1, v68, vcc_lo
	v_add_co_u32 v67, vcc_lo, v69, v96
	v_add_co_ci_u32_e32 v68, vcc_lo, v70, v97, vcc_lo
	s_delay_alu instid0(VALU_DEP_4) | instskip(NEXT) | instid1(VALU_DEP_4)
	v_add_co_u32 v71, vcc_lo, v71, v96
	v_add_co_ci_u32_e32 v72, vcc_lo, v72, v97, vcc_lo
	s_clause 0x1
	global_load_b128 v[67:70], v[67:68], off
	global_load_b128 v[71:74], v[71:72], off
	s_waitcnt vmcnt(1)
	ds_store_b128 v99, v[67:70]
	s_waitcnt vmcnt(0)
	ds_store_b128 v100, v[71:74]
	v_lshlrev_b64 v[67:68], 2, v[194:195]
	s_delay_alu instid0(VALU_DEP_1) | instskip(NEXT) | instid1(VALU_DEP_2)
	v_add_co_u32 v69, vcc_lo, s0, v67
	v_add_co_ci_u32_e32 v70, vcc_lo, s1, v68, vcc_lo
	v_lshlrev_b64 v[67:68], 2, v[206:207]
	s_delay_alu instid0(VALU_DEP_1) | instskip(NEXT) | instid1(VALU_DEP_2)
	v_add_co_u32 v71, vcc_lo, s0, v67
	v_add_co_ci_u32_e32 v72, vcc_lo, s1, v68, vcc_lo
	v_add_co_u32 v67, vcc_lo, v69, v96
	v_add_co_ci_u32_e32 v68, vcc_lo, v70, v97, vcc_lo
	s_delay_alu instid0(VALU_DEP_4) | instskip(NEXT) | instid1(VALU_DEP_4)
	v_add_co_u32 v71, vcc_lo, v71, v96
	v_add_co_ci_u32_e32 v72, vcc_lo, v72, v97, vcc_lo
	s_clause 0x1
	global_load_b128 v[67:70], v[67:68], off
	global_load_b128 v[71:74], v[71:72], off
	s_waitcnt vmcnt(1)
	ds_store_b128 v101, v[67:70]
	s_waitcnt vmcnt(0)
	ds_store_b128 v102, v[71:74]
	;; [unrolled: 20-line block ×3, first 2 shown]
	v_lshlrev_b64 v[67:68], 2, v[210:211]
	s_delay_alu instid0(VALU_DEP_1) | instskip(NEXT) | instid1(VALU_DEP_2)
	v_add_co_u32 v69, vcc_lo, s0, v67
	v_add_co_ci_u32_e32 v70, vcc_lo, s1, v68, vcc_lo
	v_lshlrev_b64 v[67:68], 2, v[253:254]
	s_delay_alu instid0(VALU_DEP_1) | instskip(NEXT) | instid1(VALU_DEP_2)
	v_add_co_u32 v71, vcc_lo, s0, v67
	v_add_co_ci_u32_e32 v72, vcc_lo, s1, v68, vcc_lo
	v_add_co_u32 v67, vcc_lo, v69, v96
	v_add_co_ci_u32_e32 v68, vcc_lo, v70, v97, vcc_lo
	s_delay_alu instid0(VALU_DEP_4) | instskip(NEXT) | instid1(VALU_DEP_4)
	v_add_co_u32 v71, vcc_lo, v71, v96
	v_add_co_ci_u32_e32 v72, vcc_lo, v72, v97, vcc_lo
	s_clause 0x1
	global_load_b128 v[67:70], v[67:68], off
	global_load_b128 v[71:74], v[71:72], off
	v_cmp_ngt_f32_e32 vcc_lo, 0xc2ce8ed0, v33
	v_cmp_eq_u32_e64 s0, 0, v205
	s_waitcnt vmcnt(1)
	ds_store_b128 v106, v[67:70]
	s_waitcnt vmcnt(0)
	ds_store_b128 v104, v[71:74]
	v_dual_mul_f32 v67, 0x3fb8aa3b, v33 :: v_dual_sub_f32 v32, v32, v40
	v_sub_f32_e32 v34, v34, v40
	v_sub_f32_e32 v35, v35, v40
	;; [unrolled: 1-line block ×3, first 2 shown]
	s_delay_alu instid0(VALU_DEP_4) | instskip(SKIP_3) | instid1(VALU_DEP_4)
	v_fma_f32 v68, 0x3fb8aa3b, v33, -v67
	v_rndne_f32_e32 v69, v67
	v_cmp_ngt_f32_e64 s1, 0xc2ce8ed0, v32
	v_sub_f32_e32 v36, v36, v40
	v_dual_sub_f32 v39, v39, v40 :: v_dual_fmac_f32 v68, 0x32a5705f, v33
	s_delay_alu instid0(VALU_DEP_4)
	v_sub_f32_e32 v67, v67, v69
	s_waitcnt lgkmcnt(0)
	s_barrier
	buffer_gl0_inv
	v_sub_f32_e32 v49, v49, v40
	v_add_f32_e32 v67, v67, v68
	v_cvt_i32_f32_e32 v68, v69
	v_sub_f32_e32 v55, v55, v40
	v_sub_f32_e32 v54, v54, v40
	;; [unrolled: 1-line block ×3, first 2 shown]
	v_exp_f32_e32 v67, v67
	v_sub_f32_e32 v45, v45, v40
	v_sub_f32_e32 v43, v43, v40
	v_sub_f32_e32 v38, v38, v40
	v_sub_f32_e32 v56, v56, v40
	v_sub_f32_e32 v42, v42, v40
	v_sub_f32_e32 v52, v52, v40
	v_sub_f32_e32 v48, v48, v40
	v_sub_f32_e32 v46, v46, v40
	v_sub_f32_e32 v44, v44, v40
	v_ldexp_f32 v67, v67, v68
	s_delay_alu instid0(VALU_DEP_1) | instskip(SKIP_1) | instid1(VALU_DEP_2)
	v_dual_mul_f32 v68, 0x3fb8aa3b, v32 :: v_dual_cndmask_b32 v67, 0, v67
	v_cmp_nlt_f32_e32 vcc_lo, 0x42b17218, v33
	v_fma_f32 v69, 0x3fb8aa3b, v32, -v68
	v_rndne_f32_e32 v70, v68
	s_delay_alu instid0(VALU_DEP_4) | instskip(NEXT) | instid1(VALU_DEP_2)
	v_cndmask_b32_e32 v67, 0x7f800000, v67, vcc_lo
	v_dual_fmac_f32 v69, 0x32a5705f, v32 :: v_dual_sub_f32 v68, v68, v70
	v_cmp_eq_u32_e32 vcc_lo, 1, v205
	v_sub_f32_e32 v51, v51, v40
	ds_bpermute_b32 v33, v41, v67
	v_dual_sub_f32 v57, v57, v40 :: v_dual_add_f32 v68, v68, v69
	v_cvt_i32_f32_e32 v69, v70
	v_sub_f32_e32 v53, v53, v40
	s_delay_alu instid0(VALU_DEP_3) | instskip(SKIP_2) | instid1(VALU_DEP_1)
	v_exp_f32_e32 v68, v68
	s_waitcnt_depctr 0xfff
	v_ldexp_f32 v68, v68, v69
	v_cndmask_b32_e64 v68, 0, v68, s1
	v_cmp_nlt_f32_e64 s1, 0x42b17218, v32
	s_waitcnt lgkmcnt(0)
	v_cndmask_b32_e64 v32, v67, v33, s0
	v_cndmask_b32_e32 v33, v67, v33, vcc_lo
	s_delay_alu instid0(VALU_DEP_3)
	v_cndmask_b32_e64 v68, 0x7f800000, v68, s1
	v_cmp_eq_u32_e64 s1, 0, v191
	ds_bpermute_b32 v69, v41, v68
	v_cndmask_b32_e64 v70, v32, v68, s1
	v_cndmask_b32_e64 v71, v33, v68, s2
	v_cvt_f16_f32_e32 v32, v32
	v_cvt_f16_f32_e32 v33, v33
	s_delay_alu instid0(VALU_DEP_1) | instskip(SKIP_3) | instid1(VALU_DEP_2)
	v_pack_b32_f16 v32, v32, v33
	s_waitcnt lgkmcnt(0)
	v_cndmask_b32_e64 v70, v70, v69, s0
	v_cndmask_b32_e32 v71, v71, v69, vcc_lo
	v_cvt_f16_f32_e32 v69, v70
	s_delay_alu instid0(VALU_DEP_2) | instskip(NEXT) | instid1(VALU_DEP_1)
	v_cvt_f16_f32_e32 v72, v71
	v_pack_b32_f16 v33, v69, v72
	v_mul_f32_e32 v69, 0x3fb8aa3b, v34
	s_delay_alu instid0(VALU_DEP_1) | instskip(SKIP_1) | instid1(VALU_DEP_1)
	v_fma_f32 v72, 0x3fb8aa3b, v34, -v69
	v_rndne_f32_e32 v73, v69
	v_dual_sub_f32 v69, v69, v73 :: v_dual_fmac_f32 v72, 0x32a5705f, v34
	v_cmp_ngt_f32_e64 s3, 0xc2ce8ed0, v34
	s_delay_alu instid0(VALU_DEP_2) | instskip(SKIP_1) | instid1(VALU_DEP_2)
	v_add_f32_e32 v69, v69, v72
	v_cvt_i32_f32_e32 v72, v73
	v_exp_f32_e32 v69, v69
	s_waitcnt_depctr 0xfff
	v_ldexp_f32 v69, v69, v72
	s_delay_alu instid0(VALU_DEP_1) | instskip(SKIP_1) | instid1(VALU_DEP_1)
	v_cndmask_b32_e64 v69, 0, v69, s3
	v_cmp_nlt_f32_e64 s3, 0x42b17218, v34
	v_cndmask_b32_e64 v69, 0x7f800000, v69, s3
	s_delay_alu instid0(VALU_DEP_1)
	v_cndmask_b32_e64 v34, v70, v69, s1
	v_cndmask_b32_e64 v70, v71, v69, s2
	ds_bpermute_b32 v71, v41, v69
	s_waitcnt lgkmcnt(0)
	v_cndmask_b32_e64 v72, v34, v71, s0
	v_cndmask_b32_e32 v71, v70, v71, vcc_lo
	s_delay_alu instid0(VALU_DEP_2) | instskip(NEXT) | instid1(VALU_DEP_2)
	v_cvt_f16_f32_e32 v34, v72
	v_cvt_f16_f32_e32 v70, v71
	s_delay_alu instid0(VALU_DEP_1) | instskip(SKIP_1) | instid1(VALU_DEP_1)
	v_pack_b32_f16 v34, v34, v70
	v_mul_f32_e32 v70, 0x3fb8aa3b, v35
	v_fma_f32 v73, 0x3fb8aa3b, v35, -v70
	v_rndne_f32_e32 v74, v70
	s_delay_alu instid0(VALU_DEP_1) | instskip(NEXT) | instid1(VALU_DEP_1)
	v_dual_fmac_f32 v73, 0x32a5705f, v35 :: v_dual_sub_f32 v70, v70, v74
	v_add_f32_e32 v70, v70, v73
	v_cvt_i32_f32_e32 v73, v74
	v_cmp_ngt_f32_e64 s3, 0xc2ce8ed0, v35
	s_delay_alu instid0(VALU_DEP_3) | instskip(SKIP_2) | instid1(VALU_DEP_1)
	v_exp_f32_e32 v70, v70
	s_waitcnt_depctr 0xfff
	v_ldexp_f32 v70, v70, v73
	v_cndmask_b32_e64 v70, 0, v70, s3
	v_cmp_nlt_f32_e64 s3, 0x42b17218, v35
	s_delay_alu instid0(VALU_DEP_1) | instskip(SKIP_1) | instid1(VALU_DEP_2)
	v_cndmask_b32_e64 v70, 0x7f800000, v70, s3
	v_cmp_ngt_f32_e64 s3, 0xc2ce8ed0, v36
	v_cndmask_b32_e64 v35, v72, v70, s1
	ds_bpermute_b32 v72, v41, v70
	v_cndmask_b32_e64 v71, v71, v70, s2
	s_waitcnt lgkmcnt(0)
	v_cndmask_b32_e64 v73, v35, v72, s0
	s_delay_alu instid0(VALU_DEP_2) | instskip(NEXT) | instid1(VALU_DEP_2)
	v_cndmask_b32_e32 v72, v71, v72, vcc_lo
	v_cvt_f16_f32_e32 v35, v73
	s_delay_alu instid0(VALU_DEP_2) | instskip(NEXT) | instid1(VALU_DEP_1)
	v_cvt_f16_f32_e32 v71, v72
	v_pack_b32_f16 v35, v35, v71
	v_mul_f32_e32 v71, 0x3fb8aa3b, v36
	s_delay_alu instid0(VALU_DEP_1) | instskip(SKIP_1) | instid1(VALU_DEP_1)
	v_fma_f32 v74, 0x3fb8aa3b, v36, -v71
	v_rndne_f32_e32 v75, v71
	v_dual_fmac_f32 v74, 0x32a5705f, v36 :: v_dual_sub_f32 v71, v71, v75
	s_delay_alu instid0(VALU_DEP_1) | instskip(SKIP_1) | instid1(VALU_DEP_2)
	v_add_f32_e32 v71, v71, v74
	v_cvt_i32_f32_e32 v74, v75
	v_exp_f32_e32 v71, v71
	s_waitcnt_depctr 0xfff
	v_ldexp_f32 v71, v71, v74
	s_delay_alu instid0(VALU_DEP_1) | instskip(SKIP_1) | instid1(VALU_DEP_1)
	v_cndmask_b32_e64 v71, 0, v71, s3
	v_cmp_nlt_f32_e64 s3, 0x42b17218, v36
	v_cndmask_b32_e64 v71, 0x7f800000, v71, s3
	s_delay_alu instid0(VALU_DEP_1) | instskip(SKIP_4) | instid1(VALU_DEP_2)
	v_cndmask_b32_e64 v36, v73, v71, s1
	ds_bpermute_b32 v73, v41, v71
	v_cndmask_b32_e64 v72, v72, v71, s2
	s_waitcnt lgkmcnt(0)
	v_cndmask_b32_e64 v74, v36, v73, s0
	v_cndmask_b32_e32 v73, v72, v73, vcc_lo
	s_delay_alu instid0(VALU_DEP_2) | instskip(NEXT) | instid1(VALU_DEP_2)
	v_cvt_f16_f32_e32 v36, v74
	v_cvt_f16_f32_e32 v72, v73
	s_delay_alu instid0(VALU_DEP_1) | instskip(SKIP_1) | instid1(VALU_DEP_1)
	v_pack_b32_f16 v36, v36, v72
	v_mul_f32_e32 v72, 0x3fb8aa3b, v37
	v_fma_f32 v75, 0x3fb8aa3b, v37, -v72
	v_rndne_f32_e32 v76, v72
	s_delay_alu instid0(VALU_DEP_1) | instskip(NEXT) | instid1(VALU_DEP_1)
	v_dual_fmac_f32 v75, 0x32a5705f, v37 :: v_dual_sub_f32 v72, v72, v76
	v_add_f32_e32 v72, v72, v75
	v_cvt_i32_f32_e32 v75, v76
	v_cmp_ngt_f32_e64 s3, 0xc2ce8ed0, v37
	s_delay_alu instid0(VALU_DEP_3) | instskip(SKIP_2) | instid1(VALU_DEP_1)
	v_exp_f32_e32 v72, v72
	s_waitcnt_depctr 0xfff
	v_ldexp_f32 v72, v72, v75
	v_cndmask_b32_e64 v72, 0, v72, s3
	v_cmp_nlt_f32_e64 s3, 0x42b17218, v37
	s_delay_alu instid0(VALU_DEP_1) | instskip(SKIP_1) | instid1(VALU_DEP_2)
	v_cndmask_b32_e64 v72, 0x7f800000, v72, s3
	v_cmp_ngt_f32_e64 s3, 0xc2ce8ed0, v38
	v_cndmask_b32_e64 v37, v74, v72, s1
	ds_bpermute_b32 v74, v41, v72
	v_cndmask_b32_e64 v73, v73, v72, s2
	s_waitcnt lgkmcnt(0)
	v_cndmask_b32_e64 v75, v37, v74, s0
	s_delay_alu instid0(VALU_DEP_2) | instskip(NEXT) | instid1(VALU_DEP_2)
	v_cndmask_b32_e32 v74, v73, v74, vcc_lo
	v_cvt_f16_f32_e32 v37, v75
	s_delay_alu instid0(VALU_DEP_2) | instskip(NEXT) | instid1(VALU_DEP_1)
	v_cvt_f16_f32_e32 v73, v74
	v_pack_b32_f16 v37, v37, v73
	v_mul_f32_e32 v73, 0x3fb8aa3b, v38
	s_delay_alu instid0(VALU_DEP_1) | instskip(SKIP_1) | instid1(VALU_DEP_1)
	v_fma_f32 v76, 0x3fb8aa3b, v38, -v73
	v_rndne_f32_e32 v77, v73
	v_dual_fmac_f32 v76, 0x32a5705f, v38 :: v_dual_sub_f32 v73, v73, v77
	s_delay_alu instid0(VALU_DEP_1) | instskip(SKIP_1) | instid1(VALU_DEP_2)
	v_add_f32_e32 v73, v73, v76
	v_cvt_i32_f32_e32 v76, v77
	v_exp_f32_e32 v73, v73
	s_waitcnt_depctr 0xfff
	v_ldexp_f32 v73, v73, v76
	s_delay_alu instid0(VALU_DEP_1) | instskip(SKIP_1) | instid1(VALU_DEP_1)
	v_cndmask_b32_e64 v73, 0, v73, s3
	v_cmp_nlt_f32_e64 s3, 0x42b17218, v38
	v_cndmask_b32_e64 v73, 0x7f800000, v73, s3
	s_delay_alu instid0(VALU_DEP_1) | instskip(SKIP_4) | instid1(VALU_DEP_2)
	v_cndmask_b32_e64 v38, v75, v73, s1
	ds_bpermute_b32 v75, v41, v73
	v_cndmask_b32_e64 v74, v74, v73, s2
	s_waitcnt lgkmcnt(0)
	v_cndmask_b32_e64 v76, v38, v75, s0
	v_cndmask_b32_e32 v75, v74, v75, vcc_lo
	s_delay_alu instid0(VALU_DEP_2) | instskip(NEXT) | instid1(VALU_DEP_2)
	v_cvt_f16_f32_e32 v38, v76
	v_cvt_f16_f32_e32 v74, v75
	s_delay_alu instid0(VALU_DEP_1) | instskip(SKIP_1) | instid1(VALU_DEP_1)
	v_pack_b32_f16 v38, v38, v74
	v_mul_f32_e32 v74, 0x3fb8aa3b, v39
	v_fma_f32 v77, 0x3fb8aa3b, v39, -v74
	v_rndne_f32_e32 v78, v74
	s_delay_alu instid0(VALU_DEP_1) | instskip(NEXT) | instid1(VALU_DEP_1)
	v_dual_fmac_f32 v77, 0x32a5705f, v39 :: v_dual_sub_f32 v74, v74, v78
	v_add_f32_e32 v74, v74, v77
	v_cvt_i32_f32_e32 v77, v78
	v_cmp_ngt_f32_e64 s3, 0xc2ce8ed0, v39
	v_lshl_add_u32 v78, v122, 2, 0
	s_delay_alu instid0(VALU_DEP_4) | instskip(NEXT) | instid1(VALU_DEP_1)
	v_exp_f32_e32 v74, v74
	v_add_nc_u32_e32 v124, 0x1000, v78
	s_waitcnt_depctr 0xfff
	v_ldexp_f32 v74, v74, v77
	v_lshl_add_u32 v77, v121, 2, 0
	s_delay_alu instid0(VALU_DEP_2) | instskip(SKIP_1) | instid1(VALU_DEP_3)
	v_cndmask_b32_e64 v74, 0, v74, s3
	v_cmp_nlt_f32_e64 s3, 0x42b17218, v39
	v_add_nc_u32_e32 v126, 0x1000, v77
	s_delay_alu instid0(VALU_DEP_2) | instskip(NEXT) | instid1(VALU_DEP_1)
	v_cndmask_b32_e64 v74, 0x7f800000, v74, s3
	v_cndmask_b32_e64 v39, v76, v74, s1
	ds_bpermute_b32 v76, v41, v74
	v_cndmask_b32_e64 v75, v75, v74, s2
	s_waitcnt lgkmcnt(0)
	v_cndmask_b32_e64 v39, v39, v76, s0
	s_delay_alu instid0(VALU_DEP_2)
	v_cndmask_b32_e32 v75, v75, v76, vcc_lo
	v_lshl_add_u32 v76, v185, 2, 0
	ds_load_2addr_b32 v[90:91], v76 offset1:16
	ds_load_2addr_b32 v[92:93], v76 offset0:68 offset1:84
	ds_load_2addr_b32 v[94:95], v76 offset0:136 offset1:152
	ds_load_2addr_b32 v[96:97], v76 offset0:204 offset1:220
	v_cvt_f16_f32_e32 v39, v39
	v_cvt_f16_f32_e32 v75, v75
	v_add_nc_u32_e32 v79, 0x400, v76
	v_add_nc_u32_e32 v80, 0x800, v76
	;; [unrolled: 1-line block ×4, first 2 shown]
	v_pack_b32_f16 v39, v39, v75
	v_lshl_add_u32 v75, v123, 2, 0
	ds_load_2addr_b32 v[99:100], v75 offset1:16
	ds_load_2addr_b32 v[101:102], v79 offset0:84 offset1:100
	ds_load_2addr_b32 v[103:104], v79 offset0:152 offset1:168
	ds_load_2addr_b32 v[105:106], v79 offset0:220 offset1:236
	ds_load_2addr_b32 v[107:108], v78 offset1:16
	ds_load_2addr_b32 v[109:110], v80 offset0:100 offset1:116
	ds_load_2addr_b32 v[111:112], v80 offset0:168 offset1:184
	ds_load_2addr_b32 v[113:114], v80 offset0:236 offset1:252
	;; [unrolled: 4-line block ×3, first 2 shown]
	s_waitcnt lgkmcnt(14)
	v_perm_b32 v82, v92, v90, 0x5040100
	s_waitcnt lgkmcnt(12)
	v_perm_b32 v83, v96, v94, 0x5040100
	v_add_nc_u32_e32 v123, 0x1800, v76
	v_add_nc_u32_e32 v125, 0x1c00, v76
	;; [unrolled: 1-line block ×3, first 2 shown]
	v_sub_f32_e32 v50, v50, v40
	v_add_nc_u32_e32 v131, 0x3c00, v76
	v_add_nc_u32_e32 v139, 0x4000, v76
	s_waitcnt lgkmcnt(10)
	v_perm_b32 v84, v101, v99, 0x5040100
	s_waitcnt lgkmcnt(8)
	v_perm_b32 v85, v105, v103, 0x5040100
	;; [unrolled: 2-line block ×6, first 2 shown]
	s_delay_alu instid0(VALU_DEP_1)
	v_wmma_f16_16x16x16_f16 v[24:31], v[82:89], v[32:39], v[24:31]
	v_perm_b32 v82, v92, v90, 0x7060302
	v_perm_b32 v83, v96, v94, 0x7060302
	;; [unrolled: 1-line block ×8, first 2 shown]
	s_delay_alu instid0(VALU_DEP_1)
	v_wmma_f16_16x16x16_f16 v[24:31], v[82:89], v[32:39], v[24:31] op_sel:[0,0,1]
	v_perm_b32 v82, v93, v91, 0x5040100
	v_perm_b32 v83, v97, v95, 0x5040100
	;; [unrolled: 1-line block ×8, first 2 shown]
	s_delay_alu instid0(VALU_DEP_1)
	v_wmma_f16_16x16x16_f16 v[16:23], v[82:89], v[32:39], v[16:23]
	v_perm_b32 v82, v93, v91, 0x7060302
	v_perm_b32 v83, v97, v95, 0x7060302
	;; [unrolled: 1-line block ×8, first 2 shown]
	ds_load_2addr_b32 v[90:91], v76 offset0:32 offset1:48
	ds_load_2addr_b32 v[92:93], v76 offset0:100 offset1:116
	;; [unrolled: 1-line block ×6, first 2 shown]
	v_wmma_f16_16x16x16_f16 v[16:23], v[82:89], v[32:39], v[16:23] op_sel:[0,0,1]
	v_add_nc_u32_e32 v85, 0x600, v76
	ds_load_2addr_b32 v[103:104], v79 offset0:184 offset1:200
	ds_load_2addr_b32 v[105:106], v85 offset0:124 offset1:140
	v_add_nc_u32_e32 v79, 0x1000, v76
	ds_load_2addr_b32 v[107:108], v78 offset0:32 offset1:48
	ds_load_2addr_b32 v[109:110], v80 offset0:132 offset1:148
	;; [unrolled: 1-line block ×8, first 2 shown]
	s_waitcnt lgkmcnt(14)
	v_perm_b32 v82, v92, v90, 0x5040100
	v_perm_b32 v80, v92, v90, 0x7060302
	s_waitcnt lgkmcnt(12)
	v_perm_b32 v83, v96, v94, 0x5040100
	s_waitcnt lgkmcnt(10)
	v_perm_b32 v84, v101, v99, 0x5040100
	v_perm_b32 v81, v96, v94, 0x7060302
	s_waitcnt lgkmcnt(8)
	v_perm_b32 v85, v105, v103, 0x5040100
	s_waitcnt lgkmcnt(6)
	;; [unrolled: 2-line block ×5, first 2 shown]
	v_perm_b32 v89, v121, v119, 0x5040100
	s_delay_alu instid0(VALU_DEP_1)
	v_wmma_f16_16x16x16_f16 v[8:15], v[82:89], v[32:39], v[8:15]
	v_perm_b32 v82, v101, v99, 0x7060302
	v_perm_b32 v83, v105, v103, 0x7060302
	;; [unrolled: 1-line block ×6, first 2 shown]
	v_add_nc_u32_e32 v121, 0x1400, v76
	s_delay_alu instid0(VALU_DEP_2)
	v_wmma_f16_16x16x16_f16 v[8:15], v[80:87], v[32:39], v[8:15] op_sel:[0,0,1]
	v_perm_b32 v80, v93, v91, 0x5040100
	v_perm_b32 v81, v97, v95, 0x5040100
	;; [unrolled: 1-line block ×8, first 2 shown]
	s_delay_alu instid0(VALU_DEP_1)
	v_wmma_f16_16x16x16_f16 v[0:7], v[80:87], v[32:39], v[0:7]
	v_perm_b32 v80, v93, v91, 0x7060302
	v_perm_b32 v81, v97, v95, 0x7060302
	;; [unrolled: 1-line block ×8, first 2 shown]
	v_add_nc_u32_e32 v122, 0x1000, v75
	s_delay_alu instid0(VALU_DEP_2) | instskip(SKIP_2) | instid1(VALU_DEP_2)
	v_wmma_f16_16x16x16_f16 v[0:7], v[80:87], v[32:39], v[0:7] op_sel:[0,0,1]
	v_sub_f32_e32 v32, v65, v40
	v_add_nc_u32_e32 v65, 0x1e00, v76
	v_mul_f32_e32 v33, 0x3fb8aa3b, v32
	v_cmp_ngt_f32_e64 s3, 0xc2ce8ed0, v32
	s_delay_alu instid0(VALU_DEP_2) | instskip(SKIP_1) | instid1(VALU_DEP_1)
	v_fma_f32 v34, 0x3fb8aa3b, v32, -v33
	v_rndne_f32_e32 v35, v33
	v_dual_fmac_f32 v34, 0x32a5705f, v32 :: v_dual_sub_f32 v33, v33, v35
	v_cvt_i32_f32_e32 v35, v35
	s_delay_alu instid0(VALU_DEP_2) | instskip(NEXT) | instid1(VALU_DEP_1)
	v_dual_add_f32 v33, v33, v34 :: v_dual_sub_f32 v34, v64, v40
	v_exp_f32_e32 v33, v33
	s_delay_alu instid0(VALU_DEP_1) | instskip(SKIP_1) | instid1(VALU_DEP_2)
	v_mul_f32_e32 v36, 0x3fb8aa3b, v34
	v_cmp_ngt_f32_e64 s4, 0xc2ce8ed0, v34
	v_fma_f32 v37, 0x3fb8aa3b, v34, -v36
	v_rndne_f32_e32 v38, v36
	s_waitcnt_depctr 0xfff
	v_ldexp_f32 v33, v33, v35
	v_fmac_f32_e32 v37, 0x32a5705f, v34
	v_sub_f32_e32 v36, v36, v38
	s_delay_alu instid0(VALU_DEP_3) | instskip(SKIP_1) | instid1(VALU_DEP_3)
	v_cndmask_b32_e64 v33, 0, v33, s3
	v_cmp_nlt_f32_e64 s3, 0x42b17218, v32
	v_add_f32_e32 v36, v36, v37
	s_delay_alu instid0(VALU_DEP_2) | instskip(NEXT) | instid1(VALU_DEP_2)
	v_cndmask_b32_e64 v33, 0x7f800000, v33, s3
	v_exp_f32_e32 v35, v36
	v_cvt_i32_f32_e32 v36, v38
	s_waitcnt_depctr 0xfff
	v_ldexp_f32 v35, v35, v36
	ds_bpermute_b32 v36, v41, v33
	v_cndmask_b32_e64 v32, 0, v35, s4
	v_cmp_nlt_f32_e64 s4, 0x42b17218, v34
	s_delay_alu instid0(VALU_DEP_1)
	v_cndmask_b32_e64 v32, 0x7f800000, v32, s4
	v_cmp_ngt_f32_e64 s4, 0xc2ce8ed0, v56
	ds_bpermute_b32 v34, v41, v32
	s_waitcnt lgkmcnt(0)
	v_cndmask_b32_e64 v35, v32, v34, s0
	v_cndmask_b32_e32 v34, v32, v34, vcc_lo
	s_delay_alu instid0(VALU_DEP_2) | instskip(NEXT) | instid1(VALU_DEP_2)
	v_cndmask_b32_e64 v37, v35, v33, s1
	v_cndmask_b32_e64 v38, v34, v33, s2
	v_cvt_f16_f32_e32 v35, v35
	v_cvt_f16_f32_e32 v34, v34
	s_delay_alu instid0(VALU_DEP_4) | instskip(NEXT) | instid1(VALU_DEP_4)
	v_cndmask_b32_e64 v37, v37, v36, s0
	v_cndmask_b32_e32 v36, v38, v36, vcc_lo
	s_delay_alu instid0(VALU_DEP_3) | instskip(SKIP_1) | instid1(VALU_DEP_4)
	v_pack_b32_f16 v80, v35, v34
	v_sub_f32_e32 v34, v63, v40
	v_cvt_f16_f32_e32 v38, v37
	s_delay_alu instid0(VALU_DEP_4) | instskip(NEXT) | instid1(VALU_DEP_3)
	v_cvt_f16_f32_e32 v39, v36
	v_mul_f32_e32 v35, 0x3fb8aa3b, v34
	v_cmp_ngt_f32_e64 s3, 0xc2ce8ed0, v34
	s_delay_alu instid0(VALU_DEP_3) | instskip(NEXT) | instid1(VALU_DEP_3)
	v_pack_b32_f16 v81, v38, v39
	v_fma_f32 v38, 0x3fb8aa3b, v34, -v35
	v_rndne_f32_e32 v39, v35
	s_delay_alu instid0(VALU_DEP_1) | instskip(NEXT) | instid1(VALU_DEP_1)
	v_dual_fmac_f32 v38, 0x32a5705f, v34 :: v_dual_sub_f32 v35, v35, v39
	v_add_f32_e32 v35, v35, v38
	v_cvt_i32_f32_e32 v38, v39
	s_delay_alu instid0(VALU_DEP_2) | instskip(SKIP_2) | instid1(VALU_DEP_1)
	v_exp_f32_e32 v35, v35
	s_waitcnt_depctr 0xfff
	v_ldexp_f32 v35, v35, v38
	v_cndmask_b32_e64 v35, 0, v35, s3
	v_cmp_nlt_f32_e64 s3, 0x42b17218, v34
	s_delay_alu instid0(VALU_DEP_1) | instskip(NEXT) | instid1(VALU_DEP_1)
	v_cndmask_b32_e64 v34, 0x7f800000, v35, s3
	v_cndmask_b32_e64 v35, v37, v34, s1
	ds_bpermute_b32 v37, v41, v34
	v_cndmask_b32_e64 v36, v36, v34, s2
	s_waitcnt lgkmcnt(0)
	v_cndmask_b32_e64 v38, v35, v37, s0
	s_delay_alu instid0(VALU_DEP_2) | instskip(NEXT) | instid1(VALU_DEP_2)
	v_cndmask_b32_e32 v36, v36, v37, vcc_lo
	v_cvt_f16_f32_e32 v35, v38
	s_delay_alu instid0(VALU_DEP_2) | instskip(NEXT) | instid1(VALU_DEP_1)
	v_cvt_f16_f32_e32 v37, v36
	v_pack_b32_f16 v82, v35, v37
	v_sub_f32_e32 v35, v62, v40
	s_delay_alu instid0(VALU_DEP_1) | instskip(SKIP_1) | instid1(VALU_DEP_2)
	v_mul_f32_e32 v37, 0x3fb8aa3b, v35
	v_cmp_ngt_f32_e64 s3, 0xc2ce8ed0, v35
	v_fma_f32 v39, 0x3fb8aa3b, v35, -v37
	v_rndne_f32_e32 v62, v37
	s_delay_alu instid0(VALU_DEP_2) | instskip(NEXT) | instid1(VALU_DEP_2)
	v_fmac_f32_e32 v39, 0x32a5705f, v35
	v_sub_f32_e32 v37, v37, v62
	s_delay_alu instid0(VALU_DEP_1) | instskip(SKIP_1) | instid1(VALU_DEP_2)
	v_add_f32_e32 v37, v37, v39
	v_cvt_i32_f32_e32 v39, v62
	v_exp_f32_e32 v37, v37
	s_waitcnt_depctr 0xfff
	v_ldexp_f32 v37, v37, v39
	s_delay_alu instid0(VALU_DEP_1) | instskip(SKIP_1) | instid1(VALU_DEP_1)
	v_cndmask_b32_e64 v37, 0, v37, s3
	v_cmp_nlt_f32_e64 s3, 0x42b17218, v35
	v_cndmask_b32_e64 v35, 0x7f800000, v37, s3
	s_delay_alu instid0(VALU_DEP_1) | instskip(SKIP_4) | instid1(VALU_DEP_2)
	v_cndmask_b32_e64 v37, v38, v35, s1
	ds_bpermute_b32 v38, v41, v35
	v_cndmask_b32_e64 v36, v36, v35, s2
	s_waitcnt lgkmcnt(0)
	v_cndmask_b32_e64 v37, v37, v38, s0
	v_cndmask_b32_e32 v38, v36, v38, vcc_lo
	ds_load_2addr_b32 v[88:89], v79 offset0:64 offset1:80
	ds_load_2addr_b32 v[90:91], v79 offset0:132 offset1:148
	;; [unrolled: 1-line block ×8, first 2 shown]
	v_cvt_f16_f32_e32 v36, v37
	v_cvt_f16_f32_e32 v39, v38
	ds_load_2addr_b32 v[105:106], v124 offset0:64 offset1:80
	ds_load_2addr_b32 v[107:108], v123 offset0:164 offset1:180
	;; [unrolled: 1-line block ×8, first 2 shown]
	v_pack_b32_f16 v83, v36, v39
	v_sub_f32_e32 v36, v61, v40
	s_delay_alu instid0(VALU_DEP_1) | instskip(SKIP_1) | instid1(VALU_DEP_2)
	v_mul_f32_e32 v39, 0x3fb8aa3b, v36
	v_cmp_ngt_f32_e64 s3, 0xc2ce8ed0, v36
	v_fma_f32 v61, 0x3fb8aa3b, v36, -v39
	v_rndne_f32_e32 v62, v39
	s_delay_alu instid0(VALU_DEP_2) | instskip(NEXT) | instid1(VALU_DEP_2)
	v_fmac_f32_e32 v61, 0x32a5705f, v36
	v_sub_f32_e32 v39, v39, v62
	s_waitcnt lgkmcnt(4)
	v_perm_b32 v63, v111, v109, 0x5040100
	s_waitcnt lgkmcnt(2)
	v_perm_b32 v64, v115, v113, 0x5040100
	;; [unrolled: 2-line block ×3, first 2 shown]
	v_add_f32_e32 v39, v39, v61
	v_cvt_i32_f32_e32 v61, v62
	s_delay_alu instid0(VALU_DEP_2) | instskip(SKIP_2) | instid1(VALU_DEP_1)
	v_exp_f32_e32 v39, v39
	s_waitcnt_depctr 0xfff
	v_ldexp_f32 v39, v39, v61
	v_cndmask_b32_e64 v39, 0, v39, s3
	v_cmp_nlt_f32_e64 s3, 0x42b17218, v36
	s_delay_alu instid0(VALU_DEP_1) | instskip(SKIP_4) | instid1(VALU_DEP_2)
	v_cndmask_b32_e64 v36, 0x7f800000, v39, s3
	ds_bpermute_b32 v39, v41, v36
	v_cndmask_b32_e64 v37, v37, v36, s1
	v_cndmask_b32_e64 v38, v38, v36, s2
	s_waitcnt lgkmcnt(0)
	v_cndmask_b32_e64 v61, v37, v39, s0
	s_delay_alu instid0(VALU_DEP_2) | instskip(NEXT) | instid1(VALU_DEP_2)
	v_cndmask_b32_e32 v38, v38, v39, vcc_lo
	v_cvt_f16_f32_e32 v37, v61
	s_delay_alu instid0(VALU_DEP_2) | instskip(NEXT) | instid1(VALU_DEP_1)
	v_cvt_f16_f32_e32 v39, v38
	v_pack_b32_f16 v84, v37, v39
	v_sub_f32_e32 v37, v60, v40
	s_delay_alu instid0(VALU_DEP_1) | instskip(SKIP_1) | instid1(VALU_DEP_2)
	v_mul_f32_e32 v39, 0x3fb8aa3b, v37
	v_cmp_ngt_f32_e64 s3, 0xc2ce8ed0, v37
	v_fma_f32 v60, 0x3fb8aa3b, v37, -v39
	v_rndne_f32_e32 v62, v39
	s_delay_alu instid0(VALU_DEP_1) | instskip(NEXT) | instid1(VALU_DEP_1)
	v_dual_fmac_f32 v60, 0x32a5705f, v37 :: v_dual_sub_f32 v39, v39, v62
	v_add_f32_e32 v39, v39, v60
	v_cvt_i32_f32_e32 v60, v62
	s_delay_alu instid0(VALU_DEP_2) | instskip(SKIP_2) | instid1(VALU_DEP_1)
	v_exp_f32_e32 v39, v39
	s_waitcnt_depctr 0xfff
	v_ldexp_f32 v39, v39, v60
	v_cndmask_b32_e64 v39, 0, v39, s3
	v_cmp_nlt_f32_e64 s3, 0x42b17218, v37
	s_delay_alu instid0(VALU_DEP_1) | instskip(SKIP_4) | instid1(VALU_DEP_2)
	v_cndmask_b32_e64 v37, 0x7f800000, v39, s3
	ds_bpermute_b32 v60, v41, v37
	v_cndmask_b32_e64 v39, v61, v37, s1
	v_cndmask_b32_e64 v38, v38, v37, s2
	s_waitcnt lgkmcnt(0)
	v_cndmask_b32_e64 v39, v39, v60, s0
	s_delay_alu instid0(VALU_DEP_2) | instskip(NEXT) | instid1(VALU_DEP_2)
	v_cndmask_b32_e32 v60, v38, v60, vcc_lo
	v_cvt_f16_f32_e32 v38, v39
	s_delay_alu instid0(VALU_DEP_2) | instskip(NEXT) | instid1(VALU_DEP_1)
	v_cvt_f16_f32_e32 v61, v60
	v_pack_b32_f16 v85, v38, v61
	v_sub_f32_e32 v38, v59, v40
	s_delay_alu instid0(VALU_DEP_1) | instskip(SKIP_1) | instid1(VALU_DEP_2)
	v_mul_f32_e32 v59, 0x3fb8aa3b, v38
	v_cmp_ngt_f32_e64 s3, 0xc2ce8ed0, v38
	v_fma_f32 v61, 0x3fb8aa3b, v38, -v59
	v_rndne_f32_e32 v62, v59
	s_delay_alu instid0(VALU_DEP_2) | instskip(NEXT) | instid1(VALU_DEP_2)
	v_fmac_f32_e32 v61, 0x32a5705f, v38
	v_sub_f32_e32 v59, v59, v62
	s_delay_alu instid0(VALU_DEP_1) | instskip(SKIP_1) | instid1(VALU_DEP_2)
	v_add_f32_e32 v59, v59, v61
	v_cvt_i32_f32_e32 v61, v62
	v_exp_f32_e32 v59, v59
	s_waitcnt_depctr 0xfff
	v_ldexp_f32 v59, v59, v61
	s_delay_alu instid0(VALU_DEP_1) | instskip(SKIP_1) | instid1(VALU_DEP_1)
	v_cndmask_b32_e64 v59, 0, v59, s3
	v_cmp_nlt_f32_e64 s3, 0x42b17218, v38
	v_cndmask_b32_e64 v38, 0x7f800000, v59, s3
	s_delay_alu instid0(VALU_DEP_1) | instskip(SKIP_3) | instid1(VALU_DEP_1)
	v_cndmask_b32_e64 v59, v60, v38, s2
	ds_bpermute_b32 v60, v41, v38
	v_cndmask_b32_e64 v39, v39, v38, s1
	s_waitcnt lgkmcnt(0)
	v_cndmask_b32_e64 v61, v39, v60, s0
	v_cndmask_b32_e32 v59, v59, v60, vcc_lo
	s_delay_alu instid0(VALU_DEP_2) | instskip(NEXT) | instid1(VALU_DEP_2)
	v_cvt_f16_f32_e32 v39, v61
	v_cvt_f16_f32_e32 v60, v59
	s_delay_alu instid0(VALU_DEP_1) | instskip(SKIP_1) | instid1(VALU_DEP_1)
	v_pack_b32_f16 v86, v39, v60
	v_sub_f32_e32 v39, v58, v40
	v_mul_f32_e32 v58, 0x3fb8aa3b, v39
	v_cmp_ngt_f32_e64 s3, 0xc2ce8ed0, v39
	s_delay_alu instid0(VALU_DEP_2) | instskip(SKIP_1) | instid1(VALU_DEP_2)
	v_fma_f32 v60, 0x3fb8aa3b, v39, -v58
	v_rndne_f32_e32 v62, v58
	v_fmac_f32_e32 v60, 0x32a5705f, v39
	s_delay_alu instid0(VALU_DEP_2) | instskip(NEXT) | instid1(VALU_DEP_1)
	v_sub_f32_e32 v58, v58, v62
	v_add_f32_e32 v58, v58, v60
	v_cvt_i32_f32_e32 v60, v62
	v_perm_b32 v62, v107, v105, 0x5040100
	s_delay_alu instid0(VALU_DEP_3) | instskip(SKIP_2) | instid1(VALU_DEP_1)
	v_exp_f32_e32 v58, v58
	s_waitcnt_depctr 0xfff
	v_ldexp_f32 v58, v58, v60
	v_cndmask_b32_e64 v58, 0, v58, s3
	v_cmp_nlt_f32_e64 s3, 0x42b17218, v39
	s_delay_alu instid0(VALU_DEP_1)
	v_cndmask_b32_e64 v39, 0x7f800000, v58, s3
	v_cmp_ngt_f32_e64 s3, 0xc2ce8ed0, v57
	ds_bpermute_b32 v60, v41, v39
	v_cndmask_b32_e64 v58, v61, v39, s1
	v_cndmask_b32_e64 v59, v59, v39, s2
	v_perm_b32 v61, v103, v101, 0x5040100
	s_waitcnt lgkmcnt(0)
	s_delay_alu instid0(VALU_DEP_3) | instskip(NEXT) | instid1(VALU_DEP_3)
	v_cndmask_b32_e64 v58, v58, v60, s0
	v_cndmask_b32_e32 v59, v59, v60, vcc_lo
	v_perm_b32 v60, v99, v96, 0x5040100
	s_delay_alu instid0(VALU_DEP_3) | instskip(NEXT) | instid1(VALU_DEP_3)
	v_cvt_f16_f32_e32 v58, v58
	v_cvt_f16_f32_e32 v59, v59
	s_delay_alu instid0(VALU_DEP_1) | instskip(SKIP_2) | instid1(VALU_DEP_1)
	v_pack_b32_f16 v87, v58, v59
	v_perm_b32 v58, v90, v88, 0x5040100
	v_perm_b32 v59, v94, v92, 0x5040100
	v_wmma_f16_16x16x16_f16 v[24:31], v[58:65], v[80:87], v[24:31]
	v_perm_b32 v58, v90, v88, 0x7060302
	v_perm_b32 v59, v94, v92, 0x7060302
	;; [unrolled: 1-line block ×8, first 2 shown]
	s_delay_alu instid0(VALU_DEP_1)
	v_wmma_f16_16x16x16_f16 v[24:31], v[58:65], v[80:87], v[24:31] op_sel:[0,0,1]
	v_perm_b32 v58, v91, v89, 0x5040100
	v_perm_b32 v59, v95, v93, 0x5040100
	;; [unrolled: 1-line block ×8, first 2 shown]
	s_delay_alu instid0(VALU_DEP_1)
	v_wmma_f16_16x16x16_f16 v[16:23], v[58:65], v[80:87], v[16:23]
	v_perm_b32 v58, v91, v89, 0x7060302
	v_perm_b32 v59, v95, v93, 0x7060302
	;; [unrolled: 1-line block ×8, first 2 shown]
	ds_load_2addr_b32 v[88:89], v79 offset0:96 offset1:112
	ds_load_2addr_b32 v[90:91], v79 offset0:164 offset1:180
	;; [unrolled: 1-line block ×6, first 2 shown]
	v_add_nc_u32_e32 v121, 0x2000, v75
	v_add_nc_u32_e32 v122, 0x2800, v76
	v_wmma_f16_16x16x16_f16 v[16:23], v[58:65], v[80:87], v[16:23] op_sel:[0,0,1]
	v_add_nc_u32_e32 v61, 0x1600, v76
	ds_load_2addr_b32 v[101:102], v61 offset0:120 offset1:136
	ds_load_2addr_b32 v[103:104], v123 offset0:60 offset1:76
	;; [unrolled: 1-line block ×10, first 2 shown]
	v_add_nc_u32_e32 v124, 0x2c00, v76
	v_add_nc_u32_e32 v126, 0x3000, v76
	;; [unrolled: 1-line block ×3, first 2 shown]
	s_waitcnt lgkmcnt(14)
	v_perm_b32 v58, v90, v88, 0x5040100
	v_add_nc_u32_e32 v125, 0x2000, v77
	s_waitcnt lgkmcnt(12)
	v_perm_b32 v59, v94, v92, 0x5040100
	s_waitcnt lgkmcnt(10)
	v_perm_b32 v60, v99, v96, 0x5040100
	;; [unrolled: 2-line block ×7, first 2 shown]
	s_delay_alu instid0(VALU_DEP_1)
	v_wmma_f16_16x16x16_f16 v[8:15], v[58:65], v[80:87], v[8:15]
	v_perm_b32 v58, v90, v88, 0x7060302
	v_perm_b32 v59, v94, v92, 0x7060302
	;; [unrolled: 1-line block ×8, first 2 shown]
	s_delay_alu instid0(VALU_DEP_1)
	v_wmma_f16_16x16x16_f16 v[8:15], v[58:65], v[80:87], v[8:15] op_sel:[0,0,1]
	v_perm_b32 v58, v91, v89, 0x5040100
	v_perm_b32 v59, v95, v93, 0x5040100
	;; [unrolled: 1-line block ×8, first 2 shown]
	s_delay_alu instid0(VALU_DEP_1)
	v_wmma_f16_16x16x16_f16 v[0:7], v[58:65], v[80:87], v[0:7]
	v_perm_b32 v58, v91, v89, 0x7060302
	v_perm_b32 v59, v95, v93, 0x7060302
	;; [unrolled: 1-line block ×8, first 2 shown]
	v_add_nc_u32_e32 v97, 0x2400, v76
	s_delay_alu instid0(VALU_DEP_2)
	v_wmma_f16_16x16x16_f16 v[0:7], v[58:65], v[80:87], v[0:7] op_sel:[0,0,1]
	v_mul_f32_e32 v58, 0x3fb8aa3b, v57
	v_add_nc_u32_e32 v85, 0x2e00, v76
	ds_load_2addr_b32 v[87:88], v127 offset0:128 offset1:144
	ds_load_2addr_b32 v[89:90], v127 offset0:196 offset1:212
	;; [unrolled: 1-line block ×8, first 2 shown]
	v_fma_f32 v59, 0x3fb8aa3b, v57, -v58
	v_rndne_f32_e32 v60, v58
	ds_load_2addr_b32 v[105:106], v123 offset0:128 offset1:144
	ds_load_2addr_b32 v[107:108], v122 offset0:228 offset1:244
	;; [unrolled: 1-line block ×6, first 2 shown]
	v_dual_fmac_f32 v59, 0x32a5705f, v57 :: v_dual_sub_f32 v58, v58, v60
	v_cvt_i32_f32_e32 v60, v60
	ds_load_2addr_b32 v[117:118], v126 offset0:56 offset1:72
	ds_load_2addr_b32 v[119:120], v126 offset0:124 offset1:140
	v_dual_add_f32 v58, v58, v59 :: v_dual_mul_f32 v59, 0x3fb8aa3b, v56
	s_delay_alu instid0(VALU_DEP_1) | instskip(NEXT) | instid1(VALU_DEP_1)
	v_exp_f32_e32 v58, v58
	v_fma_f32 v61, 0x3fb8aa3b, v56, -v59
	v_rndne_f32_e32 v62, v59
	s_delay_alu instid0(VALU_DEP_2) | instskip(NEXT) | instid1(VALU_DEP_2)
	v_fmac_f32_e32 v61, 0x32a5705f, v56
	v_sub_f32_e32 v59, v59, v62
	s_waitcnt lgkmcnt(6)
	v_perm_b32 v83, v107, v105, 0x5040100
	s_waitcnt lgkmcnt(4)
	v_perm_b32 v84, v111, v109, 0x5040100
	s_delay_alu instid0(TRANS32_DEP_1)
	v_ldexp_f32 v58, v58, v60
	v_cvt_i32_f32_e32 v60, v62
	v_add_f32_e32 v59, v59, v61
	s_waitcnt lgkmcnt(2)
	v_perm_b32 v85, v113, v115, 0x5040100
	s_waitcnt lgkmcnt(0)
	v_perm_b32 v86, v119, v117, 0x5040100
	v_cndmask_b32_e64 v58, 0, v58, s3
	v_cmp_nlt_f32_e64 s3, 0x42b17218, v57
	v_exp_f32_e32 v59, v59
	s_waitcnt_depctr 0xfff
	v_ldexp_f32 v59, v59, v60
	s_delay_alu instid0(VALU_DEP_1) | instskip(SKIP_1) | instid1(VALU_DEP_1)
	v_cndmask_b32_e64 v57, 0, v59, s4
	v_cmp_nlt_f32_e64 s4, 0x42b17218, v56
	v_cndmask_b32_e64 v56, 0x7f800000, v57, s4
	v_cndmask_b32_e64 v57, 0x7f800000, v58, s3
	v_cmp_ngt_f32_e64 s3, 0xc2ce8ed0, v55
	v_cmp_ngt_f32_e64 s4, 0xc2ce8ed0, v48
	ds_bpermute_b32 v58, v41, v56
	ds_bpermute_b32 v60, v41, v57
	s_waitcnt lgkmcnt(1)
	v_cndmask_b32_e64 v59, v56, v58, s0
	v_cndmask_b32_e32 v58, v56, v58, vcc_lo
	s_delay_alu instid0(VALU_DEP_2) | instskip(NEXT) | instid1(VALU_DEP_2)
	v_cndmask_b32_e64 v61, v59, v57, s1
	v_cndmask_b32_e64 v62, v58, v57, s2
	v_cvt_f16_f32_e32 v59, v59
	v_cvt_f16_f32_e32 v58, v58
	s_waitcnt lgkmcnt(0)
	v_cndmask_b32_e64 v61, v61, v60, s0
	v_cndmask_b32_e32 v60, v62, v60, vcc_lo
	s_delay_alu instid0(VALU_DEP_3) | instskip(NEXT) | instid1(VALU_DEP_3)
	v_pack_b32_f16 v58, v59, v58
	v_cvt_f16_f32_e32 v62, v61
	s_delay_alu instid0(VALU_DEP_3) | instskip(NEXT) | instid1(VALU_DEP_1)
	v_cvt_f16_f32_e32 v63, v60
	v_pack_b32_f16 v59, v62, v63
	v_mul_f32_e32 v62, 0x3fb8aa3b, v55
	s_delay_alu instid0(VALU_DEP_1) | instskip(SKIP_1) | instid1(VALU_DEP_1)
	v_fma_f32 v63, 0x3fb8aa3b, v55, -v62
	v_rndne_f32_e32 v64, v62
	v_dual_fmac_f32 v63, 0x32a5705f, v55 :: v_dual_sub_f32 v62, v62, v64
	s_delay_alu instid0(VALU_DEP_1) | instskip(SKIP_1) | instid1(VALU_DEP_2)
	v_add_f32_e32 v62, v62, v63
	v_cvt_i32_f32_e32 v63, v64
	v_exp_f32_e32 v62, v62
	s_waitcnt_depctr 0xfff
	v_ldexp_f32 v62, v62, v63
	s_delay_alu instid0(VALU_DEP_1) | instskip(SKIP_1) | instid1(VALU_DEP_1)
	v_cndmask_b32_e64 v62, 0, v62, s3
	v_cmp_nlt_f32_e64 s3, 0x42b17218, v55
	v_cndmask_b32_e64 v55, 0x7f800000, v62, s3
	ds_bpermute_b32 v62, v41, v55
	v_cndmask_b32_e64 v61, v61, v55, s1
	v_cndmask_b32_e64 v60, v60, v55, s2
	s_waitcnt lgkmcnt(0)
	s_delay_alu instid0(VALU_DEP_2) | instskip(NEXT) | instid1(VALU_DEP_2)
	v_cndmask_b32_e64 v61, v61, v62, s0
	v_cndmask_b32_e32 v62, v60, v62, vcc_lo
	s_delay_alu instid0(VALU_DEP_2) | instskip(NEXT) | instid1(VALU_DEP_2)
	v_cvt_f16_f32_e32 v60, v61
	v_cvt_f16_f32_e32 v63, v62
	s_delay_alu instid0(VALU_DEP_1) | instskip(SKIP_1) | instid1(VALU_DEP_1)
	v_pack_b32_f16 v60, v60, v63
	v_mul_f32_e32 v63, 0x3fb8aa3b, v54
	v_fma_f32 v64, 0x3fb8aa3b, v54, -v63
	v_rndne_f32_e32 v65, v63
	s_delay_alu instid0(VALU_DEP_1) | instskip(SKIP_1) | instid1(VALU_DEP_2)
	v_dual_sub_f32 v63, v63, v65 :: v_dual_fmac_f32 v64, 0x32a5705f, v54
	v_cmp_ngt_f32_e64 s3, 0xc2ce8ed0, v54
	v_add_f32_e32 v63, v63, v64
	v_cvt_i32_f32_e32 v64, v65
	s_delay_alu instid0(VALU_DEP_2) | instskip(SKIP_2) | instid1(VALU_DEP_1)
	v_exp_f32_e32 v63, v63
	s_waitcnt_depctr 0xfff
	v_ldexp_f32 v63, v63, v64
	v_cndmask_b32_e64 v63, 0, v63, s3
	v_cmp_nlt_f32_e64 s3, 0x42b17218, v54
	s_delay_alu instid0(VALU_DEP_1)
	v_cndmask_b32_e64 v54, 0x7f800000, v63, s3
	v_cmp_ngt_f32_e64 s3, 0xc2ce8ed0, v53
	ds_bpermute_b32 v63, v41, v54
	v_cndmask_b32_e64 v61, v61, v54, s1
	v_cndmask_b32_e64 v62, v62, v54, s2
	s_waitcnt lgkmcnt(0)
	s_delay_alu instid0(VALU_DEP_2) | instskip(NEXT) | instid1(VALU_DEP_2)
	v_cndmask_b32_e64 v64, v61, v63, s0
	v_cndmask_b32_e32 v62, v62, v63, vcc_lo
	s_delay_alu instid0(VALU_DEP_2) | instskip(NEXT) | instid1(VALU_DEP_2)
	v_cvt_f16_f32_e32 v61, v64
	v_cvt_f16_f32_e32 v63, v62
	s_delay_alu instid0(VALU_DEP_1) | instskip(SKIP_1) | instid1(VALU_DEP_1)
	v_pack_b32_f16 v61, v61, v63
	v_mul_f32_e32 v63, 0x3fb8aa3b, v53
	v_fma_f32 v65, 0x3fb8aa3b, v53, -v63
	v_rndne_f32_e32 v79, v63
	s_delay_alu instid0(VALU_DEP_2) | instskip(NEXT) | instid1(VALU_DEP_2)
	v_fmac_f32_e32 v65, 0x32a5705f, v53
	v_sub_f32_e32 v63, v63, v79
	s_delay_alu instid0(VALU_DEP_1) | instskip(SKIP_1) | instid1(VALU_DEP_2)
	v_add_f32_e32 v63, v63, v65
	v_cvt_i32_f32_e32 v65, v79
	v_exp_f32_e32 v63, v63
	s_waitcnt_depctr 0xfff
	v_ldexp_f32 v63, v63, v65
	s_delay_alu instid0(VALU_DEP_1) | instskip(SKIP_1) | instid1(VALU_DEP_1)
	v_cndmask_b32_e64 v63, 0, v63, s3
	v_cmp_nlt_f32_e64 s3, 0x42b17218, v53
	v_cndmask_b32_e64 v53, 0x7f800000, v63, s3
	v_cmp_ngt_f32_e64 s3, 0xc2ce8ed0, v52
	s_delay_alu instid0(VALU_DEP_2) | instskip(SKIP_4) | instid1(VALU_DEP_2)
	v_cndmask_b32_e64 v63, v64, v53, s1
	ds_bpermute_b32 v64, v41, v53
	v_cndmask_b32_e64 v62, v62, v53, s2
	s_waitcnt lgkmcnt(0)
	v_cndmask_b32_e64 v63, v63, v64, s0
	v_cndmask_b32_e32 v64, v62, v64, vcc_lo
	s_delay_alu instid0(VALU_DEP_2) | instskip(NEXT) | instid1(VALU_DEP_2)
	v_cvt_f16_f32_e32 v62, v63
	v_cvt_f16_f32_e32 v65, v64
	s_delay_alu instid0(VALU_DEP_1) | instskip(SKIP_1) | instid1(VALU_DEP_1)
	v_pack_b32_f16 v62, v62, v65
	v_mul_f32_e32 v65, 0x3fb8aa3b, v52
	v_fma_f32 v79, 0x3fb8aa3b, v52, -v65
	v_rndne_f32_e32 v80, v65
	s_delay_alu instid0(VALU_DEP_2) | instskip(NEXT) | instid1(VALU_DEP_2)
	v_fmac_f32_e32 v79, 0x32a5705f, v52
	v_sub_f32_e32 v65, v65, v80
	s_delay_alu instid0(VALU_DEP_1) | instskip(SKIP_1) | instid1(VALU_DEP_2)
	v_add_f32_e32 v65, v65, v79
	v_cvt_i32_f32_e32 v79, v80
	v_exp_f32_e32 v65, v65
	s_waitcnt_depctr 0xfff
	v_ldexp_f32 v65, v65, v79
	s_delay_alu instid0(VALU_DEP_1) | instskip(SKIP_1) | instid1(VALU_DEP_1)
	v_cndmask_b32_e64 v65, 0, v65, s3
	v_cmp_nlt_f32_e64 s3, 0x42b17218, v52
	v_cndmask_b32_e64 v52, 0x7f800000, v65, s3
	v_cmp_ngt_f32_e64 s3, 0xc2ce8ed0, v51
	ds_bpermute_b32 v65, v41, v52
	v_cndmask_b32_e64 v64, v64, v52, s2
	v_cndmask_b32_e64 v63, v63, v52, s1
	s_waitcnt lgkmcnt(0)
	s_delay_alu instid0(VALU_DEP_1) | instskip(NEXT) | instid1(VALU_DEP_3)
	v_cndmask_b32_e64 v79, v63, v65, s0
	v_cndmask_b32_e32 v64, v64, v65, vcc_lo
	s_delay_alu instid0(VALU_DEP_2) | instskip(NEXT) | instid1(VALU_DEP_2)
	v_cvt_f16_f32_e32 v63, v79
	v_cvt_f16_f32_e32 v65, v64
	s_delay_alu instid0(VALU_DEP_1) | instskip(SKIP_1) | instid1(VALU_DEP_1)
	v_pack_b32_f16 v63, v63, v65
	v_mul_f32_e32 v65, 0x3fb8aa3b, v51
	v_fma_f32 v80, 0x3fb8aa3b, v51, -v65
	v_rndne_f32_e32 v81, v65
	s_delay_alu instid0(VALU_DEP_1) | instskip(NEXT) | instid1(VALU_DEP_1)
	v_dual_fmac_f32 v80, 0x32a5705f, v51 :: v_dual_sub_f32 v65, v65, v81
	v_add_f32_e32 v65, v65, v80
	v_cvt_i32_f32_e32 v80, v81
	s_delay_alu instid0(VALU_DEP_2) | instskip(SKIP_2) | instid1(VALU_DEP_1)
	v_exp_f32_e32 v65, v65
	s_waitcnt_depctr 0xfff
	v_ldexp_f32 v65, v65, v80
	v_cndmask_b32_e64 v65, 0, v65, s3
	v_cmp_nlt_f32_e64 s3, 0x42b17218, v51
	s_delay_alu instid0(VALU_DEP_1) | instskip(SKIP_1) | instid1(VALU_DEP_2)
	v_cndmask_b32_e64 v51, 0x7f800000, v65, s3
	v_cmp_ngt_f32_e64 s3, 0xc2ce8ed0, v50
	v_cndmask_b32_e64 v65, v79, v51, s1
	ds_bpermute_b32 v79, v41, v51
	v_cndmask_b32_e64 v64, v64, v51, s2
	s_waitcnt lgkmcnt(0)
	v_cndmask_b32_e64 v65, v65, v79, s0
	s_delay_alu instid0(VALU_DEP_2) | instskip(NEXT) | instid1(VALU_DEP_2)
	v_cndmask_b32_e32 v79, v64, v79, vcc_lo
	v_cvt_f16_f32_e32 v64, v65
	s_delay_alu instid0(VALU_DEP_2) | instskip(NEXT) | instid1(VALU_DEP_1)
	v_cvt_f16_f32_e32 v80, v79
	v_pack_b32_f16 v64, v64, v80
	v_mul_f32_e32 v80, 0x3fb8aa3b, v50
	s_delay_alu instid0(VALU_DEP_1) | instskip(SKIP_1) | instid1(VALU_DEP_2)
	v_fma_f32 v81, 0x3fb8aa3b, v50, -v80
	v_rndne_f32_e32 v82, v80
	v_fmac_f32_e32 v81, 0x32a5705f, v50
	s_delay_alu instid0(VALU_DEP_2) | instskip(NEXT) | instid1(VALU_DEP_1)
	v_sub_f32_e32 v80, v80, v82
	v_add_f32_e32 v80, v80, v81
	v_cvt_i32_f32_e32 v81, v82
	v_perm_b32 v82, v103, v101, 0x5040100
	s_delay_alu instid0(VALU_DEP_3) | instskip(SKIP_3) | instid1(VALU_DEP_2)
	v_exp_f32_e32 v80, v80
	s_waitcnt_depctr 0xfff
	v_ldexp_f32 v80, v80, v81
	v_perm_b32 v81, v99, v95, 0x5040100
	v_cndmask_b32_e64 v80, 0, v80, s3
	v_cmp_nlt_f32_e64 s3, 0x42b17218, v50
	s_delay_alu instid0(VALU_DEP_1)
	v_cndmask_b32_e64 v50, 0x7f800000, v80, s3
	v_cmp_ngt_f32_e64 s3, 0xc2ce8ed0, v49
	ds_bpermute_b32 v80, v41, v50
	v_cndmask_b32_e64 v65, v65, v50, s1
	v_cndmask_b32_e64 v79, v79, v50, s2
	s_waitcnt lgkmcnt(0)
	s_delay_alu instid0(VALU_DEP_2) | instskip(NEXT) | instid1(VALU_DEP_2)
	v_cndmask_b32_e64 v65, v65, v80, s0
	v_cndmask_b32_e32 v79, v79, v80, vcc_lo
	v_perm_b32 v80, v93, v91, 0x5040100
	s_delay_alu instid0(VALU_DEP_3) | instskip(NEXT) | instid1(VALU_DEP_3)
	v_cvt_f16_f32_e32 v65, v65
	v_cvt_f16_f32_e32 v79, v79
	s_delay_alu instid0(VALU_DEP_1) | instskip(SKIP_1) | instid1(VALU_DEP_1)
	v_pack_b32_f16 v65, v65, v79
	v_perm_b32 v79, v89, v87, 0x5040100
	v_wmma_f16_16x16x16_f16 v[24:31], v[79:86], v[58:65], v[24:31]
	v_perm_b32 v79, v89, v87, 0x7060302
	v_perm_b32 v80, v93, v91, 0x7060302
	;; [unrolled: 1-line block ×8, first 2 shown]
	s_delay_alu instid0(VALU_DEP_1)
	v_wmma_f16_16x16x16_f16 v[24:31], v[79:86], v[58:65], v[24:31] op_sel:[0,0,1]
	v_perm_b32 v79, v90, v88, 0x5040100
	v_perm_b32 v80, v94, v92, 0x5040100
	;; [unrolled: 1-line block ×8, first 2 shown]
	s_delay_alu instid0(VALU_DEP_1)
	v_wmma_f16_16x16x16_f16 v[16:23], v[79:86], v[58:65], v[16:23]
	v_perm_b32 v79, v90, v88, 0x7060302
	v_perm_b32 v80, v94, v92, 0x7060302
	;; [unrolled: 1-line block ×8, first 2 shown]
	ds_load_2addr_b32 v[87:88], v127 offset0:160 offset1:176
	ds_load_2addr_b32 v[89:90], v127 offset0:228 offset1:244
	;; [unrolled: 1-line block ×4, first 2 shown]
	v_wmma_f16_16x16x16_f16 v[16:23], v[79:86], v[58:65], v[16:23] op_sel:[0,0,1]
	v_add_nc_u32_e32 v81, 0x2600, v76
	ds_load_2addr_b32 v[95:96], v121 offset0:160 offset1:176
	ds_load_2addr_b32 v[99:100], v81 offset0:116 offset1:132
	;; [unrolled: 1-line block ×12, first 2 shown]
	v_add_nc_u32_e32 v123, 0x3800, v76
	s_waitcnt lgkmcnt(14)
	v_perm_b32 v79, v89, v87, 0x5040100
	s_waitcnt lgkmcnt(12)
	v_perm_b32 v80, v93, v91, 0x5040100
	;; [unrolled: 2-line block ×8, first 2 shown]
	s_delay_alu instid0(VALU_DEP_1)
	v_wmma_f16_16x16x16_f16 v[8:15], v[79:86], v[58:65], v[8:15]
	v_perm_b32 v79, v89, v87, 0x7060302
	v_perm_b32 v80, v93, v91, 0x7060302
	;; [unrolled: 1-line block ×8, first 2 shown]
	v_add_nc_u32_e32 v115, 0x3400, v76
	s_delay_alu instid0(VALU_DEP_2)
	v_wmma_f16_16x16x16_f16 v[8:15], v[79:86], v[58:65], v[8:15] op_sel:[0,0,1]
	v_perm_b32 v79, v90, v88, 0x5040100
	v_perm_b32 v80, v94, v92, 0x5040100
	v_perm_b32 v81, v100, v96, 0x5040100
	v_perm_b32 v82, v104, v102, 0x5040100
	v_perm_b32 v83, v108, v106, 0x5040100
	v_perm_b32 v84, v112, v110, 0x5040100
	v_perm_b32 v85, v116, v114, 0x5040100
	v_perm_b32 v86, v120, v118, 0x5040100
	s_delay_alu instid0(VALU_DEP_1)
	v_wmma_f16_16x16x16_f16 v[0:7], v[79:86], v[58:65], v[0:7]
	v_perm_b32 v79, v90, v88, 0x7060302
	v_perm_b32 v80, v94, v92, 0x7060302
	;; [unrolled: 1-line block ×8, first 2 shown]
	s_delay_alu instid0(VALU_DEP_1) | instskip(SKIP_1) | instid1(VALU_DEP_1)
	v_wmma_f16_16x16x16_f16 v[0:7], v[79:86], v[58:65], v[0:7] op_sel:[0,0,1]
	v_mul_f32_e32 v58, 0x3fb8aa3b, v49
	v_fma_f32 v59, 0x3fb8aa3b, v49, -v58
	v_rndne_f32_e32 v60, v58
	s_delay_alu instid0(VALU_DEP_1) | instskip(SKIP_1) | instid1(VALU_DEP_2)
	v_dual_fmac_f32 v59, 0x32a5705f, v49 :: v_dual_sub_f32 v58, v58, v60
	v_cvt_i32_f32_e32 v60, v60
	v_dual_add_f32 v58, v58, v59 :: v_dual_mul_f32 v59, 0x3fb8aa3b, v48
	s_delay_alu instid0(VALU_DEP_1) | instskip(NEXT) | instid1(VALU_DEP_1)
	v_exp_f32_e32 v58, v58
	v_fma_f32 v61, 0x3fb8aa3b, v48, -v59
	v_rndne_f32_e32 v62, v59
	s_delay_alu instid0(VALU_DEP_2) | instskip(NEXT) | instid1(VALU_DEP_2)
	v_fmac_f32_e32 v61, 0x32a5705f, v48
	v_sub_f32_e32 v59, v59, v62
	s_waitcnt_depctr 0xfff
	v_ldexp_f32 v58, v58, v60
	v_cvt_i32_f32_e32 v60, v62
	v_add_f32_e32 v59, v59, v61
	s_delay_alu instid0(VALU_DEP_3) | instskip(SKIP_1) | instid1(VALU_DEP_3)
	v_cndmask_b32_e64 v58, 0, v58, s3
	v_cmp_nlt_f32_e64 s3, 0x42b17218, v49
	v_exp_f32_e32 v59, v59
	s_delay_alu instid0(VALU_DEP_1) | instskip(SKIP_3) | instid1(VALU_DEP_1)
	v_cndmask_b32_e64 v142, 0x7f800000, v58, s3
	v_cmp_ngt_f32_e64 s3, 0xc2ce8ed0, v47
	ds_bpermute_b32 v58, v41, v142
	v_ldexp_f32 v59, v59, v60
	v_cndmask_b32_e64 v49, 0, v59, s4
	v_cmp_nlt_f32_e64 s4, 0x42b17218, v48
	s_delay_alu instid0(VALU_DEP_1)
	v_cndmask_b32_e64 v141, 0x7f800000, v49, s4
	v_add_nc_u32_e32 v117, 0x3000, v75
	ds_bpermute_b32 v48, v41, v141
	s_waitcnt lgkmcnt(0)
	v_cndmask_b32_e64 v49, v141, v48, s0
	v_cndmask_b32_e32 v48, v141, v48, vcc_lo
	s_delay_alu instid0(VALU_DEP_2) | instskip(SKIP_1) | instid1(VALU_DEP_2)
	v_cndmask_b32_e64 v59, v49, v142, s1
	v_cvt_f16_f32_e32 v49, v49
	v_cndmask_b32_e64 v60, v59, v58, s0
	s_delay_alu instid0(VALU_DEP_4) | instskip(SKIP_1) | instid1(VALU_DEP_2)
	v_cndmask_b32_e64 v59, v48, v142, s2
	v_cvt_f16_f32_e32 v48, v48
	v_cndmask_b32_e32 v61, v59, v58, vcc_lo
	s_delay_alu instid0(VALU_DEP_4) | instskip(NEXT) | instid1(VALU_DEP_3)
	v_cvt_f16_f32_e32 v59, v60
	v_pack_b32_f16 v58, v49, v48
	v_mul_f32_e32 v48, 0x3fb8aa3b, v47
	s_delay_alu instid0(VALU_DEP_4) | instskip(NEXT) | instid1(VALU_DEP_2)
	v_cvt_f16_f32_e32 v62, v61
	v_fma_f32 v49, 0x3fb8aa3b, v47, -v48
	s_delay_alu instid0(VALU_DEP_2) | instskip(SKIP_1) | instid1(VALU_DEP_1)
	v_pack_b32_f16 v59, v59, v62
	v_rndne_f32_e32 v62, v48
	v_dual_fmac_f32 v49, 0x32a5705f, v47 :: v_dual_sub_f32 v48, v48, v62
	s_delay_alu instid0(VALU_DEP_1) | instskip(SKIP_1) | instid1(VALU_DEP_2)
	v_add_f32_e32 v48, v48, v49
	v_cvt_i32_f32_e32 v49, v62
	v_exp_f32_e32 v48, v48
	s_waitcnt_depctr 0xfff
	v_ldexp_f32 v48, v48, v49
	s_delay_alu instid0(VALU_DEP_1) | instskip(SKIP_1) | instid1(VALU_DEP_1)
	v_cndmask_b32_e64 v48, 0, v48, s3
	v_cmp_nlt_f32_e64 s3, 0x42b17218, v47
	v_cndmask_b32_e64 v143, 0x7f800000, v48, s3
	v_cmp_ngt_f32_e64 s3, 0xc2ce8ed0, v46
	ds_bpermute_b32 v49, v41, v143
	v_cndmask_b32_e64 v47, v60, v143, s1
	v_cndmask_b32_e64 v48, v61, v143, s2
	s_waitcnt lgkmcnt(0)
	s_delay_alu instid0(VALU_DEP_2) | instskip(NEXT) | instid1(VALU_DEP_2)
	v_cndmask_b32_e64 v47, v47, v49, s0
	v_cndmask_b32_e32 v48, v48, v49, vcc_lo
	s_delay_alu instid0(VALU_DEP_2) | instskip(NEXT) | instid1(VALU_DEP_2)
	v_cvt_f16_f32_e32 v49, v47
	v_cvt_f16_f32_e32 v60, v48
	s_delay_alu instid0(VALU_DEP_1) | instskip(SKIP_1) | instid1(VALU_DEP_1)
	v_pack_b32_f16 v60, v49, v60
	v_mul_f32_e32 v49, 0x3fb8aa3b, v46
	v_fma_f32 v61, 0x3fb8aa3b, v46, -v49
	v_rndne_f32_e32 v62, v49
	s_delay_alu instid0(VALU_DEP_2) | instskip(NEXT) | instid1(VALU_DEP_2)
	v_fmac_f32_e32 v61, 0x32a5705f, v46
	v_sub_f32_e32 v49, v49, v62
	s_delay_alu instid0(VALU_DEP_1) | instskip(SKIP_1) | instid1(VALU_DEP_2)
	v_add_f32_e32 v49, v49, v61
	v_cvt_i32_f32_e32 v61, v62
	v_exp_f32_e32 v49, v49
	s_waitcnt_depctr 0xfff
	v_ldexp_f32 v49, v49, v61
	s_delay_alu instid0(VALU_DEP_1) | instskip(SKIP_1) | instid1(VALU_DEP_1)
	v_cndmask_b32_e64 v49, 0, v49, s3
	v_cmp_nlt_f32_e64 s3, 0x42b17218, v46
	v_cndmask_b32_e64 v144, 0x7f800000, v49, s3
	v_cmp_ngt_f32_e64 s3, 0xc2ce8ed0, v45
	v_add_nc_u32_e32 v125, 0x3000, v78
	ds_load_2addr_b32 v[78:79], v126 offset0:192 offset1:208
	ds_load_2addr_b32 v[80:81], v115 offset0:4 offset1:20
	;; [unrolled: 1-line block ×6, first 2 shown]
	v_cndmask_b32_e64 v46, v47, v144, s1
	v_cndmask_b32_e64 v47, v48, v144, s2
	ds_bpermute_b32 v48, v41, v144
	ds_load_2addr_b32 v[90:91], v123 offset0:88 offset1:104
	ds_load_2addr_b32 v[92:93], v123 offset0:156 offset1:172
	;; [unrolled: 1-line block ×6, first 2 shown]
	s_waitcnt lgkmcnt(6)
	v_cndmask_b32_e64 v46, v46, v48, s0
	v_cndmask_b32_e32 v47, v47, v48, vcc_lo
	s_delay_alu instid0(VALU_DEP_2) | instskip(NEXT) | instid1(VALU_DEP_2)
	v_cvt_f16_f32_e32 v48, v46
	v_cvt_f16_f32_e32 v49, v47
	s_delay_alu instid0(VALU_DEP_1) | instskip(SKIP_1) | instid1(VALU_DEP_1)
	v_pack_b32_f16 v61, v48, v49
	v_mul_f32_e32 v48, 0x3fb8aa3b, v45
	v_fma_f32 v49, 0x3fb8aa3b, v45, -v48
	v_rndne_f32_e32 v62, v48
	s_delay_alu instid0(VALU_DEP_1) | instskip(NEXT) | instid1(VALU_DEP_1)
	v_dual_fmac_f32 v49, 0x32a5705f, v45 :: v_dual_sub_f32 v48, v48, v62
	v_add_f32_e32 v48, v48, v49
	v_cvt_i32_f32_e32 v49, v62
	s_delay_alu instid0(VALU_DEP_2) | instskip(SKIP_2) | instid1(VALU_DEP_1)
	v_exp_f32_e32 v48, v48
	s_waitcnt_depctr 0xfff
	v_ldexp_f32 v48, v48, v49
	v_cndmask_b32_e64 v48, 0, v48, s3
	v_cmp_nlt_f32_e64 s3, 0x42b17218, v45
	s_delay_alu instid0(VALU_DEP_1)
	v_cndmask_b32_e64 v145, 0x7f800000, v48, s3
	v_cmp_ngt_f32_e64 s3, 0xc2ce8ed0, v44
	v_add_nc_u32_e32 v77, 0x3000, v77
	ds_load_2addr_b32 v[101:102], v77 offset0:192 offset1:208
	ds_load_2addr_b32 v[103:104], v139 offset0:52 offset1:68
	v_cndmask_b32_e64 v45, v46, v145, s1
	v_cndmask_b32_e64 v46, v47, v145, s2
	ds_bpermute_b32 v47, v41, v145
	ds_load_2addr_b32 v[105:106], v139 offset0:120 offset1:136
	ds_load_2addr_b32 v[107:108], v139 offset0:188 offset1:204
	;; [unrolled: 1-line block ×18, first 2 shown]
	s_waitcnt lgkmcnt(0)
	s_barrier
	buffer_gl0_inv
	s_barrier
	buffer_gl0_inv
	v_cndmask_b32_e64 v45, v45, v47, s0
	v_cndmask_b32_e32 v46, v46, v47, vcc_lo
	v_perm_b32 v77, v120, v118, 0x7060302
	s_delay_alu instid0(VALU_DEP_3) | instskip(NEXT) | instid1(VALU_DEP_3)
	v_cvt_f16_f32_e32 v47, v45
	v_cvt_f16_f32_e32 v48, v46
	s_delay_alu instid0(VALU_DEP_1) | instskip(SKIP_1) | instid1(VALU_DEP_1)
	v_pack_b32_f16 v62, v47, v48
	v_mul_f32_e32 v47, 0x3fb8aa3b, v44
	v_fma_f32 v48, 0x3fb8aa3b, v44, -v47
	v_rndne_f32_e32 v49, v47
	s_delay_alu instid0(VALU_DEP_1) | instskip(NEXT) | instid1(VALU_DEP_1)
	v_dual_fmac_f32 v48, 0x32a5705f, v44 :: v_dual_sub_f32 v47, v47, v49
	v_add_f32_e32 v47, v47, v48
	v_cvt_i32_f32_e32 v48, v49
	v_perm_b32 v49, v107, v105, 0x5040100
	s_delay_alu instid0(VALU_DEP_3) | instskip(SKIP_2) | instid1(VALU_DEP_1)
	v_exp_f32_e32 v47, v47
	s_waitcnt_depctr 0xfff
	v_ldexp_f32 v47, v47, v48
	v_cndmask_b32_e64 v47, 0, v47, s3
	v_cmp_nlt_f32_e64 s3, 0x42b17218, v44
	s_delay_alu instid0(VALU_DEP_1) | instskip(SKIP_1) | instid1(VALU_DEP_2)
	v_cndmask_b32_e64 v146, 0x7f800000, v47, s3
	v_cmp_ngt_f32_e64 s3, 0xc2ce8ed0, v43
	v_cndmask_b32_e64 v44, v45, v146, s1
	v_cndmask_b32_e64 v45, v46, v146, s2
	ds_bpermute_b32 v46, v41, v146
	s_waitcnt lgkmcnt(0)
	v_cndmask_b32_e64 v44, v44, v46, s0
	v_cndmask_b32_e32 v45, v45, v46, vcc_lo
	s_delay_alu instid0(VALU_DEP_2) | instskip(NEXT) | instid1(VALU_DEP_2)
	v_cvt_f16_f32_e32 v46, v44
	v_cvt_f16_f32_e32 v47, v45
	s_delay_alu instid0(VALU_DEP_1) | instskip(SKIP_1) | instid1(VALU_DEP_1)
	v_pack_b32_f16 v63, v46, v47
	v_mul_f32_e32 v46, 0x3fb8aa3b, v43
	v_fma_f32 v47, 0x3fb8aa3b, v43, -v46
	v_rndne_f32_e32 v48, v46
	s_delay_alu instid0(VALU_DEP_1) | instskip(NEXT) | instid1(VALU_DEP_1)
	v_dual_fmac_f32 v47, 0x32a5705f, v43 :: v_dual_sub_f32 v46, v46, v48
	v_add_f32_e32 v46, v46, v47
	v_cvt_i32_f32_e32 v47, v48
	v_perm_b32 v48, v103, v101, 0x5040100
	s_delay_alu instid0(VALU_DEP_3) | instskip(SKIP_2) | instid1(VALU_DEP_1)
	v_exp_f32_e32 v46, v46
	s_waitcnt_depctr 0xfff
	v_ldexp_f32 v46, v46, v47
	v_cndmask_b32_e64 v46, 0, v46, s3
	v_cmp_nlt_f32_e64 s3, 0x42b17218, v43
	s_delay_alu instid0(VALU_DEP_1) | instskip(SKIP_1) | instid1(VALU_DEP_2)
	v_cndmask_b32_e64 v147, 0x7f800000, v46, s3
	v_cmp_ngt_f32_e64 s3, 0xc2ce8ed0, v42
	v_cndmask_b32_e64 v43, v44, v147, s1
	v_cndmask_b32_e64 v44, v45, v147, s2
	ds_bpermute_b32 v45, v41, v147
	s_waitcnt lgkmcnt(0)
	v_cndmask_b32_e64 v43, v43, v45, s0
	v_cndmask_b32_e32 v44, v44, v45, vcc_lo
	s_delay_alu instid0(VALU_DEP_2) | instskip(NEXT) | instid1(VALU_DEP_2)
	v_cvt_f16_f32_e32 v45, v43
	v_cvt_f16_f32_e32 v46, v44
	s_delay_alu instid0(VALU_DEP_1) | instskip(SKIP_1) | instid1(VALU_DEP_1)
	v_pack_b32_f16 v64, v45, v46
	v_mul_f32_e32 v45, 0x3fb8aa3b, v42
	v_fma_f32 v46, 0x3fb8aa3b, v42, -v45
	v_rndne_f32_e32 v47, v45
	s_delay_alu instid0(VALU_DEP_1) | instskip(NEXT) | instid1(VALU_DEP_1)
	v_dual_fmac_f32 v46, 0x32a5705f, v42 :: v_dual_sub_f32 v45, v45, v47
	v_add_f32_e32 v45, v45, v46
	v_cvt_i32_f32_e32 v46, v47
	v_perm_b32 v47, v99, v75, 0x5040100
	s_delay_alu instid0(VALU_DEP_3) | instskip(SKIP_3) | instid1(VALU_DEP_2)
	v_exp_f32_e32 v45, v45
	s_waitcnt_depctr 0xfff
	v_ldexp_f32 v45, v45, v46
	v_perm_b32 v46, v96, v94, 0x5040100
	v_cndmask_b32_e64 v45, 0, v45, s3
	v_cmp_nlt_f32_e64 s3, 0x42b17218, v42
	s_delay_alu instid0(VALU_DEP_1) | instskip(SKIP_1) | instid1(VALU_DEP_2)
	v_cndmask_b32_e64 v148, 0x7f800000, v45, s3
	v_perm_b32 v45, v92, v90, 0x5040100
	v_cndmask_b32_e64 v42, v43, v148, s1
	v_cndmask_b32_e64 v43, v44, v148, s2
	ds_bpermute_b32 v44, v41, v148
	s_waitcnt lgkmcnt(0)
	v_cndmask_b32_e64 v42, v42, v44, s0
	v_cndmask_b32_e32 v43, v43, v44, vcc_lo
	v_perm_b32 v44, v88, v86, 0x5040100
	s_mov_b32 s0, exec_lo
	s_delay_alu instid0(VALU_DEP_3) | instskip(NEXT) | instid1(VALU_DEP_3)
	v_cvt_f16_f32_e32 v42, v42
	v_cvt_f16_f32_e32 v43, v43
	s_delay_alu instid0(VALU_DEP_1) | instskip(SKIP_2) | instid1(VALU_DEP_1)
	v_pack_b32_f16 v65, v42, v43
	v_perm_b32 v42, v80, v78, 0x5040100
	v_perm_b32 v43, v84, v82, 0x5040100
	v_wmma_f16_16x16x16_f16 v[24:31], v[42:49], v[58:65], v[24:31]
	v_perm_b32 v42, v81, v79, 0x5040100
	v_perm_b32 v43, v85, v83, 0x5040100
	v_perm_b32 v44, v89, v87, 0x5040100
	v_perm_b32 v45, v93, v91, 0x5040100
	v_perm_b32 v46, v97, v95, 0x5040100
	v_perm_b32 v47, v100, v76, 0x5040100
	v_perm_b32 v48, v104, v102, 0x5040100
	v_perm_b32 v49, v108, v106, 0x5040100
	s_delay_alu instid0(VALU_DEP_1)
	v_wmma_f16_16x16x16_f16 v[16:23], v[42:49], v[58:65], v[16:23]
	v_perm_b32 v42, v111, v109, 0x5040100
	v_perm_b32 v43, v115, v113, 0x5040100
	v_perm_b32 v44, v119, v117, 0x5040100
	v_perm_b32 v45, v123, v121, 0x5040100
	v_perm_b32 v46, v127, v125, 0x5040100
	v_perm_b32 v47, v131, v129, 0x5040100
	v_perm_b32 v48, v135, v133, 0x5040100
	v_perm_b32 v49, v139, v137, 0x5040100
	s_delay_alu instid0(VALU_DEP_1)
	;; [unrolled: 10-line block ×3, first 2 shown]
	v_wmma_f16_16x16x16_f16 v[0:7], v[42:49], v[58:65], v[0:7]
	v_perm_b32 v42, v80, v78, 0x7060302
	v_perm_b32 v43, v84, v82, 0x7060302
	;; [unrolled: 1-line block ×12, first 2 shown]
	v_wmma_f16_16x16x16_f16 v[24:31], v[42:49], v[58:65], v[24:31] op_sel:[0,0,1]
	v_perm_b32 v42, v81, v79, 0x7060302
	v_perm_b32 v43, v85, v83, 0x7060302
	;; [unrolled: 1-line block ×11, first 2 shown]
	s_delay_alu instid0(VALU_DEP_4)
	v_wmma_f16_16x16x16_f16 v[16:23], v[42:49], v[58:65], v[16:23] op_sel:[0,0,1]
	v_add_f32_e32 v49, v67, v68
	v_perm_b32 v42, v111, v109, 0x7060302
	v_perm_b32 v43, v115, v113, 0x7060302
	;; [unrolled: 1-line block ×4, first 2 shown]
	v_add_f32_e32 v49, v69, v49
	v_perm_b32 v46, v127, v125, 0x7060302
	v_perm_b32 v47, v131, v129, 0x7060302
	;; [unrolled: 1-line block ×3, first 2 shown]
	v_wmma_f16_16x16x16_f16 v[0:7], v[75:82], v[58:65], v[0:7] op_sel:[0,0,1]
	v_add_f32_e32 v49, v70, v49
	s_delay_alu instid0(VALU_DEP_1) | instskip(NEXT) | instid1(VALU_DEP_1)
	v_add_f32_e32 v49, v71, v49
	v_add_f32_e32 v49, v72, v49
	s_delay_alu instid0(VALU_DEP_1) | instskip(NEXT) | instid1(VALU_DEP_1)
	v_add_f32_e32 v49, v73, v49
	v_add_f32_e32 v49, v74, v49
	s_delay_alu instid0(VALU_DEP_1) | instskip(SKIP_1) | instid1(VALU_DEP_2)
	v_add_f32_e32 v32, v32, v49
	v_perm_b32 v49, v139, v137, 0x7060302
	v_add_f32_e32 v32, v33, v32
	s_delay_alu instid0(VALU_DEP_2) | instskip(NEXT) | instid1(VALU_DEP_2)
	v_wmma_f16_16x16x16_f16 v[8:15], v[42:49], v[58:65], v[8:15] op_sel:[0,0,1]
	v_add_f32_e32 v32, v34, v32
	s_delay_alu instid0(VALU_DEP_1) | instskip(NEXT) | instid1(VALU_DEP_1)
	v_add_f32_e32 v32, v35, v32
	v_add_f32_e32 v32, v36, v32
	s_delay_alu instid0(VALU_DEP_1) | instskip(NEXT) | instid1(VALU_DEP_1)
	v_add_f32_e32 v32, v37, v32
	;; [unrolled: 3-line block ×11, first 2 shown]
	v_fmac_f32_e32 v32, v188, v66
	ds_bpermute_b32 v33, v41, v32
	v_cmpx_gt_u32_e32 16, v169
	s_cbranch_execz .LBB24_432
; %bb.431:
	v_readlane_b32 s1, v255, 7
	v_or_b32_e32 v34, v190, v169
	v_mov_b32_e32 v35, 0
	s_mov_b32 s3, s16
	s_waitcnt lgkmcnt(0)
	v_add_f32_e32 v41, v32, v33
	s_add_i32 s1, s1, s24
	v_lshlrev_b64 v[34:35], 3, v[34:35]
	s_lshl_b32 s2, s1, 6
	s_delay_alu instid0(SALU_CYCLE_1) | instskip(NEXT) | instid1(SALU_CYCLE_1)
	s_lshl_b64 s[2:3], s[2:3], 3
	s_add_u32 s1, s30, s2
	s_addc_u32 s2, s31, s3
	s_delay_alu instid0(VALU_DEP_1)
	v_add_co_u32 v34, vcc_lo, s1, v34
	v_add_co_ci_u32_e32 v35, vcc_lo, s2, v35, vcc_lo
	global_store_b64 v[34:35], v[40:41], off
.LBB24_432:
	s_or_b32 exec_lo, exec_lo, s0
	v_or_b32_e32 v32, v190, v185
	v_readlane_b32 s2, v255, 4
	v_readlane_b32 s3, v255, 5
	s_mov_b32 s1, s16
	s_delay_alu instid0(VALU_DEP_3) | instskip(NEXT) | instid1(VALU_DEP_1)
	v_mad_i32_i24 v32, 0x44, v32, v191
	v_lshl_add_u32 v32, v32, 2, 0
	ds_store_2addr_b32 v32, v24, v25 offset1:2
	ds_store_2addr_b32 v32, v26, v27 offset0:4 offset1:6
	ds_store_2addr_b32 v32, v28, v29 offset0:8 offset1:10
	;; [unrolled: 1-line block ×15, first 2 shown]
	v_lshl_add_u32 v2, v197, 2, v98
	s_waitcnt lgkmcnt(0)
	s_waitcnt_vscnt null, 0x0
	s_barrier
	buffer_gl0_inv
	s_load_b32 s0, s[2:3], 0x10
	ds_load_2addr_b32 v[3:4], v2 offset1:32
	v_dual_mov_b32 v1, 0 :: v_dual_lshlrev_b32 v0, 2, v193
	s_load_b32 s2, s[2:3], 0x0
	s_mov_b32 s3, s16
	v_add_nc_u32_e32 v13, 0x110, v184
	s_delay_alu instid0(VALU_DEP_2) | instskip(SKIP_3) | instid1(VALU_DEP_4)
	v_sub_nc_u32_e32 v0, v184, v0
	v_lshlrev_b32_e32 v12, 2, v189
	v_add_nc_u32_e32 v14, 0x800, v2
	v_lshlrev_b32_e32 v19, 6, v181
	v_lshlrev_b64 v[5:6], 3, v[0:1]
	s_waitcnt lgkmcnt(0)
	s_lshr_b32 s0, s0, 16
	v_cvt_f32_f16_e32 v0, v3
	v_lshrrev_b32_e32 v3, 16, v3
	v_cvt_f32_f16_e32 v9, v4
	v_lshrrev_b32_e32 v10, 16, v4
	s_cmp_lg_u32 s0, 0
	s_delay_alu instid0(VALU_DEP_3)
	v_cvt_f32_f16_e32 v4, v3
	v_add_nc_u32_e32 v7, 0x400, v2
	s_cselect_b32 s0, -1, 0
	v_add_f32_e32 v3, 0, v0
	s_cmp_lg_u32 s0, 0
	v_add_f32_e32 v4, 0, v4
	ds_load_2addr_b32 v[7:8], v7 offset0:16 offset1:48
	s_addc_u32 s0, s2, 0
	v_cvt_f32_f16_e32 v0, v10
	s_lshl_b32 s0, s0, 7
	v_lshlrev_b32_e32 v11, 6, v193
	s_lshl_b64 s[0:1], s[0:1], 3
	v_add_f32_e32 v9, 0, v9
	s_add_u32 s4, s30, s0
	s_addc_u32 s5, s31, s1
	s_lshl_b32 s2, s24, 12
	v_add_f32_e32 v10, 0, v0
	s_lshl_b64 s[0:1], s[2:3], 3
	v_add_lshl_u32 v16, v169, v11, 3
	s_add_u32 s0, s4, s0
	s_addc_u32 s1, s5, s1
	v_add_co_u32 v5, vcc_lo, s0, v5
	v_sub_nc_u32_e32 v0, v13, v12
	ds_load_2addr_b32 v[11:12], v14 offset0:32 offset1:64
	v_add_co_ci_u32_e32 v6, vcc_lo, s1, v6, vcc_lo
	s_waitcnt lgkmcnt(1)
	v_lshrrev_b32_e32 v15, 16, v7
	v_cvt_f32_f16_e32 v7, v7
	global_store_b64 v[5:6], v[3:4], off
	v_lshlrev_b64 v[3:4], 3, v[0:1]
	v_cvt_f32_f16_e32 v14, v15
	v_lshrrev_b32_e32 v0, 16, v8
	global_store_b64 v16, v[9:10], s[0:1] offset:256
	v_add_f32_e32 v5, 0, v7
	v_cvt_f32_f16_e32 v7, v8
	v_lshlrev_b32_e32 v8, 6, v189
	v_add_co_u32 v3, vcc_lo, s0, v3
	v_add_f32_e32 v6, 0, v14
	v_add_co_ci_u32_e32 v4, vcc_lo, s1, v4, vcc_lo
	v_cvt_f32_f16_e32 v0, v0
	v_lshlrev_b32_e32 v9, 2, v187
	v_and_or_b32 v10, 0x7f0, v182, v175
	global_store_b64 v[3:4], v[5:6], off
	v_dual_add_f32 v3, 0, v7 :: v_dual_add_nc_u32 v6, 0xc00, v2
	v_add_f32_e32 v4, 0, v0
	s_waitcnt lgkmcnt(0)
	v_lshrrev_b32_e32 v0, 16, v11
	v_sub_nc_u32_e32 v5, v13, v9
	v_add_lshl_u32 v7, v169, v8, 3
	v_cvt_f32_f16_e32 v8, v11
	v_mul_u32_u24_e32 v10, 0x44, v10
	v_cvt_f32_f16_e32 v9, v0
	v_add_nc_u32_e32 v0, 0x110, v5
	ds_load_2addr_b32 v[5:6], v6 offset0:48 offset1:80
	global_store_b64 v7, v[3:4], s[0:1] offset:256
	v_add_f32_e32 v3, 0, v8
	v_dual_add_f32 v4, 0, v9 :: v_dual_lshlrev_b32 v11, 6, v187
	v_lshrrev_b32_e32 v9, 16, v12
	v_lshlrev_b64 v[7:8], 3, v[0:1]
	v_cvt_f32_f16_e32 v0, v12
	v_lshl_add_u32 v14, v10, 2, v98
	v_add_lshl_u32 v16, v169, v11, 3
	v_cvt_f32_f16_e32 v12, v9
	v_add_co_u32 v7, vcc_lo, s0, v7
	v_add_co_ci_u32_e32 v8, vcc_lo, s1, v8, vcc_lo
	v_dual_add_f32 v9, 0, v0 :: v_dual_lshlrev_b32 v0, 2, v183
	s_waitcnt lgkmcnt(0)
	v_lshrrev_b32_e32 v15, 16, v5
	v_cvt_f32_f16_e32 v5, v5
	v_add_f32_e32 v10, 0, v12
	ds_load_2addr_b32 v[11:12], v14 offset1:32
	s_clause 0x1
	global_store_b64 v[7:8], v[3:4], off
	global_store_b64 v16, v[9:10], s[0:1] offset:256
	v_add_f32_e32 v7, 0, v5
	v_cvt_f32_f16_e32 v14, v15
	v_add_nc_u32_e32 v13, 0x330, v184
	v_cvt_f32_f16_e32 v9, v6
	v_lshlrev_b32_e32 v10, 6, v183
	s_delay_alu instid0(VALU_DEP_4) | instskip(NEXT) | instid1(VALU_DEP_4)
	v_add_f32_e32 v8, 0, v14
	v_sub_nc_u32_e32 v0, v13, v0
	s_delay_alu instid0(VALU_DEP_1) | instskip(SKIP_1) | instid1(VALU_DEP_2)
	v_lshlrev_b64 v[3:4], 3, v[0:1]
	v_lshrrev_b32_e32 v0, 16, v6
	v_add_co_u32 v3, vcc_lo, s0, v3
	s_delay_alu instid0(VALU_DEP_3) | instskip(NEXT) | instid1(VALU_DEP_3)
	v_add_co_ci_u32_e32 v4, vcc_lo, s1, v4, vcc_lo
	v_cvt_f32_f16_e32 v0, v0
	v_add_nc_u32_e32 v5, 0x1400, v2
	global_store_b64 v[3:4], v[7:8], off
	s_waitcnt lgkmcnt(0)
	v_lshrrev_b32_e32 v7, 16, v11
	v_add_f32_e32 v4, 0, v0
	ds_load_2addr_b32 v[5:6], v5 offset0:80 offset1:112
	v_add_f32_e32 v3, 0, v9
	v_cvt_f32_f16_e32 v8, v11
	v_add_lshl_u32 v17, v169, v10, 3
	v_lshlrev_b32_e32 v0, 6, v182
	v_cvt_f32_f16_e32 v9, v7
	v_lshrrev_b32_e32 v10, 16, v12
	v_add_f32_e32 v7, 0, v8
	v_cvt_f32_f16_e32 v11, v12
	v_lshlrev_b32_e32 v12, 2, v181
	v_add_f32_e32 v8, 0, v9
	v_add_lshl_u32 v18, v169, v0, 3
	v_cvt_f32_f16_e32 v0, v10
	v_add_f32_e32 v9, 0, v11
	v_sub_nc_u32_e32 v11, v13, v12
	s_delay_alu instid0(VALU_DEP_3)
	v_dual_add_f32 v10, 0, v0 :: v_dual_add_nc_u32 v13, 0x1800, v2
	s_waitcnt lgkmcnt(0)
	v_lshrrev_b32_e32 v12, 16, v5
	v_cvt_f32_f16_e32 v5, v5
	v_add_nc_u32_e32 v0, 0x220, v11
	v_lshrrev_b32_e32 v20, 16, v6
	s_delay_alu instid0(VALU_DEP_4) | instskip(NEXT) | instid1(VALU_DEP_4)
	v_cvt_f32_f16_e32 v16, v12
	v_add_f32_e32 v15, 0, v5
	ds_load_2addr_b32 v[11:12], v13 offset0:96 offset1:128
	v_lshlrev_b64 v[13:14], 3, v[0:1]
	v_cvt_f32_f16_e32 v0, v6
	v_cvt_f32_f16_e32 v20, v20
	v_add_f32_e32 v16, 0, v16
	s_delay_alu instid0(VALU_DEP_4)
	v_add_co_u32 v5, vcc_lo, s0, v13
	v_add_co_ci_u32_e32 v6, vcc_lo, s1, v14, vcc_lo
	v_add_f32_e32 v13, 0, v0
	v_add_f32_e32 v14, 0, v20
	v_add_lshl_u32 v0, v169, v19, 3
	s_clause 0x4
	global_store_b64 v17, v[3:4], s[0:1] offset:256
	global_store_b64 v18, v[7:8], s[0:1]
	global_store_b64 v18, v[9:10], s[0:1] offset:256
	global_store_b64 v[5:6], v[15:16], off
	global_store_b64 v0, v[13:14], s[0:1] offset:256
	v_add_nc_u32_e32 v3, 0x1c00, v2
	v_add_nc_u32_e32 v10, 0x660, v184
	v_lshlrev_b32_e32 v5, 2, v180
	v_and_or_b32 v13, 0x7f0, v178, v175
	s_waitcnt lgkmcnt(0)
	v_lshrrev_b32_e32 v0, 16, v11
	v_cvt_f32_f16_e32 v6, v11
	ds_load_2addr_b32 v[3:4], v3 offset0:112 offset1:144
	v_lshrrev_b32_e32 v9, 16, v12
	v_mul_u32_u24_e32 v13, 0x44, v13
	v_cvt_f32_f16_e32 v7, v0
	v_sub_nc_u32_e32 v0, v10, v5
	v_add_f32_e32 v5, 0, v6
	s_delay_alu instid0(VALU_DEP_3) | instskip(NEXT) | instid1(VALU_DEP_3)
	v_dual_add_f32 v6, 0, v7 :: v_dual_lshlrev_b32 v11, 6, v180
	v_lshlrev_b64 v[7:8], 3, v[0:1]
	v_cvt_f32_f16_e32 v0, v12
	v_lshlrev_b32_e32 v14, 2, v179
	v_cvt_f32_f16_e32 v12, v9
	v_add_lshl_u32 v15, v169, v11, 3
	s_delay_alu instid0(VALU_DEP_4)
	v_add_f32_e32 v9, 0, v0
	v_lshl_add_u32 v0, v13, 2, v98
	v_sub_nc_u32_e32 v13, v10, v14
	v_add_co_u32 v7, vcc_lo, s0, v7
	v_add_f32_e32 v10, 0, v12
	ds_load_2addr_b32 v[11:12], v0 offset1:32
	v_add_co_ci_u32_e32 v8, vcc_lo, s1, v8, vcc_lo
	v_add_nc_u32_e32 v0, 0x110, v13
	s_waitcnt lgkmcnt(1)
	v_lshrrev_b32_e32 v14, 16, v3
	v_cvt_f32_f16_e32 v3, v3
	s_clause 0x1
	global_store_b64 v[7:8], v[5:6], off
	global_store_b64 v15, v[9:10], s[0:1] offset:256
	v_cvt_f32_f16_e32 v9, v4
	v_lshlrev_b64 v[5:6], 3, v[0:1]
	v_cvt_f32_f16_e32 v13, v14
	v_add_f32_e32 v7, 0, v3
	v_add_nc_u32_e32 v3, 0x2400, v2
	v_lshrrev_b32_e32 v0, 16, v4
	v_lshlrev_b32_e32 v10, 6, v179
	v_add_co_u32 v5, vcc_lo, s0, v5
	v_add_f32_e32 v8, 0, v13
	v_add_co_ci_u32_e32 v6, vcc_lo, s1, v6, vcc_lo
	ds_load_2addr_b32 v[3:4], v3 offset0:144 offset1:176
	v_cvt_f32_f16_e32 v0, v0
	v_add_nc_u32_e32 v15, 0x990, v184
	global_store_b64 v[5:6], v[7:8], off
	s_waitcnt lgkmcnt(1)
	v_lshrrev_b32_e32 v7, 16, v11
	v_dual_add_f32 v5, 0, v9 :: v_dual_add_f32 v6, 0, v0
	v_lshlrev_b32_e32 v9, 6, v178
	v_add_lshl_u32 v13, v169, v10, 3
	v_cvt_f32_f16_e32 v0, v11
	v_cvt_f32_f16_e32 v8, v7
	v_lshrrev_b32_e32 v10, 16, v12
	v_cvt_f32_f16_e32 v11, v12
	v_add_lshl_u32 v14, v169, v9, 3
	v_dual_add_f32 v7, 0, v0 :: v_dual_add_nc_u32 v12, 0x2800, v2
	v_add_f32_e32 v8, 0, v8
	v_cvt_f32_f16_e32 v0, v10
	v_add_f32_e32 v9, 0, v11
	v_lshlrev_b32_e32 v11, 2, v177
	s_waitcnt lgkmcnt(0)
	v_lshrrev_b32_e32 v16, 16, v3
	v_cvt_f32_f16_e32 v3, v3
	v_add_f32_e32 v10, 0, v0
	v_sub_nc_u32_e32 v0, v15, v11
	ds_load_2addr_b32 v[11:12], v12 offset0:160 offset1:192
	s_clause 0x1
	global_store_b64 v13, v[5:6], s[0:1] offset:256
	global_store_b64 v14, v[7:8], s[0:1]
	v_add_f32_e32 v7, 0, v3
	v_cvt_f32_f16_e32 v16, v16
	v_lshlrev_b64 v[5:6], 3, v[0:1]
	v_lshrrev_b32_e32 v0, 16, v4
	global_store_b64 v14, v[9:10], s[0:1] offset:256
	v_cvt_f32_f16_e32 v3, v4
	v_dual_add_f32 v8, 0, v16 :: v_dual_lshlrev_b32 v9, 6, v177
	v_add_co_u32 v5, vcc_lo, s0, v5
	v_add_co_ci_u32_e32 v6, vcc_lo, s1, v6, vcc_lo
	v_cvt_f32_f16_e32 v0, v0
	v_dual_add_f32 v3, 0, v3 :: v_dual_lshlrev_b32 v10, 2, v176
	global_store_b64 v[5:6], v[7:8], off
	v_add_lshl_u32 v7, v169, v9, 3
	v_add_f32_e32 v4, 0, v0
	s_waitcnt lgkmcnt(0)
	v_lshrrev_b32_e32 v0, 16, v11
	v_sub_nc_u32_e32 v5, v15, v10
	v_cvt_f32_f16_e32 v8, v11
	v_add_nc_u32_e32 v6, 0x2c00, v2
	global_store_b64 v7, v[3:4], s[0:1] offset:256
	v_cvt_f32_f16_e32 v9, v0
	v_dual_add_f32 v3, 0, v8 :: v_dual_add_nc_u32 v0, 0x110, v5
	ds_load_2addr_b32 v[5:6], v6 offset0:176 offset1:208
	v_and_or_b32 v10, 0x7f0, v173, v175
	v_add_f32_e32 v4, 0, v9
	v_lshrrev_b32_e32 v9, 16, v12
	v_lshlrev_b64 v[7:8], 3, v[0:1]
	v_cvt_f32_f16_e32 v0, v12
	v_mul_u32_u24_e32 v10, 0x44, v10
	v_lshlrev_b32_e32 v11, 6, v176
	v_cvt_f32_f16_e32 v12, v9
	v_add_nc_u32_e32 v13, 0xbb0, v184
	v_dual_add_f32 v9, 0, v0 :: v_dual_lshlrev_b32 v0, 2, v174
	v_lshl_add_u32 v14, v10, 2, v98
	v_add_co_u32 v7, vcc_lo, s0, v7
	v_add_f32_e32 v10, 0, v12
	v_add_lshl_u32 v16, v169, v11, 3
	ds_load_2addr_b32 v[11:12], v14 offset1:32
	v_add_co_ci_u32_e32 v8, vcc_lo, s1, v8, vcc_lo
	v_sub_nc_u32_e32 v0, v13, v0
	s_waitcnt lgkmcnt(1)
	v_lshrrev_b32_e32 v15, 16, v5
	v_cvt_f32_f16_e32 v5, v5
	s_clause 0x1
	global_store_b64 v[7:8], v[3:4], off
	global_store_b64 v16, v[9:10], s[0:1] offset:256
	v_cvt_f32_f16_e32 v9, v6
	v_lshlrev_b64 v[3:4], 3, v[0:1]
	v_cvt_f32_f16_e32 v14, v15
	v_add_f32_e32 v7, 0, v5
	v_add_nc_u32_e32 v5, 0x3400, v2
	v_lshrrev_b32_e32 v0, 16, v6
	v_lshlrev_b32_e32 v10, 6, v174
	v_add_co_u32 v3, vcc_lo, s0, v3
	v_add_f32_e32 v8, 0, v14
	v_add_co_ci_u32_e32 v4, vcc_lo, s1, v4, vcc_lo
	ds_load_2addr_b32 v[5:6], v5 offset0:208 offset1:240
	v_cvt_f32_f16_e32 v0, v0
	global_store_b64 v[3:4], v[7:8], off
	v_add_f32_e32 v3, 0, v9
	s_waitcnt lgkmcnt(1)
	v_lshrrev_b32_e32 v7, 16, v11
	v_cvt_f32_f16_e32 v8, v11
	v_add_f32_e32 v4, 0, v0
	v_add_lshl_u32 v15, v169, v10, 3
	v_lshlrev_b32_e32 v10, 2, v172
	v_cvt_f32_f16_e32 v9, v7
	v_lshrrev_b32_e32 v11, 16, v12
	v_cvt_f32_f16_e32 v12, v12
	v_dual_add_f32 v7, 0, v8 :: v_dual_lshlrev_b32 v0, 6, v173
	s_delay_alu instid0(VALU_DEP_2) | instskip(NEXT) | instid1(VALU_DEP_2)
	v_dual_add_f32 v8, 0, v9 :: v_dual_add_f32 v9, 0, v12
	v_add_lshl_u32 v16, v169, v0, 3
	v_sub_nc_u32_e32 v0, v13, v10
	s_waitcnt lgkmcnt(0)
	v_lshrrev_b32_e32 v13, 16, v5
	v_cvt_f32_f16_e32 v10, v11
	v_add_nc_u32_e32 v11, 0x3a00, v2
	v_cvt_f32_f16_e32 v5, v5
	v_add_nc_u32_e32 v0, 0x220, v0
	v_cvt_f32_f16_e32 v17, v13
	v_add_f32_e32 v10, 0, v10
	ds_load_2addr_b32 v[11:12], v11 offset0:96 offset1:128
	s_clause 0x1
	global_store_b64 v15, v[3:4], s[0:1] offset:256
	global_store_b64 v16, v[7:8], s[0:1]
	v_lshlrev_b64 v[13:14], 3, v[0:1]
	v_add_f32_e32 v3, 0, v5
	v_add_f32_e32 v4, 0, v17
	v_lshrrev_b32_e32 v0, 16, v6
	global_store_b64 v16, v[9:10], s[0:1] offset:256
	v_cvt_f32_f16_e32 v5, v6
	v_add_co_u32 v7, vcc_lo, s0, v13
	v_add_co_ci_u32_e32 v8, vcc_lo, s1, v14, vcc_lo
	v_cvt_f32_f16_e32 v0, v0
	v_lshlrev_b32_e32 v6, 6, v172
	global_store_b64 v[7:8], v[3:4], off
	v_dual_add_f32 v2, 0, v5 :: v_dual_add_nc_u32 v3, 0x3e00, v2
	v_add_lshl_u32 v14, v169, v6, 3
	v_lshlrev_b32_e32 v8, 2, v171
	s_waitcnt lgkmcnt(0)
	v_cvt_f32_f16_e32 v6, v11
	ds_load_2addr_b32 v[4:5], v3 offset0:112 offset1:144
	v_lshlrev_b32_e32 v13, 6, v171
	v_add_f32_e32 v3, 0, v0
	v_lshrrev_b32_e32 v7, 16, v11
	v_add_f32_e32 v6, 0, v6
	v_lshrrev_b32_e32 v11, 16, v12
	v_add_lshl_u32 v16, v169, v13, 3
	s_delay_alu instid0(VALU_DEP_4) | instskip(NEXT) | instid1(VALU_DEP_3)
	v_cvt_f32_f16_e32 v7, v7
	v_cvt_f32_f16_e32 v11, v11
	s_delay_alu instid0(VALU_DEP_2) | instskip(NEXT) | instid1(VALU_DEP_2)
	v_add_f32_e32 v7, 0, v7
	v_add_f32_e32 v11, 0, v11
	s_waitcnt lgkmcnt(0)
	v_lshrrev_b32_e32 v15, 16, v4
	v_cvt_f32_f16_e32 v4, v4
	v_lshrrev_b32_e32 v17, 16, v5
	s_delay_alu instid0(VALU_DEP_3) | instskip(SKIP_2) | instid1(VALU_DEP_3)
	v_cvt_f32_f16_e32 v13, v15
	v_add_nc_u32_e32 v10, 0xee0, v184
	v_lshlrev_b32_e32 v15, 6, v170
	v_add_f32_e32 v13, 0, v13
	s_delay_alu instid0(VALU_DEP_3) | instskip(NEXT) | instid1(VALU_DEP_3)
	v_sub_nc_u32_e32 v0, v10, v8
	v_add_lshl_u32 v15, v169, v15, 3
	s_delay_alu instid0(VALU_DEP_2) | instskip(SKIP_2) | instid1(VALU_DEP_3)
	v_lshlrev_b64 v[8:9], 3, v[0:1]
	v_cvt_f32_f16_e32 v0, v12
	v_lshlrev_b32_e32 v12, 2, v170
	v_add_co_u32 v8, vcc_lo, s0, v8
	s_delay_alu instid0(VALU_DEP_2) | instskip(NEXT) | instid1(VALU_DEP_4)
	v_sub_nc_u32_e32 v12, v10, v12
	v_add_f32_e32 v10, 0, v0
	v_add_co_ci_u32_e32 v9, vcc_lo, s1, v9, vcc_lo
	s_delay_alu instid0(VALU_DEP_3) | instskip(SKIP_3) | instid1(VALU_DEP_4)
	v_add_nc_u32_e32 v0, 0x110, v12
	v_add_f32_e32 v12, 0, v4
	v_cvt_f32_f16_e32 v4, v5
	v_cvt_f32_f16_e32 v5, v17
	v_lshlrev_b64 v[0:1], 3, v[0:1]
	s_delay_alu instid0(VALU_DEP_2) | instskip(NEXT) | instid1(VALU_DEP_2)
	v_dual_add_f32 v4, 0, v4 :: v_dual_add_f32 v5, 0, v5
	v_add_co_u32 v0, vcc_lo, s0, v0
	s_delay_alu instid0(VALU_DEP_3)
	v_add_co_ci_u32_e32 v1, vcc_lo, s1, v1, vcc_lo
	s_clause 0x4
	global_store_b64 v14, v[2:3], s[0:1] offset:256
	global_store_b64 v[8:9], v[6:7], off
	global_store_b64 v16, v[10:11], s[0:1] offset:256
	global_store_b64 v[0:1], v[12:13], off
	global_store_b64 v15, v[4:5], s[0:1] offset:256
	s_nop 0
	s_sendmsg sendmsg(MSG_DEALLOC_VGPRS)
	s_endpgm
	.section	.rodata,"a",@progbits
	.p2align	6, 0x0
	.amdhsa_kernel _ZL18flash_attn_ext_f16ILi128ELi128ELi16ELi4ELb0ELb0EEvPKcS1_S1_S1_S1_PKiPfP15HIP_vector_typeIfLj2EEffffjfiS5_IjLj3EEiiiiiiiiiiiliiliiiiil
		.amdhsa_group_segment_fixed_size 0
		.amdhsa_private_segment_fixed_size 920
		.amdhsa_kernarg_size 464
		.amdhsa_user_sgpr_count 15
		.amdhsa_user_sgpr_dispatch_ptr 0
		.amdhsa_user_sgpr_queue_ptr 0
		.amdhsa_user_sgpr_kernarg_segment_ptr 1
		.amdhsa_user_sgpr_dispatch_id 0
		.amdhsa_user_sgpr_private_segment_size 0
		.amdhsa_wavefront_size32 1
		.amdhsa_uses_dynamic_stack 0
		.amdhsa_enable_private_segment 1
		.amdhsa_system_sgpr_workgroup_id_x 1
		.amdhsa_system_sgpr_workgroup_id_y 0
		.amdhsa_system_sgpr_workgroup_id_z 0
		.amdhsa_system_sgpr_workgroup_info 0
		.amdhsa_system_vgpr_workitem_id 1
		.amdhsa_next_free_vgpr 256
		.amdhsa_next_free_sgpr 105
		.amdhsa_reserve_vcc 1
		.amdhsa_float_round_mode_32 0
		.amdhsa_float_round_mode_16_64 0
		.amdhsa_float_denorm_mode_32 3
		.amdhsa_float_denorm_mode_16_64 3
		.amdhsa_dx10_clamp 1
		.amdhsa_ieee_mode 1
		.amdhsa_fp16_overflow 0
		.amdhsa_workgroup_processor_mode 1
		.amdhsa_memory_ordered 1
		.amdhsa_forward_progress 0
		.amdhsa_shared_vgpr_count 0
		.amdhsa_exception_fp_ieee_invalid_op 0
		.amdhsa_exception_fp_denorm_src 0
		.amdhsa_exception_fp_ieee_div_zero 0
		.amdhsa_exception_fp_ieee_overflow 0
		.amdhsa_exception_fp_ieee_underflow 0
		.amdhsa_exception_fp_ieee_inexact 0
		.amdhsa_exception_int_div_zero 0
	.end_amdhsa_kernel
	.section	.text._ZL18flash_attn_ext_f16ILi128ELi128ELi16ELi4ELb0ELb0EEvPKcS1_S1_S1_S1_PKiPfP15HIP_vector_typeIfLj2EEffffjfiS5_IjLj3EEiiiiiiiiiiiliiliiiiil,"axG",@progbits,_ZL18flash_attn_ext_f16ILi128ELi128ELi16ELi4ELb0ELb0EEvPKcS1_S1_S1_S1_PKiPfP15HIP_vector_typeIfLj2EEffffjfiS5_IjLj3EEiiiiiiiiiiiliiliiiiil,comdat
.Lfunc_end24:
	.size	_ZL18flash_attn_ext_f16ILi128ELi128ELi16ELi4ELb0ELb0EEvPKcS1_S1_S1_S1_PKiPfP15HIP_vector_typeIfLj2EEffffjfiS5_IjLj3EEiiiiiiiiiiiliiliiiiil, .Lfunc_end24-_ZL18flash_attn_ext_f16ILi128ELi128ELi16ELi4ELb0ELb0EEvPKcS1_S1_S1_S1_PKiPfP15HIP_vector_typeIfLj2EEffffjfiS5_IjLj3EEiiiiiiiiiiiliiliiiiil
                                        ; -- End function
	.section	.AMDGPU.csdata,"",@progbits
; Kernel info:
; codeLenInByte = 132416
; NumSgprs: 107
; NumVgprs: 256
; ScratchSize: 920
; MemoryBound: 0
; FloatMode: 240
; IeeeMode: 1
; LDSByteSize: 0 bytes/workgroup (compile time only)
; SGPRBlocks: 13
; VGPRBlocks: 31
; NumSGPRsForWavesPerEU: 107
; NumVGPRsForWavesPerEU: 256
; Occupancy: 5
; WaveLimiterHint : 1
; COMPUTE_PGM_RSRC2:SCRATCH_EN: 1
; COMPUTE_PGM_RSRC2:USER_SGPR: 15
; COMPUTE_PGM_RSRC2:TRAP_HANDLER: 0
; COMPUTE_PGM_RSRC2:TGID_X_EN: 1
; COMPUTE_PGM_RSRC2:TGID_Y_EN: 0
; COMPUTE_PGM_RSRC2:TGID_Z_EN: 0
; COMPUTE_PGM_RSRC2:TIDIG_COMP_CNT: 1
	.section	.text._ZL18flash_attn_ext_f16ILi128ELi128ELi16ELi4ELb1ELb0EEvPKcS1_S1_S1_S1_PKiPfP15HIP_vector_typeIfLj2EEffffjfiS5_IjLj3EEiiiiiiiiiiiliiliiiiil,"axG",@progbits,_ZL18flash_attn_ext_f16ILi128ELi128ELi16ELi4ELb1ELb0EEvPKcS1_S1_S1_S1_PKiPfP15HIP_vector_typeIfLj2EEffffjfiS5_IjLj3EEiiiiiiiiiiiliiliiiiil,comdat
	.globl	_ZL18flash_attn_ext_f16ILi128ELi128ELi16ELi4ELb1ELb0EEvPKcS1_S1_S1_S1_PKiPfP15HIP_vector_typeIfLj2EEffffjfiS5_IjLj3EEiiiiiiiiiiiliiliiiiil ; -- Begin function _ZL18flash_attn_ext_f16ILi128ELi128ELi16ELi4ELb1ELb0EEvPKcS1_S1_S1_S1_PKiPfP15HIP_vector_typeIfLj2EEffffjfiS5_IjLj3EEiiiiiiiiiiiliiliiiiil
	.p2align	8
	.type	_ZL18flash_attn_ext_f16ILi128ELi128ELi16ELi4ELb1ELb0EEvPKcS1_S1_S1_S1_PKiPfP15HIP_vector_typeIfLj2EEffffjfiS5_IjLj3EEiiiiiiiiiiiliiliiiiil,@function
_ZL18flash_attn_ext_f16ILi128ELi128ELi16ELi4ELb1ELb0EEvPKcS1_S1_S1_S1_PKiPfP15HIP_vector_typeIfLj2EEffffjfiS5_IjLj3EEiiiiiiiiiiiliiliiiiil: ; @_ZL18flash_attn_ext_f16ILi128ELi128ELi16ELi4ELb1ELb0EEvPKcS1_S1_S1_S1_PKiPfP15HIP_vector_typeIfLj2EEffffjfiS5_IjLj3EEiiiiiiiiiiiliiliiiiil
; %bb.0:
	s_clause 0x2
	s_load_b64 s[2:3], s[0:1], 0x80
	s_load_b128 s[8:11], s[0:1], 0x64
	; meta instruction
	s_load_b32 s23, s[0:1], 0xd0
	s_mov_b32 s22, s15
	s_waitcnt lgkmcnt(0)
	s_abs_i32 s4, s3
	s_abs_i32 s7, s9
	v_cvt_f32_u32_e32 v1, s4
	s_sub_i32 s6, 0, s4
	v_cvt_f32_u32_e32 v2, s23
	s_delay_alu instid0(VALU_DEP_2) | instskip(SKIP_2) | instid1(VALU_DEP_1)
	v_rcp_iflag_f32_e32 v1, v1
	s_waitcnt_depctr 0xfff
	v_mul_f32_e32 v1, 0x4f7ffffe, v1
	v_cvt_u32_f32_e32 v1, v1
	s_delay_alu instid0(VALU_DEP_1) | instskip(SKIP_1) | instid1(VALU_DEP_2)
	v_readfirstlane_b32 s5, v1
	v_cvt_f32_ubyte0_e32 v1, 0
	s_mul_i32 s6, s6, s5
	s_delay_alu instid0(SALU_CYCLE_1) | instskip(NEXT) | instid1(SALU_CYCLE_1)
	s_mul_hi_u32 s6, s5, s6
	s_add_i32 s5, s5, s6
	s_xor_b32 s6, s9, s3
	s_mul_hi_u32 s5, s7, s5
	s_ashr_i32 s6, s6, 31
	s_mul_i32 s12, s5, s4
	s_delay_alu instid0(SALU_CYCLE_1)
	s_sub_i32 s7, s7, s12
	s_add_i32 s12, s5, 1
	s_sub_i32 s13, s7, s4
	s_cmp_ge_u32 s7, s4
	s_cselect_b32 s5, s12, s5
	s_cselect_b32 s7, s13, s7
	s_add_i32 s12, s5, 1
	s_cmp_ge_u32 s7, s4
	s_cselect_b32 s4, s12, s5
	s_add_i32 s2, s2, 63
	s_xor_b32 s4, s4, s6
	s_add_i32 s5, s8, 15
	s_ashr_i32 s7, s2, 31
	s_sub_i32 s78, s4, s6
	s_lshr_b32 s12, s5, 4
	s_add_i32 s4, s78, 3
	s_lshr_b32 s5, s7, 26
	s_ashr_i32 s6, s4, 31
	s_add_i32 s2, s2, s5
	v_writelane_b32 v255, s12, 0
	s_lshr_b32 s5, s6, 30
	s_ashr_i32 s83, s2, 6
	s_add_i32 s4, s4, s5
	s_mul_i32 s5, s12, s83
	s_ashr_i32 s2, s4, 2
	v_writelane_b32 v255, s5, 1
	s_mul_i32 s2, s5, s2
	s_delay_alu instid0(SALU_CYCLE_1) | instskip(SKIP_1) | instid1(SALU_CYCLE_1)
	v_writelane_b32 v255, s2, 2
	s_mul_i32 s2, s2, s3
	s_mul_i32 s4, s2, s10
	s_delay_alu instid0(SALU_CYCLE_1)
	s_ashr_i32 s5, s4, 31
	v_writelane_b32 v255, s2, 3
	s_mul_hi_u32 s3, s4, s15
	s_mul_i32 s6, s5, s15
	s_mov_b32 s2, 0
	s_add_i32 s3, s3, s6
	s_add_u32 s6, s0, 0xd0
	s_addc_u32 s7, s1, 0
	v_writelane_b32 v255, s6, 4
	s_cmp_lg_u64 s[2:3], 0
	v_writelane_b32 v255, s7, 5
	s_mul_i32 s6, s4, s15
	s_cbranch_scc0 .LBB25_2
; %bb.1:
	v_fmamk_f32 v3, v1, 0x4f800000, v2
	s_sub_u32 s12, 0, s23
	s_subb_u32 s13, 0, 0
	s_delay_alu instid0(VALU_DEP_1) | instskip(SKIP_2) | instid1(VALU_DEP_1)
	v_rcp_f32_e32 v3, v3
	s_waitcnt_depctr 0xfff
	v_mul_f32_e32 v3, 0x5f7ffffc, v3
	v_mul_f32_e32 v4, 0x2f800000, v3
	s_delay_alu instid0(VALU_DEP_1) | instskip(NEXT) | instid1(VALU_DEP_1)
	v_trunc_f32_e32 v4, v4
	v_fmamk_f32 v3, v4, 0xcf800000, v3
	v_cvt_u32_f32_e32 v4, v4
	s_delay_alu instid0(VALU_DEP_2) | instskip(NEXT) | instid1(VALU_DEP_2)
	v_cvt_u32_f32_e32 v3, v3
	v_readfirstlane_b32 s7, v4
	s_delay_alu instid0(VALU_DEP_2) | instskip(NEXT) | instid1(VALU_DEP_2)
	v_readfirstlane_b32 s10, v3
	s_mul_i32 s14, s12, s7
	s_delay_alu instid0(VALU_DEP_1)
	s_mul_hi_u32 s16, s12, s10
	s_mul_i32 s15, s13, s10
	s_add_i32 s14, s16, s14
	s_mul_i32 s17, s12, s10
	s_add_i32 s14, s14, s15
	s_mul_hi_u32 s16, s10, s17
	s_mul_hi_u32 s18, s7, s17
	s_mul_i32 s15, s7, s17
	s_mul_hi_u32 s17, s10, s14
	s_mul_i32 s10, s10, s14
	s_mul_hi_u32 s19, s7, s14
	s_add_u32 s10, s16, s10
	s_addc_u32 s16, 0, s17
	s_add_u32 s10, s10, s15
	s_mul_i32 s14, s7, s14
	s_addc_u32 s10, s16, s18
	s_addc_u32 s15, s19, 0
	s_add_u32 s10, s10, s14
	s_addc_u32 s14, 0, s15
	v_add_co_u32 v3, s10, v3, s10
	s_delay_alu instid0(VALU_DEP_1) | instskip(SKIP_1) | instid1(VALU_DEP_1)
	s_cmp_lg_u32 s10, 0
	s_addc_u32 s7, s7, s14
	v_readfirstlane_b32 s10, v3
	s_mul_i32 s14, s12, s7
	s_delay_alu instid0(VALU_DEP_1)
	s_mul_hi_u32 s15, s12, s10
	s_mul_i32 s13, s13, s10
	s_add_i32 s14, s15, s14
	s_mul_i32 s12, s12, s10
	s_add_i32 s14, s14, s13
	s_mul_hi_u32 s15, s7, s12
	s_mul_i32 s16, s7, s12
	s_mul_hi_u32 s12, s10, s12
	s_mul_hi_u32 s17, s10, s14
	s_mul_i32 s10, s10, s14
	s_mul_hi_u32 s13, s7, s14
	s_add_u32 s10, s12, s10
	s_addc_u32 s12, 0, s17
	s_add_u32 s10, s10, s16
	s_mul_i32 s14, s7, s14
	s_addc_u32 s10, s12, s15
	s_addc_u32 s12, s13, 0
	s_add_u32 s10, s10, s14
	s_addc_u32 s12, 0, s12
	v_add_co_u32 v3, s10, v3, s10
	s_delay_alu instid0(VALU_DEP_1) | instskip(SKIP_2) | instid1(SALU_CYCLE_1)
	s_cmp_lg_u32 s10, 0
	s_addc_u32 s7, s7, s12
	s_ashr_i32 s12, s3, 31
	s_add_u32 s14, s6, s12
	s_addc_u32 s15, s3, s12
	v_readfirstlane_b32 s3, v3
	s_mov_b32 s13, s12
	s_delay_alu instid0(SALU_CYCLE_1) | instskip(NEXT) | instid1(SALU_CYCLE_1)
	s_xor_b64 s[14:15], s[14:15], s[12:13]
	s_mul_i32 s16, s14, s7
	s_delay_alu instid0(VALU_DEP_1)
	s_mul_hi_u32 s17, s14, s3
	s_mul_hi_u32 s10, s14, s7
	;; [unrolled: 1-line block ×3, first 2 shown]
	s_mul_i32 s3, s15, s3
	s_add_u32 s16, s17, s16
	s_addc_u32 s10, 0, s10
	s_mul_hi_u32 s18, s15, s7
	s_add_u32 s3, s16, s3
	s_mul_i32 s7, s15, s7
	s_addc_u32 s3, s10, s19
	s_addc_u32 s10, s18, 0
	s_add_u32 s3, s3, s7
	s_addc_u32 s7, 0, s10
	s_mul_i32 s16, s23, s3
	s_add_u32 s10, s3, 1
	v_sub_co_u32 v3, s14, s14, s16
	s_mul_hi_u32 s16, s23, s3
	s_addc_u32 s17, s7, 0
	s_mul_i32 s18, s23, s7
	s_delay_alu instid0(VALU_DEP_1)
	v_sub_co_u32 v4, s19, v3, s23
	s_add_u32 s20, s3, 2
	s_addc_u32 s21, s7, 0
	s_add_i32 s16, s16, s18
	s_cmp_lg_u32 s14, 0
	v_readfirstlane_b32 s14, v4
	s_subb_u32 s15, s15, s16
	s_cmp_lg_u32 s19, 0
	s_subb_u32 s16, s15, 0
	s_delay_alu instid0(VALU_DEP_1) | instskip(SKIP_4) | instid1(SALU_CYCLE_1)
	s_cmp_ge_u32 s14, s23
	s_cselect_b32 s14, -1, 0
	s_cmp_eq_u32 s16, 0
	v_readfirstlane_b32 s16, v3
	s_cselect_b32 s14, s14, -1
	s_cmp_lg_u32 s14, 0
	s_cselect_b32 s10, s20, s10
	s_cselect_b32 s14, s21, s17
	s_cmp_ge_u32 s16, s23
	s_cselect_b32 s16, -1, 0
	s_cmp_eq_u32 s15, 0
	s_cselect_b32 s15, s16, -1
	s_delay_alu instid0(SALU_CYCLE_1) | instskip(SKIP_2) | instid1(SALU_CYCLE_1)
	s_cmp_lg_u32 s15, 0
	s_cselect_b32 s15, s14, s7
	s_cselect_b32 s14, s10, s3
	s_xor_b64 s[14:15], s[14:15], s[12:13]
	s_delay_alu instid0(SALU_CYCLE_1)
	s_sub_u32 s60, s14, s12
	s_branch .LBB25_3
.LBB25_2:
	s_mov_b32 s2, -1
                                        ; implicit-def: $sgpr60_sgpr61
.LBB25_3:
	s_load_b64 s[12:13], s[0:1], 0x74
	v_cvt_f32_u32_e32 v3, s23
	s_and_not1_b32 vcc_lo, exec_lo, s2
	s_waitcnt lgkmcnt(0)
	v_writelane_b32 v255, s12, 6
	v_writelane_b32 v255, s13, 7
	s_cbranch_vccnz .LBB25_5
; %bb.4:
	v_rcp_iflag_f32_e32 v4, v3
	s_sub_i32 s3, 0, s23
	s_waitcnt_depctr 0xfff
	v_mul_f32_e32 v4, 0x4f7ffffe, v4
	s_delay_alu instid0(VALU_DEP_1) | instskip(NEXT) | instid1(VALU_DEP_1)
	v_cvt_u32_f32_e32 v4, v4
	v_readfirstlane_b32 s2, v4
	s_delay_alu instid0(VALU_DEP_1) | instskip(NEXT) | instid1(SALU_CYCLE_1)
	s_mul_i32 s3, s3, s2
	s_mul_hi_u32 s3, s2, s3
	s_delay_alu instid0(SALU_CYCLE_1) | instskip(NEXT) | instid1(SALU_CYCLE_1)
	s_add_i32 s2, s2, s3
	s_mul_hi_u32 s2, s6, s2
	s_delay_alu instid0(SALU_CYCLE_1) | instskip(NEXT) | instid1(SALU_CYCLE_1)
	s_mul_i32 s3, s2, s23
	s_sub_i32 s3, s6, s3
	s_add_i32 s6, s2, 1
	s_sub_i32 s7, s3, s23
	s_cmp_ge_u32 s3, s23
	s_cselect_b32 s2, s6, s2
	s_cselect_b32 s3, s7, s3
	s_add_i32 s6, s2, 1
	s_cmp_ge_u32 s3, s23
	s_cselect_b32 s60, s6, s2
.LBB25_5:
	s_add_i32 s6, s22, 1
	s_delay_alu instid0(SALU_CYCLE_1) | instskip(SKIP_4) | instid1(SALU_CYCLE_1)
	s_mul_i32 s2, s5, s6
	s_mul_hi_u32 s3, s4, s6
	s_mul_i32 s4, s4, s6
	s_add_i32 s3, s3, s2
	s_mov_b32 s2, 0
	s_cmp_lg_u64 s[2:3], 0
	s_cbranch_scc0 .LBB25_7
; %bb.6:
	v_fmamk_f32 v1, v1, 0x4f800000, v2
	s_sub_u32 s7, 0, s23
	s_subb_u32 s10, 0, 0
	s_delay_alu instid0(VALU_DEP_1) | instskip(SKIP_2) | instid1(VALU_DEP_1)
	v_rcp_f32_e32 v1, v1
	s_waitcnt_depctr 0xfff
	v_mul_f32_e32 v1, 0x5f7ffffc, v1
	v_mul_f32_e32 v2, 0x2f800000, v1
	s_delay_alu instid0(VALU_DEP_1) | instskip(NEXT) | instid1(VALU_DEP_1)
	v_trunc_f32_e32 v2, v2
	v_fmamk_f32 v1, v2, 0xcf800000, v1
	v_cvt_u32_f32_e32 v2, v2
	s_delay_alu instid0(VALU_DEP_2) | instskip(NEXT) | instid1(VALU_DEP_2)
	v_cvt_u32_f32_e32 v1, v1
	v_readfirstlane_b32 s5, v2
	s_delay_alu instid0(VALU_DEP_2) | instskip(NEXT) | instid1(VALU_DEP_2)
	v_readfirstlane_b32 s6, v1
	s_mul_i32 s12, s7, s5
	s_delay_alu instid0(VALU_DEP_1)
	s_mul_hi_u32 s14, s7, s6
	s_mul_i32 s13, s10, s6
	s_add_i32 s12, s14, s12
	s_mul_i32 s15, s7, s6
	s_add_i32 s12, s12, s13
	s_mul_hi_u32 s14, s6, s15
	s_mul_hi_u32 s16, s5, s15
	s_mul_i32 s13, s5, s15
	s_mul_hi_u32 s15, s6, s12
	s_mul_i32 s6, s6, s12
	s_mul_hi_u32 s17, s5, s12
	s_add_u32 s6, s14, s6
	s_addc_u32 s14, 0, s15
	s_add_u32 s6, s6, s13
	s_mul_i32 s12, s5, s12
	s_addc_u32 s6, s14, s16
	s_addc_u32 s13, s17, 0
	s_add_u32 s6, s6, s12
	s_addc_u32 s12, 0, s13
	v_add_co_u32 v1, s6, v1, s6
	s_delay_alu instid0(VALU_DEP_1) | instskip(SKIP_1) | instid1(VALU_DEP_1)
	s_cmp_lg_u32 s6, 0
	s_addc_u32 s5, s5, s12
	v_readfirstlane_b32 s6, v1
	s_mul_i32 s12, s7, s5
	s_delay_alu instid0(VALU_DEP_1)
	s_mul_hi_u32 s13, s7, s6
	s_mul_i32 s10, s10, s6
	s_add_i32 s12, s13, s12
	s_mul_i32 s7, s7, s6
	s_add_i32 s12, s12, s10
	s_mul_hi_u32 s13, s5, s7
	s_mul_i32 s14, s5, s7
	s_mul_hi_u32 s7, s6, s7
	s_mul_hi_u32 s15, s6, s12
	s_mul_i32 s6, s6, s12
	s_mul_hi_u32 s10, s5, s12
	s_add_u32 s6, s7, s6
	s_addc_u32 s7, 0, s15
	s_add_u32 s6, s6, s14
	s_mul_i32 s12, s5, s12
	s_addc_u32 s6, s7, s13
	s_addc_u32 s7, s10, 0
	s_add_u32 s6, s6, s12
	s_addc_u32 s7, 0, s7
	v_add_co_u32 v1, s6, v1, s6
	s_delay_alu instid0(VALU_DEP_1) | instskip(SKIP_2) | instid1(SALU_CYCLE_1)
	s_cmp_lg_u32 s6, 0
	s_addc_u32 s5, s5, s7
	s_ashr_i32 s6, s3, 31
	s_add_u32 s12, s4, s6
	s_addc_u32 s13, s3, s6
	v_readfirstlane_b32 s3, v1
	s_mov_b32 s7, s6
	s_delay_alu instid0(SALU_CYCLE_1) | instskip(NEXT) | instid1(SALU_CYCLE_1)
	s_xor_b64 s[12:13], s[12:13], s[6:7]
	s_mul_i32 s14, s12, s5
	s_delay_alu instid0(VALU_DEP_1)
	s_mul_hi_u32 s15, s12, s3
	s_mul_hi_u32 s10, s12, s5
	;; [unrolled: 1-line block ×3, first 2 shown]
	s_mul_i32 s3, s13, s3
	s_add_u32 s14, s15, s14
	s_addc_u32 s10, 0, s10
	s_mul_hi_u32 s16, s13, s5
	s_add_u32 s3, s14, s3
	s_mul_i32 s5, s13, s5
	s_addc_u32 s3, s10, s17
	s_addc_u32 s10, s16, 0
	s_add_u32 s3, s3, s5
	s_addc_u32 s5, 0, s10
	s_mul_i32 s14, s23, s3
	s_add_u32 s10, s3, 1
	v_sub_co_u32 v1, s12, s12, s14
	s_mul_hi_u32 s14, s23, s3
	s_addc_u32 s15, s5, 0
	s_mul_i32 s16, s23, s5
	s_delay_alu instid0(VALU_DEP_1)
	v_sub_co_u32 v2, s17, v1, s23
	s_add_u32 s18, s3, 2
	s_addc_u32 s19, s5, 0
	s_add_i32 s14, s14, s16
	s_cmp_lg_u32 s12, 0
	v_readfirstlane_b32 s12, v2
	s_subb_u32 s13, s13, s14
	s_cmp_lg_u32 s17, 0
	s_subb_u32 s14, s13, 0
	s_delay_alu instid0(VALU_DEP_1) | instskip(SKIP_4) | instid1(SALU_CYCLE_1)
	s_cmp_ge_u32 s12, s23
	s_cselect_b32 s12, -1, 0
	s_cmp_eq_u32 s14, 0
	v_readfirstlane_b32 s14, v1
	s_cselect_b32 s12, s12, -1
	s_cmp_lg_u32 s12, 0
	s_cselect_b32 s10, s18, s10
	s_cselect_b32 s12, s19, s15
	s_cmp_ge_u32 s14, s23
	s_cselect_b32 s14, -1, 0
	s_cmp_eq_u32 s13, 0
	s_cselect_b32 s13, s14, -1
	s_delay_alu instid0(SALU_CYCLE_1) | instskip(SKIP_2) | instid1(SALU_CYCLE_1)
	s_cmp_lg_u32 s13, 0
	s_cselect_b32 s13, s12, s5
	s_cselect_b32 s12, s10, s3
	s_xor_b64 s[12:13], s[12:13], s[6:7]
	s_delay_alu instid0(SALU_CYCLE_1)
	s_sub_u32 s64, s12, s6
	s_branch .LBB25_8
.LBB25_7:
	s_mov_b32 s2, -1
                                        ; implicit-def: $sgpr64_sgpr65
.LBB25_8:
	s_load_b64 s[48:49], s[0:1], 0x5c
	v_writelane_b32 v255, s22, 8
	s_and_not1_b32 vcc_lo, exec_lo, s2
	s_cbranch_vccnz .LBB25_10
; %bb.9:
	v_rcp_iflag_f32_e32 v1, v3
	s_sub_i32 s3, 0, s23
	s_waitcnt_depctr 0xfff
	v_mul_f32_e32 v1, 0x4f7ffffe, v1
	s_delay_alu instid0(VALU_DEP_1) | instskip(NEXT) | instid1(VALU_DEP_1)
	v_cvt_u32_f32_e32 v1, v1
	v_readfirstlane_b32 s2, v1
	s_delay_alu instid0(VALU_DEP_1) | instskip(NEXT) | instid1(SALU_CYCLE_1)
	s_mul_i32 s3, s3, s2
	s_mul_hi_u32 s3, s2, s3
	s_delay_alu instid0(SALU_CYCLE_1) | instskip(NEXT) | instid1(SALU_CYCLE_1)
	s_add_i32 s2, s2, s3
	s_mul_hi_u32 s2, s4, s2
	s_delay_alu instid0(SALU_CYCLE_1) | instskip(NEXT) | instid1(SALU_CYCLE_1)
	s_mul_i32 s3, s2, s23
	s_sub_i32 s3, s4, s3
	s_add_i32 s4, s2, 1
	s_sub_i32 s5, s3, s23
	s_cmp_ge_u32 s3, s23
	s_cselect_b32 s2, s4, s2
	s_cselect_b32 s3, s5, s3
	s_add_i32 s4, s2, 1
	s_cmp_ge_u32 s3, s23
	s_cselect_b32 s64, s4, s2
.LBB25_10:
	s_abs_i32 s84, s83
	v_bfe_u32 v58, v0, 10, 10
	v_cvt_f32_u32_e32 v1, s84
	v_and_b32_e32 v2, 0x3ff, v0
	s_clause 0x6
	s_load_b32 s2, s[0:1], 0x40
	s_load_b32 s33, s[0:1], 0x54
	s_load_b64 s[4:5], s[0:1], 0x8c
	s_load_b128 s[44:47], s[0:1], 0x98
	s_load_b64 s[52:53], s[0:1], 0xa8
	s_load_b64 s[56:57], s[0:1], 0xb8
	;; [unrolled: 1-line block ×3, first 2 shown]
	v_writelane_b32 v255, s23, 9
	s_sub_i32 s3, 0, s84
	v_rcp_iflag_f32_e32 v1, v1
	s_load_b512 s[16:31], s[0:1], 0x0
	s_ashr_i32 s61, s11, 3
	v_readlane_b32 s0, v255, 6
	v_readlane_b32 s1, v255, 7
	s_ashr_i32 s1, s83, 31
	v_add_nc_u32_e32 v57, 4, v58
	v_writelane_b32 v255, s1, 10
	s_abs_i32 s1, s60
	s_ashr_i32 s6, s0, 3
	s_waitcnt_depctr 0xfff
	v_dual_mul_f32 v1, 0x4f7ffffe, v1 :: v_dual_add_nc_u32 v56, 8, v58
	s_ashr_i32 s0, s60, 31
	s_waitcnt lgkmcnt(0)
	v_writelane_b32 v255, s4, 11
	s_ashr_i32 s12, s4, 2
	v_cvt_u32_f32_e32 v0, v1
	s_ashr_i32 s50, s57, 1
	s_ashr_i32 s10, s46, 2
	v_writelane_b32 v255, s5, 12
	v_add_nc_u32_e32 v55, 12, v58
	v_readfirstlane_b32 s86, v0
	v_lshrrev_b32_e32 v0, 2, v58
	v_lshlrev_b32_e32 v39, 4, v58
	v_and_b32_e32 v59, 3, v58
	v_mul_u32_u24_e32 v38, 0x44, v58
	s_mul_i32 s3, s3, s86
	scratch_store_b32 off, v0, off offset:1228 ; 4-byte Folded Spill
	s_mul_hi_u32 s3, s86, s3
	v_cvt_f16_f32_e32 v0, s2
	s_add_i32 s86, s86, s3
	v_add_nc_u32_e32 v54, 16, v58
	s_mul_hi_u32 s3, s1, s86
	v_add_nc_u32_e32 v53, 20, v58
	s_mul_i32 s3, s3, s84
	v_add_nc_u32_e32 v52, 24, v58
	s_sub_i32 s1, s1, s3
	v_add_nc_u32_e32 v51, 28, v58
	s_sub_i32 s3, s1, s84
	s_cmp_ge_u32 s1, s84
	v_add_nc_u32_e32 v50, 32, v58
	s_cselect_b32 s1, s3, s1
	v_add_nc_u32_e32 v49, 36, v58
	s_sub_i32 s3, s1, s84
	s_cmp_ge_u32 s1, s84
	v_add_nc_u32_e32 v48, 40, v58
	s_cselect_b32 s1, s3, s1
	s_sub_i32 s3, s64, s60
	s_xor_b32 s1, s1, s0
	v_add_nc_u32_e32 v46, 44, v58
	s_sub_i32 s14, s1, s0
	v_add_nc_u32_e32 v45, 48, v58
	s_add_i32 s3, s3, s14
	v_add_nc_u32_e32 v44, 52, v58
	s_min_i32 s15, s83, s3
	s_cmp_gt_i32 s64, s60
	v_add_nc_u32_e32 v43, 56, v58
	s_cselect_b32 s0, -1, 0
	s_cmp_le_i32 s64, s60
	v_add_nc_u32_e32 v42, 60, v58
	s_cselect_b32 s1, -1, 0
	s_cmp_gt_i32 s83, s3
	v_pack_b32_f16 v0, v0, v0
	s_cselect_b32 s2, -1, 0
	v_and_b32_e32 v47, 15, v58
	v_writelane_b32 v255, s6, 13
	s_or_b32 s1, s2, s1
	s_mov_b32 s67, 0
	s_and_b32 vcc_lo, exec_lo, s1
	s_clause 0x15
	scratch_store_b32 off, v0, off offset:1180
	scratch_store_b32 off, v2, off offset:1048
	;; [unrolled: 1-line block ×21, first 2 shown]
	scratch_store_b64 off, v[59:60], off offset:1196
	s_cbranch_vccz .LBB25_13
; %bb.11:
	s_and_not1_b32 vcc_lo, exec_lo, s0
	s_cbranch_vccz .LBB25_871
.LBB25_12:
	s_endpgm
.LBB25_13:
	v_lshrrev_b32_e32 v60, 4, v2
	v_lshlrev_b32_e32 v5, 2, v2
	v_and_or_b32 v3, v2, 12, v39
	v_and_b32_e32 v32, 15, v2
	v_lshlrev_b32_e32 v0, 1, v2
	v_lshl_add_u32 v1, v58, 1, v60
	v_and_b32_e32 v33, 60, v5
	v_lshrrev_b32_e32 v3, 2, v3
	s_clause 0x1
	scratch_store_b32 off, v5, off offset:1188
	scratch_store_b32 off, v0, off offset:1208
	v_mul_lo_u32 v0, s12, v1
	v_mul_lo_u32 v2, s10, v1
	v_add_nc_u32_e32 v61, 0, v5
	v_lshlrev_b32_e32 v5, 1, v60
	v_mul_u32_u24_e32 v1, 0x110, v1
	v_lshlrev_b32_e32 v7, 2, v33
	v_mad_u32_u24 v3, 0x90, v3, 0
	v_lshlrev_b32_e32 v34, 2, v32
	s_cmp_eq_u64 s[24:25], 0
	s_mov_b32 s36, s67
	v_add3_u32 v137, 0, v1, v7
	v_add3_u32 v1, v3, v5, 0x4400
	v_add_nc_u32_e32 v35, 0, v34
	v_add3_u32 v37, 0, 0x22c0, v34
	s_cselect_b32 s0, -1, 0
	s_cmp_lg_u64 s[26:27], 0
	s_clause 0x2
	scratch_store_b32 off, v1, off offset:524
	scratch_store_b32 off, v35, off offset:532
	;; [unrolled: 1-line block ×3, first 2 shown]
	v_add3_u32 v35, 0, 0x1100, v34
	v_writelane_b32 v255, s0, 14
	s_cselect_b32 s0, -1, 0
	s_lshl_b32 s1, s10, 3
	s_ashr_i32 s51, s50, 31
	scratch_store_b32 off, v35, off offset:540 ; 4-byte Folded Spill
	v_add3_u32 v35, 0, 0x2200, v34
	v_writelane_b32 v255, s0, 15
	s_lshl_b32 s0, s12, 3
	v_add_nc_u32_e32 v8, s1, v2
	v_add_nc_u32_e32 v4, s0, v0
	scratch_store_b32 off, v35, off offset:548 ; 4-byte Folded Spill
	v_add3_u32 v35, 0, 0x3300, v34
	v_readlane_b32 s5, v255, 3
	v_add_nc_u32_e32 v12, s1, v8
	v_add_nc_u32_e32 v6, s0, v4
	s_ashr_i32 s13, s12, 31
	scratch_store_b32 off, v35, off offset:556 ; 4-byte Folded Spill
	v_add3_u32 v35, 0, 64, v34
	v_add_nc_u32_e32 v16, s1, v12
	v_add_nc_u32_e32 v10, s0, v6
	s_ashr_i32 s11, s10, 31
	v_ashrrev_i32_e32 v1, 31, v0
	scratch_store_b32 off, v35, off offset:564 ; 4-byte Folded Spill
	v_add3_u32 v35, 0, 0x1140, v34
	v_add_nc_u32_e32 v14, s0, v10
	v_add_nc_u32_e32 v20, s1, v16
	v_ashrrev_i32_e32 v3, 31, v2
	v_ashrrev_i32_e32 v9, 31, v8
	scratch_store_b32 off, v35, off offset:572 ; 4-byte Folded Spill
	v_add3_u32 v35, 0, 0x2240, v34
	v_add_nc_u32_e32 v18, s0, v14
	v_add_nc_u32_e32 v24, s1, v20
	v_lshlrev_b64 v[8:9], 2, v[8:9]
	v_ashrrev_i32_e32 v13, 31, v12
	scratch_store_b32 off, v35, off offset:580 ; 4-byte Folded Spill
	v_add3_u32 v35, 0, 0x3340, v34
	v_add_nc_u32_e32 v22, s0, v18
	v_add_nc_u32_e32 v28, s1, v24
	v_lshlrev_b64 v[12:13], 2, v[12:13]
	v_ashrrev_i32_e32 v17, 31, v16
	scratch_store_b32 off, v35, off offset:588 ; 4-byte Folded Spill
	v_add3_u32 v35, 0, 0x80, v34
	v_add_nc_u32_e32 v26, s0, v22
	v_readlane_b32 s0, v255, 8
	v_add_nc_u32_e32 v30, s1, v28
	v_lshlrev_b64 v[16:17], 2, v[16:17]
	scratch_store_b32 off, v35, off offset:596 ; 4-byte Folded Spill
	v_add3_u32 v35, 0, 0x1180, v34
	s_lshl_b32 s66, s0, 6
	v_ashrrev_i32_e32 v21, 31, v20
	s_lshl_b64 s[0:1], s[66:67], 3
	v_ashrrev_i32_e32 v25, 31, v24
	scratch_store_b32 off, v35, off offset:604 ; 4-byte Folded Spill
	v_add3_u32 v35, 0, 0x2280, v34
	s_add_u32 s0, s30, s0
	s_addc_u32 s1, s31, s1
	s_abs_i32 s87, s5
	scratch_load_b32 v37, off, off offset:1048 ; 4-byte Folded Reload
	scratch_store_b32 off, v35, off offset:612 ; 4-byte Folded Spill
	v_add3_u32 v35, 0, 0x3380, v34
	v_cvt_f32_u32_e32 v36, s87
	v_lshlrev_b64 v[20:21], 2, v[20:21]
	v_lshlrev_b64 v[24:25], 2, v[24:25]
	v_ashrrev_i32_e32 v29, 31, v28
	scratch_store_b32 off, v35, off offset:616 ; 4-byte Folded Spill
	v_add3_u32 v35, 0, 0xc0, v34
	v_ashrrev_i32_e32 v31, 31, v30
	v_ashrrev_i32_e32 v5, 31, v4
	v_lshlrev_b64 v[28:29], 2, v[28:29]
	v_ashrrev_i32_e32 v7, 31, v6
	scratch_store_b32 off, v35, off offset:620 ; 4-byte Folded Spill
	v_add3_u32 v35, 0, 0x11c0, v34
	v_add3_u32 v34, 0, 0x33c0, v34
	v_lshlrev_b64 v[30:31], 2, v[30:31]
	s_abs_i32 s90, s56
	v_ashrrev_i32_e32 v11, 31, v10
	s_clause 0x1
	scratch_store_b32 off, v35, off offset:624
	scratch_store_b32 off, v34, off offset:632
	scratch_load_b32 v35, off, off offset:1048 ; 4-byte Folded Reload
	s_sub_i32 s4, 0, s87
	s_ashr_i32 s5, s5, 31
	v_lshlrev_b64 v[10:11], 2, v[10:11]
	v_ashrrev_i32_e32 v15, 31, v14
	v_ashrrev_i32_e32 v19, 31, v18
	;; [unrolled: 1-line block ×4, first 2 shown]
	v_add_nc_u32_e32 v139, 0x880, v137
	v_lshlrev_b64 v[14:15], 2, v[14:15]
	v_lshlrev_b64 v[18:19], 2, v[18:19]
	;; [unrolled: 1-line block ×4, first 2 shown]
	v_add_nc_u32_e32 v140, 0x1100, v137
	v_add_nc_u32_e32 v141, 0x1980, v137
	v_add_nc_u32_e32 v142, 0x2200, v137
	v_add_nc_u32_e32 v143, 0x2a80, v137
	v_add_nc_u32_e32 v144, 0x3300, v137
	v_add_nc_u32_e32 v145, 0x3b80, v137
	s_lshl_b64 s[70:71], s[10:11], 8
	s_lshl_b64 s[72:73], s[12:13], 8
	s_mov_b32 s37, s67
	s_mov_b32 s38, s67
	;; [unrolled: 1-line block ×7, first 2 shown]
	s_waitcnt vmcnt(1)
	v_add_nc_u32_e32 v37, v39, v37
	s_waitcnt vmcnt(0)
	v_or_b32_e32 v35, v39, v35
	s_delay_alu instid0(VALU_DEP_1)
	v_lshlrev_b32_e32 v34, 3, v35
	v_rcp_iflag_f32_e32 v35, v36
	scratch_load_b32 v36, off, off offset:1048 ; 4-byte Folded Reload
	v_add_co_u32 v39, s0, s0, v34
	v_mul_u32_u24_e32 v34, 0x110, v37
	v_add_co_ci_u32_e64 v40, null, s1, 0, s0
	v_mul_f32_e32 v35, 0x4f7ffffe, v35
	v_mad_u32_u24 v254, 0x110, v32, 0
	v_lshlrev_b32_e32 v32, 4, v32
	s_delay_alu instid0(VALU_DEP_3) | instskip(NEXT) | instid1(VALU_DEP_3)
	v_cvt_u32_f32_e32 v35, v35
	v_mad_u32_u24 v62, 0x1100, v58, v254
	s_delay_alu instid0(VALU_DEP_2) | instskip(SKIP_1) | instid1(VALU_DEP_2)
	v_readfirstlane_b32 s0, v35
	v_and_or_b32 v35, 0xf0, v45, v47
	s_mul_i32 s4, s4, s0
	s_delay_alu instid0(VALU_DEP_1) | instskip(SKIP_1) | instid1(SALU_CYCLE_1)
	v_mul_u32_u24_e32 v35, 0x44, v35
	s_mul_hi_u32 s4, s0, s4
	s_add_i32 s0, s0, s4
	s_delay_alu instid0(VALU_DEP_1) | instskip(SKIP_3) | instid1(VALU_DEP_2)
	v_lshlrev_b32_e32 v35, 2, v35
	s_waitcnt vmcnt(0)
	v_cmp_gt_u32_e64 s2, 16, v36
	v_mad_u32_u24 v36, v58, 52, v37
	v_writelane_b32 v255, s2, 16
	s_delay_alu instid0(VALU_DEP_2) | instskip(SKIP_1) | instid1(VALU_DEP_3)
	v_lshl_add_u32 v63, v36, 2, 0
	v_lshlrev_b32_e32 v36, 2, v38
	v_readlane_b32 s34, v255, 2
	v_readlane_b32 s7, v255, 1
	s_delay_alu instid0(VALU_DEP_3)
	v_add_nc_u32_e32 v41, v61, v36
	scratch_store_b64 off, v[39:40], off offset:1432 ; 8-byte Folded Spill
	v_and_or_b32 v39, 0xf0, v54, v47
	s_abs_i32 s88, s34
	s_abs_i32 s89, s7
	scratch_store_b32 off, v41, off offset:1320 ; 4-byte Folded Spill
	v_cvt_f32_u32_e32 v37, s88
	v_cvt_f32_u32_e32 v38, s89
	v_mul_u32_u24_e32 v39, 0x44, v39
	v_and_or_b32 v41, 0xf0, v50, v47
	v_add_nc_u32_e32 v36, 0, v36
	v_rcp_iflag_f32_e32 v37, v37
	v_rcp_iflag_f32_e32 v38, v38
	v_lshlrev_b32_e32 v39, 2, v39
	v_mul_u32_u24_e32 v41, 0x44, v41
	v_cvt_f32_u32_e32 v40, s90
	v_writelane_b32 v255, s5, 17
	s_sub_i32 s5, 0, s88
	s_ashr_i32 s4, s34, 31
	v_lshlrev_b32_e32 v41, 2, v41
	v_rcp_iflag_f32_e32 v40, v40
	s_delay_alu instid0(TRANS32_DEP_2) | instskip(SKIP_1) | instid1(VALU_DEP_2)
	v_dual_mul_f32 v37, 0x4f7ffffe, v37 :: v_dual_mul_f32 v38, 0x4f7ffffe, v38
	v_writelane_b32 v255, s0, 18
	v_cvt_u32_f32_e32 v37, v37
	s_delay_alu instid0(VALU_DEP_3)
	v_cvt_u32_f32_e32 v38, v38
	v_writelane_b32 v255, s4, 19
	s_waitcnt_depctr 0xfff
	v_mul_f32_e32 v40, 0x4f7ffffe, v40
	v_readfirstlane_b32 s1, v37
	v_add_nc_u32_e32 v37, v61, v39
	v_readfirstlane_b32 s2, v38
	s_delay_alu instid0(VALU_DEP_4) | instskip(NEXT) | instid1(VALU_DEP_4)
	v_cvt_u32_f32_e32 v40, v40
	s_mul_i32 s5, s5, s1
	scratch_store_b32 off, v37, off offset:1644 ; 4-byte Folded Spill
	v_add_nc_u32_e32 v37, v61, v41
	s_mul_hi_u32 s0, s1, s5
	v_readfirstlane_b32 s3, v40
	s_add_i32 s0, s1, s0
	s_sub_i32 s1, 0, s90
	scratch_store_b32 off, v37, off offset:1652 ; 4-byte Folded Spill
	v_add_nc_u32_e32 v37, v61, v35
	v_add_nc_u32_e32 v35, 0, v35
	v_writelane_b32 v255, s0, 20
	s_ashr_i32 s0, s7, 31
	s_mul_i32 s1, s1, s3
	scratch_store_b32 off, v37, off offset:1660 ; 4-byte Folded Spill
	v_lshlrev_b64 v[37:38], 2, v[0:1]
	v_lshlrev_b32_e32 v0, 2, v33
	s_clause 0x1
	scratch_store_b32 off, v61, off offset:512
	scratch_store_b32 off, v35, off offset:1664
	v_writelane_b32 v255, s0, 21
	s_sub_i32 s0, 0, s89
	scratch_store_b32 off, v0, off          ; 4-byte Folded Spill
	v_add_nc_u32_e32 v0, 0, v34
	s_mul_i32 s0, s0, s2
	s_mul_hi_u32 s1, s3, s1
	s_mul_hi_u32 s0, s2, s0
	scratch_store_b32 off, v0, off offset:1440 ; 4-byte Folded Spill
	v_mul_u32_u24_e32 v0, 0x90, v58
	scratch_store_b32 off, v36, off offset:1420 ; 4-byte Folded Spill
	v_add_nc_u32_e32 v36, 0, v39
	s_add_i32 s0, s2, s0
	scratch_store_b32 off, v0, off offset:636 ; 4-byte Folded Spill
	v_xor_b32_e32 v0, 1, v60
	scratch_store_b32 off, v36, off offset:1648 ; 4-byte Folded Spill
	v_add_nc_u32_e32 v36, 0, v41
	v_writelane_b32 v255, s0, 22
	s_add_i32 s0, s3, s1
	s_clause 0x1
	scratch_store_b32 off, v0, off offset:668
	scratch_store_b32 off, v36, off offset:1656
	v_lshlrev_b64 v[35:36], 2, v[2:3]
	scratch_load_b32 v2, off, off offset:1048 ; 4-byte Folded Reload
	v_lshlrev_b64 v[3:4], 2, v[4:5]
	v_lshlrev_b64 v[5:6], 2, v[6:7]
	v_writelane_b32 v255, s0, 23
	s_lshl_b64 s[0:1], s[50:51], 1
	s_mov_b32 s51, 0xbbbac73d
	v_writelane_b32 v255, s0, 24
	v_writelane_b32 v255, s1, 25
	;; [unrolled: 1-line block ×4, first 2 shown]
	s_waitcnt vmcnt(0)
	v_and_b32_e32 v0, 3, v2
	scratch_store_b32 off, v0, off offset:1412 ; 4-byte Folded Spill
	v_mul_lo_u32 v0, v59, s6
	s_clause 0x1
	scratch_store_b32 off, v32, off offset:672
	scratch_store_b32 off, v0, off offset:1184
	v_lshrrev_b32_e32 v0, 2, v57
	scratch_store_b32 off, v0, off offset:1236 ; 4-byte Folded Spill
	v_add_nc_u32_e32 v0, 0x440, v63
	scratch_store_b32 off, v0, off offset:1212 ; 4-byte Folded Spill
	v_lshrrev_b32_e32 v0, 2, v56
	scratch_store_b32 off, v0, off offset:1240 ; 4-byte Folded Spill
	v_add_nc_u32_e32 v0, 0x880, v63
	scratch_store_b32 off, v0, off offset:1216 ; 4-byte Folded Spill
	;; [unrolled: 4-line block ×8, first 2 shown]
	v_lshrrev_b32_e32 v0, 2, v49
	s_clause 0x1
	scratch_store_b32 off, v0, off offset:1288
	scratch_store_b32 off, v63, off offset:1416
	v_add_nc_u32_e32 v0, 0x2640, v63
	scratch_store_b32 off, v0, off offset:1192 ; 4-byte Folded Spill
	v_lshrrev_b32_e32 v0, 2, v48
	scratch_store_b32 off, v0, off offset:1292 ; 4-byte Folded Spill
	v_lshrrev_b32_e32 v0, 2, v46
	;; [unrolled: 2-line block ×6, first 2 shown]
	s_clause 0x2
	scratch_store_b32 off, v0, off offset:1312
	scratch_store_b32 off, v60, off offset:480
	;; [unrolled: 1-line block ×3, first 2 shown]
	v_lshl_add_u32 v0, v60, 2, v62
	scratch_store_b32 off, v0, off offset:1316 ; 4-byte Folded Spill
	v_add_co_u32 v0, vcc_lo, s20, v35
	s_clause 0x1
	scratch_store_b32 off, v0, off offset:1444
	scratch_store_b64 off, v[35:36], off offset:1052
	v_add_co_ci_u32_e32 v0, vcc_lo, s21, v36, vcc_lo
	scratch_store_b32 off, v0, off offset:1448 ; 4-byte Folded Spill
	v_add_co_u32 v0, vcc_lo, s20, v8
	s_clause 0x1
	scratch_store_b32 off, v0, off offset:1452
	scratch_store_b64 off, v[8:9], off offset:1060
	v_add_co_ci_u32_e32 v0, vcc_lo, s21, v9, vcc_lo
	;; [unrolled: 6-line block ×16, first 2 shown]
	s_clause 0x8
	scratch_store_b32 off, v0, off offset:1568
	scratch_store_b32 off, v137, off offset:516
	;; [unrolled: 1-line block ×9, first 2 shown]
.LBB25_14:                              ; =>This Loop Header: Depth=1
                                        ;     Child Loop BB25_87 Depth 2
                                        ;     Child Loop BB25_511 Depth 2
	v_readlane_b32 s1, v255, 18
	s_abs_i32 s0, s60
	v_readlane_b32 s4, v255, 17
	s_ashr_i32 s2, s60, 31
	v_readlane_b32 s6, v255, 19
	s_mul_hi_u32 s1, s0, s1
	v_readlane_b32 s7, v255, 21
	s_mul_i32 s3, s1, s87
	s_xor_b32 s2, s2, s4
	s_sub_i32 s0, s0, s3
	s_add_i32 s3, s1, 1
	s_sub_i32 s4, s0, s87
	s_cmp_ge_u32 s0, s87
	s_cselect_b32 s1, s3, s1
	s_cselect_b32 s0, s4, s0
	s_add_i32 s3, s1, 1
	s_cmp_ge_u32 s0, s87
	s_cselect_b32 s0, s3, s1
	v_readlane_b32 s1, v255, 3
	s_xor_b32 s0, s0, s2
	v_readlane_b32 s3, v255, 20
	s_sub_i32 s0, s0, s2
	s_delay_alu instid0(VALU_DEP_2) | instid1(SALU_CYCLE_1)
	s_mul_i32 s1, s0, s1
	s_delay_alu instid0(SALU_CYCLE_1) | instskip(NEXT) | instid1(SALU_CYCLE_1)
	s_sub_i32 s2, s60, s1
	s_abs_i32 s1, s2
	s_ashr_i32 s4, s2, 31
	s_mul_hi_u32 s3, s1, s3
	s_xor_b32 s4, s4, s6
	s_mul_i32 s5, s3, s88
	s_delay_alu instid0(SALU_CYCLE_1)
	s_sub_i32 s1, s1, s5
	s_add_i32 s5, s3, 1
	s_sub_i32 s6, s1, s88
	s_cmp_ge_u32 s1, s88
	s_cselect_b32 s3, s5, s3
	s_cselect_b32 s1, s6, s1
	s_add_i32 s5, s3, 1
	s_cmp_ge_u32 s1, s88
	s_cselect_b32 s1, s5, s3
	v_readlane_b32 s3, v255, 2
	s_xor_b32 s1, s1, s4
	s_delay_alu instid0(SALU_CYCLE_1) | instskip(SKIP_1) | instid1(VALU_DEP_2)
	s_sub_i32 s1, s1, s4
	v_readlane_b32 s4, v255, 22
	s_mul_i32 s3, s1, s3
	s_delay_alu instid0(SALU_CYCLE_1) | instskip(NEXT) | instid1(SALU_CYCLE_1)
	s_sub_i32 s3, s2, s3
	s_abs_i32 s2, s3
	s_ashr_i32 s5, s3, 31
	s_mul_hi_u32 s4, s2, s4
	s_xor_b32 s5, s5, s7
	s_mul_i32 s6, s4, s89
	s_delay_alu instid0(SALU_CYCLE_1)
	s_sub_i32 s2, s2, s6
	s_add_i32 s6, s4, 1
	s_sub_i32 s7, s2, s89
	s_cmp_ge_u32 s2, s89
	s_cselect_b32 s4, s6, s4
	s_cselect_b32 s2, s7, s2
	s_add_i32 s6, s4, 1
	s_cmp_ge_u32 s2, s89
	v_readlane_b32 s7, v255, 10
	s_cselect_b32 s2, s6, s4
	v_readlane_b32 s4, v255, 1
	s_xor_b32 s2, s2, s5
	s_delay_alu instid0(SALU_CYCLE_1)
	s_sub_i32 s2, s2, s5
	s_delay_alu instid0(VALU_DEP_1) | instid1(SALU_CYCLE_1)
	s_mul_i32 s4, s2, s4
	s_delay_alu instid0(SALU_CYCLE_1) | instskip(NEXT) | instid1(SALU_CYCLE_1)
	s_sub_i32 s3, s3, s4
	s_abs_i32 s4, s3
	s_ashr_i32 s3, s3, 31
	s_mul_hi_u32 s5, s4, s86
	s_xor_b32 s3, s3, s7
	s_mul_i32 s6, s5, s84
	s_delay_alu instid0(SALU_CYCLE_1)
	s_sub_i32 s4, s4, s6
	s_add_i32 s6, s5, 1
	s_sub_i32 s7, s4, s84
	s_cmp_ge_u32 s4, s84
	s_cselect_b32 s5, s6, s5
	s_cselect_b32 s4, s7, s4
	s_add_i32 s6, s5, 1
	s_cmp_ge_u32 s4, s84
	s_cselect_b32 s4, s6, s5
	v_readlane_b32 s5, v255, 15
	s_xor_b32 s4, s4, s3
	s_delay_alu instid0(SALU_CYCLE_1) | instskip(NEXT) | instid1(VALU_DEP_1)
	s_sub_i32 s34, s4, s3
	s_and_not1_b32 vcc_lo, exec_lo, s5
	s_cbranch_vccnz .LBB25_16
; %bb.15:                               ;   in Loop: Header=BB25_14 Depth=1
	v_readlane_b32 s3, v255, 0
	v_mov_b32_e32 v0, 0
	s_delay_alu instid0(VALU_DEP_2) | instskip(NEXT) | instid1(SALU_CYCLE_1)
	s_mul_i32 s3, s0, s3
	s_add_i32 s4, s34, s3
	s_delay_alu instid0(SALU_CYCLE_1) | instskip(NEXT) | instid1(SALU_CYCLE_1)
	s_ashr_i32 s5, s4, 31
	s_lshl_b64 s[4:5], s[4:5], 2
	s_delay_alu instid0(SALU_CYCLE_1) | instskip(SKIP_4) | instid1(VALU_DEP_1)
	s_add_u32 s4, s26, s4
	s_addc_u32 s5, s27, s5
	global_load_b32 v0, v0, s[4:5]
	s_waitcnt vmcnt(0)
	v_readfirstlane_b32 s3, v0
	s_ashr_i32 s4, s3, 31
	s_delay_alu instid0(SALU_CYCLE_1) | instskip(NEXT) | instid1(SALU_CYCLE_1)
	s_lshr_b32 s4, s4, 26
	s_add_i32 s3, s3, s4
	s_delay_alu instid0(SALU_CYCLE_1) | instskip(NEXT) | instid1(SALU_CYCLE_1)
	s_ashr_i32 s3, s3, 6
	s_min_i32 s15, s15, s3
.LBB25_16:                              ;   in Loop: Header=BB25_14 Depth=1
	scratch_load_b64 v[0:1], off, off offset:1196 ; 8-byte Folded Reload
	v_readlane_b32 s56, v255, 6
	v_readlane_b32 s57, v255, 7
	s_mul_i32 s3, s1, s78
	s_lshl_b32 s6, s2, 2
	s_mul_i32 s66, s0, s44
	s_add_i32 s2, s6, s3
	s_mul_i32 s4, s0, s57
	s_mul_i32 s5, s2, s56
	s_ashr_i32 s3, s4, 31
	s_add_u32 s4, s16, s4
	s_addc_u32 s3, s17, s3
	s_ashr_i32 s7, s5, 31
	s_add_u32 s94, s4, s5
	s_addc_u32 s95, s3, s7
	s_mul_i32 s3, s0, s45
	s_mul_hi_u32 s4, s0, s44
	s_ashr_i32 s7, s0, 31
	s_add_i32 s3, s4, s3
	s_mul_i32 s4, s7, s44
	s_mov_b32 s77, 0
	s_add_i32 s57, s3, s4
	v_readlane_b32 s4, v255, 11
	v_readlane_b32 s5, v255, 12
	s_add_u32 s3, s18, s66
	s_addc_u32 s4, s19, s57
	s_mul_i32 s63, s0, s52
	s_mul_i32 s92, s1, s47
	;; [unrolled: 1-line block ×3, first 2 shown]
	s_delay_alu instid0(SALU_CYCLE_1)
	s_ashr_i32 s81, s80, 31
	s_add_u32 s101, s3, s80
	s_addc_u32 s104, s4, s81
	v_readlane_b32 s4, v255, 23
	s_abs_i32 s3, s0
	s_delay_alu instid0(VALU_DEP_1) | instid1(SALU_CYCLE_1)
	s_mul_hi_u32 s4, s3, s4
	s_delay_alu instid0(SALU_CYCLE_1) | instskip(NEXT) | instid1(SALU_CYCLE_1)
	s_mul_i32 s4, s4, s90
	s_sub_i32 s3, s3, s4
	s_delay_alu instid0(SALU_CYCLE_1) | instskip(SKIP_2) | instid1(SALU_CYCLE_1)
	s_sub_i32 s4, s3, s90
	s_cmp_ge_u32 s3, s90
	s_cselect_b32 s3, s4, s3
	s_sub_i32 s4, s3, s90
	s_cmp_ge_u32 s3, s90
	s_cselect_b32 s3, s4, s3
	s_delay_alu instid0(SALU_CYCLE_1) | instskip(NEXT) | instid1(SALU_CYCLE_1)
	s_xor_b32 s3, s3, s7
	s_sub_i32 s3, s3, s7
	s_mul_i32 s7, s7, s52
	s_mul_i32 s4, s3, s55
	s_mul_hi_u32 s5, s3, s54
	s_ashr_i32 s35, s3, 31
	s_add_i32 s4, s5, s4
	s_mul_i32 s35, s35, s54
	s_mul_i32 s82, s3, s54
	;; [unrolled: 1-line block ×3, first 2 shown]
	s_add_i32 s79, s4, s35
	s_mul_i32 s3, s3, s0
	s_add_u32 vcc_hi, s22, s82
	s_addc_u32 s62, s23, s79
	s_add_i32 s3, s2, s3
	s_delay_alu instid0(SALU_CYCLE_1) | instskip(SKIP_2) | instid1(SALU_CYCLE_1)
	s_lshl_b32 s76, s3, 6
	s_mul_i32 s3, s0, s53
	s_lshl_b64 s[4:5], s[76:77], 3
	s_add_u32 s69, s28, s4
	s_mul_hi_u32 s4, s0, s52
	s_addc_u32 s98, s29, s5
	s_add_i32 s3, s4, s3
	s_delay_alu instid0(SALU_CYCLE_1)
	s_add_i32 s56, s3, s7
	s_add_u32 s0, s20, s63
	s_addc_u32 s1, s21, s56
	s_ashr_i32 s91, s92, 31
	s_add_u32 s99, s0, s92
	s_addc_u32 s100, s1, s91
	s_ashr_i32 s3, s2, 31
	s_delay_alu instid0(SALU_CYCLE_1) | instskip(SKIP_3) | instid1(VALU_DEP_1)
	s_lshl_b64 s[0:1], s[2:3], 2
	v_readlane_b32 s2, v255, 14
	s_add_u32 s0, s24, s0
	s_addc_u32 s1, s25, s1
	s_and_b32 s2, s2, exec_lo
	s_cselect_b32 s75, 0, s1
	s_cselect_b32 s74, 0, s0
	s_cmp_lg_u32 s14, 0
	s_waitcnt vmcnt(0)
	v_or_b32_e32 v8, s6, v0
	s_delay_alu instid0(VALU_DEP_1)
	v_cmp_gt_i32_e32 vcc_lo, s78, v8
	s_cbranch_scc0 .LBB25_83
; %bb.17:                               ;   in Loop: Header=BB25_14 Depth=1
	scratch_load_b32 v0, off, off offset:1228 ; 4-byte Folded Reload
	s_lshl_b32 s0, s34, 4
	s_xor_b32 s2, vcc_lo, -1
	s_waitcnt vmcnt(0)
	v_add_nc_u32_e32 v4, s0, v0
	s_delay_alu instid0(VALU_DEP_1) | instskip(NEXT) | instid1(VALU_DEP_1)
	v_cmp_le_i32_e64 s1, s8, v4
	s_or_b32 s1, s1, s2
	s_delay_alu instid0(SALU_CYCLE_1) | instskip(NEXT) | instid1(SALU_CYCLE_1)
	s_and_saveexec_b32 s3, s1
	s_xor_b32 s1, exec_lo, s3
	s_cbranch_execz .LBB25_19
; %bb.18:                               ;   in Loop: Header=BB25_14 Depth=1
	scratch_load_b32 v0, off, off offset:1416 ; 4-byte Folded Reload
	v_mov_b32_e32 v1, 0
	s_waitcnt vmcnt(0)
	ds_store_2addr_b32 v0, v1, v1 offset1:32
.LBB25_19:                              ;   in Loop: Header=BB25_14 Depth=1
	s_and_not1_saveexec_b32 s1, s1
	s_cbranch_execz .LBB25_21
; %bb.20:                               ;   in Loop: Header=BB25_14 Depth=1
	scratch_load_b32 v1, off, off offset:1184 ; 4-byte Folded Reload
	v_mul_lo_u32 v0, v4, s61
	s_waitcnt vmcnt(0)
	s_delay_alu instid0(VALU_DEP_1) | instskip(NEXT) | instid1(VALU_DEP_1)
	v_add3_u32 v0, v0, v1, v2
	v_ashrrev_i32_e32 v1, 31, v0
	s_delay_alu instid0(VALU_DEP_1) | instskip(NEXT) | instid1(VALU_DEP_1)
	v_lshlrev_b64 v[0:1], 3, v[0:1]
	v_add_co_u32 v0, vcc_lo, s94, v0
	s_delay_alu instid0(VALU_DEP_2)
	v_add_co_ci_u32_e32 v1, vcc_lo, s95, v1, vcc_lo
	s_clause 0x1
	global_load_b64 v[2:3], v[0:1], off
	global_load_b64 v[0:1], v[0:1], off offset:256
	s_waitcnt vmcnt(1)
	v_cvt_f16_f32_e32 v2, v2
	v_cvt_f16_f32_e32 v3, v3
	s_waitcnt vmcnt(0)
	v_cvt_f16_f32_e32 v0, v0
	v_cvt_f16_f32_e32 v1, v1
	s_delay_alu instid0(VALU_DEP_3)
	v_pack_b32_f16 v2, v2, v3
	scratch_load_b32 v3, off, off offset:1180 ; 4-byte Folded Reload
	v_pack_b32_f16 v0, v0, v1
	scratch_load_b32 v1, off, off offset:1416 ; 4-byte Folded Reload
	s_waitcnt vmcnt(1)
	v_pk_mul_f16 v2, v3, v2
	v_pk_mul_f16 v0, v3, v0
	s_waitcnt vmcnt(0)
	ds_store_2addr_b32 v1, v2, v0 offset1:32
	scratch_load_b32 v2, off, off offset:1048 ; 4-byte Folded Reload
.LBB25_21:                              ;   in Loop: Header=BB25_14 Depth=1
	s_or_b32 exec_lo, exec_lo, s1
	scratch_load_b32 v0, off, off offset:1236 ; 4-byte Folded Reload
	s_waitcnt vmcnt(0)
	v_add_nc_u32_e32 v0, s0, v0
	s_delay_alu instid0(VALU_DEP_1) | instskip(SKIP_2) | instid1(SALU_CYCLE_1)
	v_cmp_le_i32_e32 vcc_lo, s8, v0
	scratch_store_b32 off, v0, off offset:720 ; 4-byte Folded Spill
	s_or_b32 s1, vcc_lo, s2
	s_and_saveexec_b32 s3, s1
	s_delay_alu instid0(SALU_CYCLE_1)
	s_xor_b32 s1, exec_lo, s3
	s_cbranch_execz .LBB25_23
; %bb.22:                               ;   in Loop: Header=BB25_14 Depth=1
	scratch_load_b32 v1, off, off offset:1212 ; 4-byte Folded Reload
	v_mov_b32_e32 v0, 0
	s_waitcnt vmcnt(0)
	ds_store_2addr_b32 v1, v0, v0 offset1:32
.LBB25_23:                              ;   in Loop: Header=BB25_14 Depth=1
	s_and_not1_saveexec_b32 s1, s1
	s_cbranch_execz .LBB25_25
; %bb.24:                               ;   in Loop: Header=BB25_14 Depth=1
	s_clause 0x1
	scratch_load_b32 v0, off, off offset:720
	scratch_load_b32 v1, off, off offset:1184
	s_waitcnt vmcnt(1)
	v_mul_lo_u32 v0, v0, s61
	s_waitcnt vmcnt(0)
	s_delay_alu instid0(VALU_DEP_1) | instskip(NEXT) | instid1(VALU_DEP_1)
	v_add3_u32 v0, v0, v1, v2
	v_ashrrev_i32_e32 v1, 31, v0
	s_delay_alu instid0(VALU_DEP_1) | instskip(NEXT) | instid1(VALU_DEP_1)
	v_lshlrev_b64 v[0:1], 3, v[0:1]
	v_add_co_u32 v0, vcc_lo, s94, v0
	s_delay_alu instid0(VALU_DEP_2)
	v_add_co_ci_u32_e32 v1, vcc_lo, s95, v1, vcc_lo
	s_clause 0x1
	global_load_b64 v[2:3], v[0:1], off
	global_load_b64 v[0:1], v[0:1], off offset:256
	s_waitcnt vmcnt(1)
	v_cvt_f16_f32_e32 v2, v2
	v_cvt_f16_f32_e32 v3, v3
	s_waitcnt vmcnt(0)
	v_cvt_f16_f32_e32 v0, v0
	v_cvt_f16_f32_e32 v1, v1
	s_delay_alu instid0(VALU_DEP_3)
	v_pack_b32_f16 v2, v2, v3
	scratch_load_b32 v3, off, off offset:1180 ; 4-byte Folded Reload
	v_pack_b32_f16 v0, v0, v1
	scratch_load_b32 v1, off, off offset:1212 ; 4-byte Folded Reload
	s_waitcnt vmcnt(1)
	v_pk_mul_f16 v2, v3, v2
	v_pk_mul_f16 v0, v3, v0
	s_waitcnt vmcnt(0)
	ds_store_2addr_b32 v1, v2, v0 offset1:32
	scratch_load_b32 v2, off, off offset:1048 ; 4-byte Folded Reload
.LBB25_25:                              ;   in Loop: Header=BB25_14 Depth=1
	s_or_b32 exec_lo, exec_lo, s1
	scratch_load_b32 v0, off, off offset:1240 ; 4-byte Folded Reload
	s_waitcnt vmcnt(0)
	v_add_nc_u32_e32 v0, s0, v0
	s_delay_alu instid0(VALU_DEP_1) | instskip(SKIP_2) | instid1(SALU_CYCLE_1)
	v_cmp_le_i32_e32 vcc_lo, s8, v0
	scratch_store_b32 off, v0, off offset:728 ; 4-byte Folded Spill
	s_or_b32 s1, vcc_lo, s2
	s_and_saveexec_b32 s3, s1
	s_delay_alu instid0(SALU_CYCLE_1)
	s_xor_b32 s1, exec_lo, s3
	s_cbranch_execz .LBB25_27
; %bb.26:                               ;   in Loop: Header=BB25_14 Depth=1
	scratch_load_b32 v1, off, off offset:1216 ; 4-byte Folded Reload
	v_mov_b32_e32 v0, 0
	s_waitcnt vmcnt(0)
	ds_store_2addr_b32 v1, v0, v0 offset1:32
.LBB25_27:                              ;   in Loop: Header=BB25_14 Depth=1
	s_and_not1_saveexec_b32 s1, s1
	s_cbranch_execz .LBB25_29
; %bb.28:                               ;   in Loop: Header=BB25_14 Depth=1
	s_clause 0x1
	scratch_load_b32 v0, off, off offset:728
	scratch_load_b32 v1, off, off offset:1184
	s_waitcnt vmcnt(1)
	v_mul_lo_u32 v0, v0, s61
	s_waitcnt vmcnt(0)
	s_delay_alu instid0(VALU_DEP_1) | instskip(NEXT) | instid1(VALU_DEP_1)
	v_add3_u32 v0, v0, v1, v2
	v_ashrrev_i32_e32 v1, 31, v0
	s_delay_alu instid0(VALU_DEP_1) | instskip(NEXT) | instid1(VALU_DEP_1)
	v_lshlrev_b64 v[0:1], 3, v[0:1]
	v_add_co_u32 v0, vcc_lo, s94, v0
	s_delay_alu instid0(VALU_DEP_2)
	v_add_co_ci_u32_e32 v1, vcc_lo, s95, v1, vcc_lo
	s_clause 0x1
	global_load_b64 v[2:3], v[0:1], off
	global_load_b64 v[0:1], v[0:1], off offset:256
	s_waitcnt vmcnt(1)
	v_cvt_f16_f32_e32 v2, v2
	v_cvt_f16_f32_e32 v3, v3
	s_waitcnt vmcnt(0)
	v_cvt_f16_f32_e32 v0, v0
	v_cvt_f16_f32_e32 v1, v1
	s_delay_alu instid0(VALU_DEP_3)
	v_pack_b32_f16 v2, v2, v3
	scratch_load_b32 v3, off, off offset:1180 ; 4-byte Folded Reload
	v_pack_b32_f16 v0, v0, v1
	scratch_load_b32 v1, off, off offset:1216 ; 4-byte Folded Reload
	s_waitcnt vmcnt(1)
	v_pk_mul_f16 v2, v3, v2
	v_pk_mul_f16 v0, v3, v0
	s_waitcnt vmcnt(0)
	ds_store_2addr_b32 v1, v2, v0 offset1:32
	scratch_load_b32 v2, off, off offset:1048 ; 4-byte Folded Reload
.LBB25_29:                              ;   in Loop: Header=BB25_14 Depth=1
	;; [unrolled: 56-line block ×9, first 2 shown]
	s_or_b32 exec_lo, exec_lo, s1
	scratch_load_b32 v0, off, off offset:1292 ; 4-byte Folded Reload
	s_waitcnt vmcnt(0)
	v_add_nc_u32_e32 v0, s0, v0
	s_delay_alu instid0(VALU_DEP_1) | instskip(SKIP_2) | instid1(SALU_CYCLE_1)
	v_cmp_le_i32_e32 vcc_lo, s8, v0
	scratch_store_b32 off, v0, off offset:776 ; 4-byte Folded Spill
	s_or_b32 s1, vcc_lo, s2
	s_and_saveexec_b32 s3, s1
	s_delay_alu instid0(SALU_CYCLE_1)
	s_xor_b32 s1, exec_lo, s3
	s_cbranch_execz .LBB25_59
; %bb.58:                               ;   in Loop: Header=BB25_14 Depth=1
	scratch_load_b32 v0, off, off offset:1192 ; 4-byte Folded Reload
	s_waitcnt vmcnt(0)
	v_dual_mov_b32 v1, 0 :: v_dual_add_nc_u32 v0, 0x400, v0
	ds_store_2addr_b32 v0, v1, v1 offset0:16 offset1:48
.LBB25_59:                              ;   in Loop: Header=BB25_14 Depth=1
	s_and_not1_saveexec_b32 s1, s1
	s_cbranch_execz .LBB25_61
; %bb.60:                               ;   in Loop: Header=BB25_14 Depth=1
	s_clause 0x1
	scratch_load_b32 v0, off, off offset:776
	scratch_load_b32 v1, off, off offset:1184
	s_waitcnt vmcnt(1)
	v_mul_lo_u32 v0, v0, s61
	s_waitcnt vmcnt(0)
	s_delay_alu instid0(VALU_DEP_1) | instskip(NEXT) | instid1(VALU_DEP_1)
	v_add3_u32 v0, v0, v1, v2
	v_ashrrev_i32_e32 v1, 31, v0
	s_delay_alu instid0(VALU_DEP_1) | instskip(NEXT) | instid1(VALU_DEP_1)
	v_lshlrev_b64 v[0:1], 3, v[0:1]
	v_add_co_u32 v0, vcc_lo, s94, v0
	s_delay_alu instid0(VALU_DEP_2)
	v_add_co_ci_u32_e32 v1, vcc_lo, s95, v1, vcc_lo
	s_clause 0x1
	global_load_b64 v[2:3], v[0:1], off
	global_load_b64 v[0:1], v[0:1], off offset:256
	s_waitcnt vmcnt(1)
	v_cvt_f16_f32_e32 v2, v2
	v_cvt_f16_f32_e32 v3, v3
	s_waitcnt vmcnt(0)
	v_cvt_f16_f32_e32 v0, v0
	v_cvt_f16_f32_e32 v1, v1
	s_delay_alu instid0(VALU_DEP_3)
	v_pack_b32_f16 v2, v2, v3
	scratch_load_b32 v3, off, off offset:1180 ; 4-byte Folded Reload
	v_pack_b32_f16 v0, v0, v1
	scratch_load_b32 v1, off, off offset:1192 ; 4-byte Folded Reload
	s_waitcnt vmcnt(1)
	v_pk_mul_f16 v2, v3, v2
	v_pk_mul_f16 v0, v3, v0
	s_waitcnt vmcnt(0)
	v_add_nc_u32_e32 v1, 0x400, v1
	ds_store_2addr_b32 v1, v2, v0 offset0:16 offset1:48
	scratch_load_b32 v2, off, off offset:1048 ; 4-byte Folded Reload
.LBB25_61:                              ;   in Loop: Header=BB25_14 Depth=1
	s_or_b32 exec_lo, exec_lo, s1
	scratch_load_b32 v0, off, off offset:1296 ; 4-byte Folded Reload
	s_waitcnt vmcnt(0)
	v_add_nc_u32_e32 v0, s0, v0
	s_delay_alu instid0(VALU_DEP_1) | instskip(SKIP_2) | instid1(SALU_CYCLE_1)
	v_cmp_le_i32_e32 vcc_lo, s8, v0
	scratch_store_b32 off, v0, off offset:784 ; 4-byte Folded Spill
	s_or_b32 s1, vcc_lo, s2
	s_and_saveexec_b32 s3, s1
	s_delay_alu instid0(SALU_CYCLE_1)
	s_xor_b32 s1, exec_lo, s3
	s_cbranch_execz .LBB25_63
; %bb.62:                               ;   in Loop: Header=BB25_14 Depth=1
	scratch_load_b32 v0, off, off offset:1192 ; 4-byte Folded Reload
	s_waitcnt vmcnt(0)
	v_dual_mov_b32 v1, 0 :: v_dual_add_nc_u32 v0, 0x800, v0
	ds_store_2addr_b32 v0, v1, v1 offset0:32 offset1:64
.LBB25_63:                              ;   in Loop: Header=BB25_14 Depth=1
	s_and_not1_saveexec_b32 s1, s1
	s_cbranch_execz .LBB25_65
; %bb.64:                               ;   in Loop: Header=BB25_14 Depth=1
	s_clause 0x1
	scratch_load_b32 v0, off, off offset:784
	scratch_load_b32 v1, off, off offset:1184
	s_waitcnt vmcnt(1)
	v_mul_lo_u32 v0, v0, s61
	s_waitcnt vmcnt(0)
	s_delay_alu instid0(VALU_DEP_1) | instskip(NEXT) | instid1(VALU_DEP_1)
	v_add3_u32 v0, v0, v1, v2
	v_ashrrev_i32_e32 v1, 31, v0
	s_delay_alu instid0(VALU_DEP_1) | instskip(NEXT) | instid1(VALU_DEP_1)
	v_lshlrev_b64 v[0:1], 3, v[0:1]
	v_add_co_u32 v0, vcc_lo, s94, v0
	s_delay_alu instid0(VALU_DEP_2)
	v_add_co_ci_u32_e32 v1, vcc_lo, s95, v1, vcc_lo
	s_clause 0x1
	global_load_b64 v[2:3], v[0:1], off
	global_load_b64 v[0:1], v[0:1], off offset:256
	s_waitcnt vmcnt(1)
	v_cvt_f16_f32_e32 v2, v2
	v_cvt_f16_f32_e32 v3, v3
	s_waitcnt vmcnt(0)
	v_cvt_f16_f32_e32 v0, v0
	v_cvt_f16_f32_e32 v1, v1
	s_delay_alu instid0(VALU_DEP_3)
	v_pack_b32_f16 v2, v2, v3
	scratch_load_b32 v3, off, off offset:1180 ; 4-byte Folded Reload
	v_pack_b32_f16 v0, v0, v1
	scratch_load_b32 v1, off, off offset:1192 ; 4-byte Folded Reload
	s_waitcnt vmcnt(1)
	v_pk_mul_f16 v2, v3, v2
	v_pk_mul_f16 v0, v3, v0
	s_waitcnt vmcnt(0)
	v_add_nc_u32_e32 v1, 0x800, v1
	ds_store_2addr_b32 v1, v2, v0 offset0:32 offset1:64
	scratch_load_b32 v2, off, off offset:1048 ; 4-byte Folded Reload
.LBB25_65:                              ;   in Loop: Header=BB25_14 Depth=1
	;; [unrolled: 57-line block ×5, first 2 shown]
	s_or_b32 exec_lo, exec_lo, s1
	scratch_load_b32 v0, off, off offset:1312 ; 4-byte Folded Reload
	s_waitcnt vmcnt(0)
	v_add_nc_u32_e32 v0, s0, v0
	s_delay_alu instid0(VALU_DEP_1) | instskip(SKIP_2) | instid1(SALU_CYCLE_1)
	v_cmp_le_i32_e32 vcc_lo, s8, v0
	scratch_store_b32 off, v0, off offset:812 ; 4-byte Folded Spill
	s_or_b32 s1, vcc_lo, s2
	s_and_saveexec_b32 s2, s1
	s_delay_alu instid0(SALU_CYCLE_1)
	s_xor_b32 s1, exec_lo, s2
	s_cbranch_execz .LBB25_79
; %bb.78:                               ;   in Loop: Header=BB25_14 Depth=1
	scratch_load_b32 v0, off, off offset:1192 ; 4-byte Folded Reload
	s_waitcnt vmcnt(0)
	v_dual_mov_b32 v1, 0 :: v_dual_add_nc_u32 v0, 0x1800, v0
	ds_store_2addr_b32 v0, v1, v1 offset0:96 offset1:128
.LBB25_79:                              ;   in Loop: Header=BB25_14 Depth=1
	s_and_not1_saveexec_b32 s1, s1
	s_cbranch_execz .LBB25_81
; %bb.80:                               ;   in Loop: Header=BB25_14 Depth=1
	s_clause 0x1
	scratch_load_b32 v0, off, off offset:812
	scratch_load_b32 v1, off, off offset:1184
	s_waitcnt vmcnt(1)
	v_mul_lo_u32 v0, v0, s61
	s_waitcnt vmcnt(0)
	s_delay_alu instid0(VALU_DEP_1) | instskip(NEXT) | instid1(VALU_DEP_1)
	v_add3_u32 v0, v0, v1, v2
	v_ashrrev_i32_e32 v1, 31, v0
	s_delay_alu instid0(VALU_DEP_1) | instskip(NEXT) | instid1(VALU_DEP_1)
	v_lshlrev_b64 v[0:1], 3, v[0:1]
	v_add_co_u32 v0, vcc_lo, s94, v0
	s_delay_alu instid0(VALU_DEP_2)
	v_add_co_ci_u32_e32 v1, vcc_lo, s95, v1, vcc_lo
	s_clause 0x1
	global_load_b64 v[2:3], v[0:1], off
	global_load_b64 v[0:1], v[0:1], off offset:256
	s_waitcnt vmcnt(1)
	v_cvt_f16_f32_e32 v2, v2
	v_cvt_f16_f32_e32 v3, v3
	s_waitcnt vmcnt(0)
	v_cvt_f16_f32_e32 v0, v0
	v_cvt_f16_f32_e32 v1, v1
	s_delay_alu instid0(VALU_DEP_3)
	v_pack_b32_f16 v2, v2, v3
	scratch_load_b32 v3, off, off offset:1180 ; 4-byte Folded Reload
	v_pack_b32_f16 v0, v0, v1
	scratch_load_b32 v1, off, off offset:1192 ; 4-byte Folded Reload
	s_waitcnt vmcnt(1)
	v_pk_mul_f16 v2, v3, v2
	v_pk_mul_f16 v0, v3, v0
	s_waitcnt vmcnt(0)
	v_add_nc_u32_e32 v1, 0x1800, v1
	ds_store_2addr_b32 v1, v2, v0 offset0:96 offset1:128
.LBB25_81:                              ;   in Loop: Header=BB25_14 Depth=1
	s_or_b32 exec_lo, exec_lo, s1
	s_waitcnt lgkmcnt(0)
	s_waitcnt_vscnt null, 0x0
	s_barrier
	buffer_gl0_inv
	scratch_load_b32 v0, off, off offset:1232 ; 4-byte Folded Reload
	s_waitcnt vmcnt(0)
	ds_load_b128 v[240:243], v0
	ds_load_b128 v[244:247], v0 offset:16
	ds_load_b128 v[232:235], v0 offset:32
	;; [unrolled: 1-line block ×15, first 2 shown]
	scratch_load_b32 v1, off, off offset:1204 ; 4-byte Folded Reload
	s_waitcnt vmcnt(0) lgkmcnt(0)
	s_barrier
	buffer_gl0_inv
	s_clause 0x1
	scratch_store_b32 off, v8, off offset:716
	scratch_store_b32 off, v4, off offset:724
	v_add_nc_u32_e32 v0, 4, v1
	v_add_nc_u32_e32 v34, s0, v1
	s_delay_alu instid0(VALU_DEP_2) | instskip(SKIP_1) | instid1(VALU_DEP_3)
	v_add_nc_u32_e32 v35, s0, v0
	v_add_nc_u32_e32 v0, 8, v1
	v_mul_hi_u32 v39, s48, v34
	s_delay_alu instid0(VALU_DEP_3) | instskip(NEXT) | instid1(VALU_DEP_3)
	v_mul_hi_u32 v38, s48, v35
	v_add_nc_u32_e32 v32, s0, v0
	v_add_nc_u32_e32 v0, 12, v1
	s_delay_alu instid0(VALU_DEP_2) | instskip(NEXT) | instid1(VALU_DEP_2)
	v_mul_hi_u32 v37, s48, v32
	v_add_nc_u32_e32 v33, s0, v0
	s_add_i32 s0, s15, -1
	s_delay_alu instid0(SALU_CYCLE_1) | instskip(NEXT) | instid1(VALU_DEP_1)
	s_cmp_gt_i32 s0, s14
	v_mul_hi_u32 v36, s48, v33
	s_cbranch_scc1 .LBB25_84
; %bb.82:                               ;   in Loop: Header=BB25_14 Depth=1
	v_add_nc_u32_e32 v0, v34, v39
	v_add_nc_u32_e32 v1, v35, v38
	v_add_nc_u32_e32 v2, v32, v37
	s_delay_alu instid0(VALU_DEP_4)
	v_add_nc_u32_e32 v3, v33, v36
	s_mov_b32 s1, 0
	v_lshrrev_b32_e32 v0, s49, v0
	v_lshrrev_b32_e32 v1, s49, v1
	;; [unrolled: 1-line block ×4, first 2 shown]
	s_mov_b32 s2, 0xfeffffff
	v_mul_lo_u32 v0, v0, s8
	v_mul_lo_u32 v1, v1, s8
	;; [unrolled: 1-line block ×4, first 2 shown]
	s_mov_b32 s4, 0
	s_mov_b32 s3, 0
	s_delay_alu instid0(VALU_DEP_4) | instskip(NEXT) | instid1(VALU_DEP_4)
	v_sub_nc_u32_e32 v0, v34, v0
	v_sub_nc_u32_e32 v1, v35, v1
	s_delay_alu instid0(VALU_DEP_4) | instskip(NEXT) | instid1(VALU_DEP_4)
	v_sub_nc_u32_e32 v2, v32, v2
	v_sub_nc_u32_e32 v3, v33, v3
	s_delay_alu instid0(VALU_DEP_4)
	v_mad_i64_i32 v[4:5], null, v0, s50, 0
	scratch_store_b64 off, v[4:5], off offset:684 ; 8-byte Folded Spill
	v_mad_i64_i32 v[4:5], null, v1, s50, 0
	v_mad_i64_i32 v[0:1], null, v2, s50, 0
	s_clause 0x1
	scratch_store_b64 off, v[4:5], off offset:676
	scratch_store_b64 off, v[0:1], off offset:692
	v_mad_i64_i32 v[0:1], null, v3, s50, 0
	scratch_store_b64 off, v[0:1], off offset:700 ; 8-byte Folded Spill
	s_branch .LBB25_85
.LBB25_83:                              ;   in Loop: Header=BB25_14 Depth=1
                                        ; implicit-def: $vgpr1
                                        ; implicit-def: $vgpr2
	s_cbranch_execnz .LBB25_442
	s_branch .LBB25_866
.LBB25_84:                              ;   in Loop: Header=BB25_14 Depth=1
                                        ; implicit-def: $vgpr0_vgpr1
                                        ; kill: killed $vgpr0_vgpr1
	s_mov_b32 s1, -1
                                        ; implicit-def: $vgpr0_vgpr1
                                        ; kill: killed $vgpr0_vgpr1
                                        ; implicit-def: $sgpr3
                                        ; implicit-def: $sgpr4
                                        ; implicit-def: $sgpr2
                                        ; implicit-def: $vgpr0_vgpr1
                                        ; kill: killed $vgpr0_vgpr1
                                        ; implicit-def: $vgpr0_vgpr1
                                        ; kill: killed $vgpr0_vgpr1
.LBB25_85:                              ;   in Loop: Header=BB25_14 Depth=1
	v_dual_mov_b32 v31, s3 :: v_dual_mov_b32 v30, s3
	v_dual_mov_b32 v93, s4 :: v_dual_mov_b32 v28, s3
	;; [unrolled: 1-line block ×16, first 2 shown]
	v_mov_b32_e32 v3, s3
	v_mov_b32_e32 v1, s3
	s_and_not1_b32 vcc_lo, exec_lo, s1
	s_cbranch_vccnz .LBB25_217
; %bb.86:                               ;   in Loop: Header=BB25_14 Depth=1
	scratch_load_b32 v4, off, off offset:1208 ; 4-byte Folded Reload
	v_dual_mov_b32 v251, 0 :: v_dual_add_nc_u32 v0, v34, v39
	v_add_nc_u32_e32 v2, v32, v37
	v_mbcnt_lo_u32_b32 v6, -1, 0
	v_add_nc_u32_e32 v3, v33, v36
	s_delay_alu instid0(VALU_DEP_4)
	v_lshrrev_b32_e32 v0, s49, v0
	s_lshl_b32 s76, s14, 6
	v_lshrrev_b32_e32 v2, s49, v2
	v_xor_b32_e32 v5, 16, v6
	v_lshrrev_b32_e32 v3, s49, v3
	v_mul_lo_u32 v0, v0, s8
	v_mov_b32_e32 v252, 0xfeffffff
	v_mul_lo_u32 v2, v2, s8
	s_delay_alu instid0(VALU_DEP_4) | instskip(NEXT) | instid1(VALU_DEP_4)
	v_mul_lo_u32 v3, v3, s8
	v_sub_nc_u32_e32 v0, v34, v0
	s_delay_alu instid0(VALU_DEP_1) | instskip(NEXT) | instid1(VALU_DEP_4)
	v_mad_i64_i32 v[7:8], null, v0, s50, 0
	v_sub_nc_u32_e32 v0, v32, v2
	scratch_store_b64 off, v[7:8], off offset:684 ; 8-byte Folded Spill
	s_waitcnt vmcnt(0)
	v_lshlrev_b32_e32 v4, 1, v4
	s_delay_alu instid0(VALU_DEP_1)
	v_add_co_u32 v4, s1, vcc_hi, v4
	v_cmp_gt_i32_e32 vcc_lo, 32, v5
	v_add_nc_u32_e32 v1, v35, v38
	scratch_store_b32 off, v4, off offset:708 ; 4-byte Folded Spill
	v_add_co_ci_u32_e64 v4, null, s62, 0, s1
	v_cndmask_b32_e32 v2, v6, v5, vcc_lo
	v_lshrrev_b32_e32 v1, s49, v1
	scratch_store_b32 off, v4, off offset:712 ; 4-byte Folded Spill
	v_lshlrev_b32_e32 v253, 2, v2
	v_mul_lo_u32 v1, v1, s8
	s_delay_alu instid0(VALU_DEP_1) | instskip(NEXT) | instid1(VALU_DEP_1)
	v_sub_nc_u32_e32 v1, v35, v1
	v_mad_i64_i32 v[7:8], null, v1, s50, 0
	v_sub_nc_u32_e32 v1, v33, v3
	v_mad_i64_i32 v[3:4], null, v0, s50, 0
	v_mov_b32_e32 v0, 0
	scratch_store_b64 off, v[7:8], off offset:676 ; 8-byte Folded Spill
	v_mov_b32_e32 v2, v0
	scratch_store_b64 off, v[3:4], off offset:692 ; 8-byte Folded Spill
	v_mad_i64_i32 v[3:4], null, v1, s50, 0
	v_mov_b32_e32 v1, v0
	v_mov_b32_e32 v5, v0
	;; [unrolled: 1-line block ×6, first 2 shown]
	scratch_store_b64 off, v[3:4], off offset:700 ; 8-byte Folded Spill
	v_mov_b32_e32 v3, v0
	v_mov_b32_e32 v4, v0
	v_mov_b32_e32 v10, v0
	v_mov_b32_e32 v11, v0
	v_mov_b32_e32 v12, v0
	v_mov_b32_e32 v13, v0
	v_mov_b32_e32 v14, v0
	v_mov_b32_e32 v15, v0
	v_mov_b32_e32 v16, v0
	v_mov_b32_e32 v17, v0
	v_mov_b32_e32 v18, v0
	v_mov_b32_e32 v19, v0
	v_mov_b32_e32 v20, v0
	v_mov_b32_e32 v21, v0
	v_mov_b32_e32 v22, v0
	v_mov_b32_e32 v23, v0
	v_mov_b32_e32 v24, v0
	v_mov_b32_e32 v25, v0
	v_mov_b32_e32 v26, v0
	v_mov_b32_e32 v27, v0
	v_mov_b32_e32 v28, v0
	v_mov_b32_e32 v29, v0
	v_mov_b32_e32 v30, v0
	v_mov_b32_e32 v31, v0
	s_clause 0x5
	scratch_store_b128 off, v[240:243], off offset:32
	scratch_store_b128 off, v[244:247], off offset:48
	;; [unrolled: 1-line block ×6, first 2 shown]
.LBB25_87:                              ;   Parent Loop BB25_14 Depth=1
                                        ; =>  This Inner Loop Header: Depth=2
	scratch_load_b32 v34, off, off offset:708 ; 4-byte Folded Reload
	s_ashr_i32 s77, s76, 31
	s_clause 0x2
	scratch_load_b64 v[32:33], off, off offset:684
	scratch_load_b64 v[36:37], off, off offset:692
	;; [unrolled: 1-line block ×3, first 2 shown]
	s_lshl_b64 s[2:3], s[76:77], 1
	v_dual_mov_b32 v112, v232 :: v_dual_mov_b32 v119, v239
	v_dual_mov_b32 v128, v224 :: v_dual_mov_b32 v135, v231
	;; [unrolled: 1-line block ×6, first 2 shown]
	v_mov_b32_e32 v130, v226
	v_mov_b32_e32 v132, v228
	;; [unrolled: 1-line block ×5, first 2 shown]
	v_dual_mov_b32 v158, v198 :: v_dual_mov_b32 v113, v233
	v_mov_b32_e32 v115, v235
	v_mov_b32_e32 v117, v237
	;; [unrolled: 1-line block ×5, first 2 shown]
	s_waitcnt vmcnt(3)
	v_add_co_u32 v40, vcc_lo, v34, s2
	scratch_load_b32 v34, off, off offset:712 ; 4-byte Folded Reload
	s_waitcnt vmcnt(2)
	v_lshlrev_b64 v[36:37], 1, v[36:37]
	s_waitcnt vmcnt(1)
	v_lshlrev_b64 v[38:39], 1, v[38:39]
	s_mul_i32 s2, s76, s12
	s_waitcnt vmcnt(0)
	v_add_co_ci_u32_e32 v41, vcc_lo, s3, v34, vcc_lo
	scratch_load_b64 v[34:35], off, off offset:676 ; 8-byte Folded Reload
	v_lshlrev_b64 v[32:33], 1, v[32:33]
	s_mul_hi_i32 s3, s76, s12
	s_delay_alu instid0(SALU_CYCLE_1) | instskip(NEXT) | instid1(SALU_CYCLE_1)
	s_lshl_b64 s[2:3], s[2:3], 2
	s_add_u32 s1, s101, s2
	s_delay_alu instid0(VALU_DEP_1) | instskip(NEXT) | instid1(VALU_DEP_2)
	v_add_co_u32 v32, vcc_lo, v40, v32
	v_add_co_ci_u32_e32 v33, vcc_lo, v41, v33, vcc_lo
	s_addc_u32 s2, s104, s3
	s_waitcnt vmcnt(0)
	v_lshlrev_b64 v[34:35], 1, v[34:35]
	s_delay_alu instid0(VALU_DEP_1) | instskip(NEXT) | instid1(VALU_DEP_2)
	v_add_co_u32 v34, vcc_lo, v40, v34
	v_add_co_ci_u32_e32 v35, vcc_lo, v41, v35, vcc_lo
	v_add_co_u32 v36, vcc_lo, v40, v36
	v_add_co_ci_u32_e32 v37, vcc_lo, v41, v37, vcc_lo
	s_clause 0x1
	global_load_b32 v42, v[32:33], off
	global_load_b32 v43, v[34:35], off
	v_add_co_u32 v32, vcc_lo, v40, v38
	v_add_co_ci_u32_e32 v33, vcc_lo, v41, v39, vcc_lo
	s_clause 0x1
	global_load_b32 v44, v[36:37], off
	global_load_b32 v45, v[32:33], off
	s_clause 0x3
	scratch_load_b32 v32, off, off offset:512
	scratch_load_b32 v33, off, off offset:636
	scratch_load_b64 v[40:41], off, off offset:1132
	scratch_load_b32 v50, off, off
	s_waitcnt vmcnt(2)
	v_add_nc_u32_e32 v32, v32, v33
	scratch_load_b64 v[33:34], off, off offset:1116 ; 8-byte Folded Reload
	v_add_nc_u32_e32 v38, 0x4400, v32
	v_add_nc_u32_e32 v46, 0x4800, v32
	ds_store_2addr_b32 v38, v42, v43 offset1:144
	ds_store_2addr_b32 v46, v44, v45 offset0:32 offset1:176
	s_waitcnt vmcnt(0)
	v_add_co_u32 v33, vcc_lo, s1, v33
	v_add_co_ci_u32_e32 v34, vcc_lo, s2, v34, vcc_lo
	s_delay_alu instid0(VALU_DEP_2) | instskip(NEXT) | instid1(VALU_DEP_2)
	v_add_co_u32 v32, vcc_lo, v33, v50
	v_add_co_ci_u32_e32 v33, vcc_lo, 0, v34, vcc_lo
	scratch_load_b64 v[34:35], off, off offset:1124 ; 8-byte Folded Reload
	s_waitcnt vmcnt(0)
	v_add_co_u32 v36, vcc_lo, s1, v34
	v_add_co_ci_u32_e32 v37, vcc_lo, s2, v35, vcc_lo
	global_load_b128 v[32:35], v[32:33], off
	v_add_co_u32 v36, vcc_lo, v36, v50
	v_add_co_ci_u32_e32 v37, vcc_lo, 0, v37, vcc_lo
	v_add_co_u32 v40, vcc_lo, s1, v40
	v_add_co_ci_u32_e32 v41, vcc_lo, s2, v41, vcc_lo
	global_load_b128 v[36:39], v[36:37], off
	v_add_co_u32 v40, vcc_lo, v40, v50
	v_add_co_ci_u32_e32 v41, vcc_lo, 0, v41, vcc_lo
	global_load_b128 v[40:43], v[40:41], off
	scratch_load_b64 v[44:45], off, off offset:1140 ; 8-byte Folded Reload
	s_waitcnt vmcnt(3)
	ds_store_b128 v137, v[32:35]
	s_clause 0x1
	scratch_load_b64 v[32:33], off, off offset:1148
	scratch_load_b64 v[34:35], off, off offset:1156
	s_waitcnt vmcnt(4)
	ds_store_b128 v139, v[36:39]
	scratch_load_b64 v[36:37], off, off offset:1172 ; 8-byte Folded Reload
	s_waitcnt vmcnt(4)
	ds_store_b128 v140, v[40:43]
	s_waitcnt vmcnt(3)
	v_add_co_u32 v44, vcc_lo, s1, v44
	v_add_co_ci_u32_e32 v45, vcc_lo, s2, v45, vcc_lo
	s_waitcnt vmcnt(2)
	v_add_co_u32 v46, vcc_lo, s1, v32
	v_add_co_ci_u32_e32 v47, vcc_lo, s2, v33, vcc_lo
	v_add_co_u32 v32, vcc_lo, v44, v50
	v_add_co_ci_u32_e32 v33, vcc_lo, 0, v45, vcc_lo
	s_waitcnt vmcnt(1)
	v_add_co_u32 v44, vcc_lo, s1, v34
	v_add_co_ci_u32_e32 v45, vcc_lo, s2, v35, vcc_lo
	scratch_load_b64 v[34:35], off, off offset:1164 ; 8-byte Folded Reload
	s_waitcnt vmcnt(0)
	v_add_co_u32 v38, vcc_lo, s1, v34
	v_add_co_ci_u32_e32 v39, vcc_lo, s2, v35, vcc_lo
	v_add_co_u32 v48, vcc_lo, s1, v36
	v_add_co_ci_u32_e32 v49, vcc_lo, s2, v37, vcc_lo
	;; [unrolled: 2-line block ×4, first 2 shown]
	v_add_co_u32 v42, vcc_lo, v38, v50
	global_load_b128 v[32:35], v[32:33], off
	v_add_co_ci_u32_e32 v43, vcc_lo, 0, v39, vcc_lo
	global_load_b128 v[36:39], v[36:37], off
	v_add_co_u32 v44, vcc_lo, v48, v50
	v_add_co_ci_u32_e32 v45, vcc_lo, 0, v49, vcc_lo
	s_waitcnt vmcnt(1)
	ds_store_b128 v141, v[32:35]
	global_load_b128 v[32:35], v[40:41], off
	s_waitcnt vmcnt(1)
	ds_store_b128 v142, v[36:39]
	s_clause 0x1
	global_load_b128 v[36:39], v[42:43], off
	global_load_b128 v[40:43], v[44:45], off
	s_waitcnt vmcnt(2)
	ds_store_b128 v143, v[32:35]
	s_waitcnt vmcnt(1)
	ds_store_b128 v144, v[36:39]
	;; [unrolled: 2-line block ×3, first 2 shown]
	s_waitcnt lgkmcnt(0)
	s_waitcnt_vscnt null, 0x0
	s_barrier
	buffer_gl0_inv
	ds_load_b128 v[32:35], v254
	ds_load_b128 v[36:39], v254 offset:16
	v_dual_mov_b32 v47, s43 :: v_dual_mov_b32 v46, s42
	v_mov_b32_e32 v41, s37
	v_dual_mov_b32 v45, s41 :: v_dual_mov_b32 v44, s40
	v_dual_mov_b32 v43, s39 :: v_dual_mov_b32 v42, s38
	v_mov_b32_e32 v40, s36
	v_dual_mov_b32 v136, v216 :: v_dual_mov_b32 v143, v223
	v_dual_mov_b32 v144, v200 :: v_dual_mov_b32 v151, v207
	;; [unrolled: 1-line block ×3, first 2 shown]
	v_mov_b32_e32 v145, v201
	v_dual_mov_b32 v139, v219 :: v_dual_mov_b32 v140, v220
	v_mov_b32_e32 v147, v203
	v_mov_b32_e32 v141, v221
	s_waitcnt lgkmcnt(0)
	v_wmma_f32_16x16x16_f16 v[96:103], v[32:39], v[240:247], v[40:47]
	ds_load_b128 v[32:35], v254 offset:32
	ds_load_b128 v[36:39], v254 offset:48
	v_dual_mov_b32 v142, v222 :: v_dual_mov_b32 v149, v205
	v_mov_b32_e32 v146, v202
	v_mov_b32_e32 v148, v204
	;; [unrolled: 1-line block ×3, first 2 shown]
	s_waitcnt lgkmcnt(0)
	v_wmma_f32_16x16x16_f16 v[96:103], v[32:39], v[232:239], v[96:103]
	ds_load_b128 v[32:35], v254 offset:64
	ds_load_b128 v[36:39], v254 offset:80
	s_waitcnt lgkmcnt(0)
	v_wmma_f32_16x16x16_f16 v[96:103], v[32:39], v[224:231], v[96:103]
	ds_load_b128 v[32:35], v254 offset:96
	ds_load_b128 v[36:39], v254 offset:112
	;; [unrolled: 4-line block ×7, first 2 shown]
	ds_load_b128 v[72:75], v254 offset:4384
	ds_load_b128 v[76:79], v254 offset:4400
	;; [unrolled: 1-line block ×36, first 2 shown]
	s_waitcnt lgkmcnt(0)
	s_clause 0x1
	scratch_store_b128 off, v[88:91], off offset:448
	scratch_store_b128 off, v[92:95], off offset:464
	ds_load_b128 v[88:91], v254 offset:13152
	ds_load_b128 v[92:95], v254 offset:13168
	s_waitcnt lgkmcnt(0)
	s_clause 0x1
	scratch_store_b128 off, v[88:91], off offset:416
	scratch_store_b128 off, v[92:95], off offset:432
	ds_load_b128 v[88:91], v254 offset:13184
	ds_load_b128 v[92:95], v254 offset:13200
	;; [unrolled: 6-line block ×5, first 2 shown]
	v_cmp_ngt_f32_e64 s1, 0x3f200000, |v96|
	s_waitcnt lgkmcnt(0)
	s_clause 0x1
	scratch_store_b128 off, v[88:91], off offset:288
	scratch_store_b128 off, v[92:95], off offset:304
	s_waitcnt_vscnt null, 0x0
	s_barrier
	buffer_gl0_inv
                                        ; implicit-def: $vgpr88
                                        ; kill: killed $vgpr88
	s_and_saveexec_b32 s2, s1
	s_delay_alu instid0(SALU_CYCLE_1)
	s_xor_b32 s1, exec_lo, s2
	s_cbranch_execz .LBB25_89
; %bb.88:                               ;   in Loop: Header=BB25_87 Depth=2
	v_add_f32_e64 v88, |v96|, |v96|
	s_delay_alu instid0(VALU_DEP_1) | instskip(SKIP_1) | instid1(VALU_DEP_2)
	v_mul_f32_e32 v89, 0x3fb8aa3b, v88
	v_cmp_ngt_f32_e32 vcc_lo, 0xc2ce8ed0, v88
	v_rndne_f32_e32 v90, v89
	v_fma_f32 v91, 0x3fb8aa3b, v88, -v89
	s_delay_alu instid0(VALU_DEP_2) | instskip(NEXT) | instid1(VALU_DEP_2)
	v_sub_f32_e32 v89, v89, v90
	v_fmac_f32_e32 v91, 0x32a5705f, v88
	v_cvt_i32_f32_e32 v90, v90
	s_delay_alu instid0(VALU_DEP_2) | instskip(NEXT) | instid1(VALU_DEP_1)
	v_add_f32_e32 v89, v89, v91
	v_exp_f32_e32 v89, v89
	s_waitcnt_depctr 0xfff
	v_ldexp_f32 v89, v89, v90
	s_delay_alu instid0(VALU_DEP_1) | instskip(SKIP_1) | instid1(VALU_DEP_2)
	v_cndmask_b32_e32 v89, 0, v89, vcc_lo
	v_cmp_nlt_f32_e32 vcc_lo, 0x42b17218, v88
	v_cndmask_b32_e32 v88, 0x7f800000, v89, vcc_lo
	s_delay_alu instid0(VALU_DEP_1) | instskip(NEXT) | instid1(VALU_DEP_1)
	v_add_f32_e32 v88, 1.0, v88
	v_rcp_f32_e32 v88, v88
	s_waitcnt_depctr 0xfff
	v_fma_f32 v88, v88, -2.0, 1.0
	scratch_store_b32 off, v88, off offset:128 ; 4-byte Folded Spill
.LBB25_89:                              ;   in Loop: Header=BB25_87 Depth=2
	s_and_not1_saveexec_b32 s1, s1
	s_cbranch_execz .LBB25_91
; %bb.90:                               ;   in Loop: Header=BB25_87 Depth=2
	v_mul_f32_e32 v88, v96, v96
	s_delay_alu instid0(VALU_DEP_1) | instskip(NEXT) | instid1(VALU_DEP_1)
	v_fmaak_f32 v89, s51, v88, 0x3ca908c9
	v_fmaak_f32 v89, v88, v89, 0xbd5c1c4e
	s_delay_alu instid0(VALU_DEP_1) | instskip(NEXT) | instid1(VALU_DEP_1)
	v_fmaak_f32 v89, v88, v89, 0x3e088382
	v_fmaak_f32 v89, v88, v89, 0xbeaaaa99
	s_delay_alu instid0(VALU_DEP_1) | instskip(NEXT) | instid1(VALU_DEP_1)
	v_mul_f32_e64 v89, |v96|, v89
	v_fma_f32 v88, v88, v89, |v96|
	scratch_store_b32 off, v88, off offset:128 ; 4-byte Folded Spill
.LBB25_91:                              ;   in Loop: Header=BB25_87 Depth=2
	s_or_b32 exec_lo, exec_lo, s1
	v_cmp_ngt_f32_e64 s1, 0x3f200000, |v97|
                                        ; implicit-def: $vgpr88
                                        ; kill: killed $vgpr88
	s_delay_alu instid0(VALU_DEP_1) | instskip(NEXT) | instid1(SALU_CYCLE_1)
	s_and_saveexec_b32 s2, s1
	s_xor_b32 s1, exec_lo, s2
	s_cbranch_execz .LBB25_93
; %bb.92:                               ;   in Loop: Header=BB25_87 Depth=2
	v_add_f32_e64 v88, |v97|, |v97|
	s_delay_alu instid0(VALU_DEP_1) | instskip(SKIP_1) | instid1(VALU_DEP_2)
	v_mul_f32_e32 v89, 0x3fb8aa3b, v88
	v_cmp_ngt_f32_e32 vcc_lo, 0xc2ce8ed0, v88
	v_rndne_f32_e32 v90, v89
	v_fma_f32 v91, 0x3fb8aa3b, v88, -v89
	s_delay_alu instid0(VALU_DEP_2) | instskip(NEXT) | instid1(VALU_DEP_2)
	v_sub_f32_e32 v89, v89, v90
	v_fmac_f32_e32 v91, 0x32a5705f, v88
	v_cvt_i32_f32_e32 v90, v90
	s_delay_alu instid0(VALU_DEP_2) | instskip(NEXT) | instid1(VALU_DEP_1)
	v_add_f32_e32 v89, v89, v91
	v_exp_f32_e32 v89, v89
	s_waitcnt_depctr 0xfff
	v_ldexp_f32 v89, v89, v90
	s_delay_alu instid0(VALU_DEP_1) | instskip(SKIP_1) | instid1(VALU_DEP_2)
	v_cndmask_b32_e32 v89, 0, v89, vcc_lo
	v_cmp_nlt_f32_e32 vcc_lo, 0x42b17218, v88
	v_cndmask_b32_e32 v88, 0x7f800000, v89, vcc_lo
	s_delay_alu instid0(VALU_DEP_1) | instskip(NEXT) | instid1(VALU_DEP_1)
	v_add_f32_e32 v88, 1.0, v88
	v_rcp_f32_e32 v88, v88
	s_waitcnt_depctr 0xfff
	v_fma_f32 v88, v88, -2.0, 1.0
	scratch_store_b32 off, v88, off offset:160 ; 4-byte Folded Spill
.LBB25_93:                              ;   in Loop: Header=BB25_87 Depth=2
	s_and_not1_saveexec_b32 s1, s1
	s_cbranch_execz .LBB25_95
; %bb.94:                               ;   in Loop: Header=BB25_87 Depth=2
	v_mul_f32_e32 v88, v97, v97
	s_delay_alu instid0(VALU_DEP_1) | instskip(NEXT) | instid1(VALU_DEP_1)
	v_fmaak_f32 v89, s51, v88, 0x3ca908c9
	v_fmaak_f32 v89, v88, v89, 0xbd5c1c4e
	s_delay_alu instid0(VALU_DEP_1) | instskip(NEXT) | instid1(VALU_DEP_1)
	v_fmaak_f32 v89, v88, v89, 0x3e088382
	v_fmaak_f32 v89, v88, v89, 0xbeaaaa99
	s_delay_alu instid0(VALU_DEP_1) | instskip(NEXT) | instid1(VALU_DEP_1)
	v_mul_f32_e64 v89, |v97|, v89
	v_fma_f32 v88, v88, v89, |v97|
	scratch_store_b32 off, v88, off offset:160 ; 4-byte Folded Spill
.LBB25_95:                              ;   in Loop: Header=BB25_87 Depth=2
	s_or_b32 exec_lo, exec_lo, s1
	v_cmp_ngt_f32_e64 s1, 0x3f200000, |v98|
                                        ; implicit-def: $vgpr88
                                        ; kill: killed $vgpr88
	s_delay_alu instid0(VALU_DEP_1) | instskip(NEXT) | instid1(SALU_CYCLE_1)
	s_and_saveexec_b32 s2, s1
	;; [unrolled: 50-line block ×3, first 2 shown]
	s_xor_b32 s1, exec_lo, s2
	s_cbranch_execz .LBB25_101
; %bb.100:                              ;   in Loop: Header=BB25_87 Depth=2
	v_add_f32_e64 v88, |v99|, |v99|
	s_delay_alu instid0(VALU_DEP_1) | instskip(SKIP_1) | instid1(VALU_DEP_2)
	v_mul_f32_e32 v89, 0x3fb8aa3b, v88
	v_cmp_ngt_f32_e32 vcc_lo, 0xc2ce8ed0, v88
	v_rndne_f32_e32 v90, v89
	v_fma_f32 v91, 0x3fb8aa3b, v88, -v89
	s_delay_alu instid0(VALU_DEP_2) | instskip(NEXT) | instid1(VALU_DEP_2)
	v_sub_f32_e32 v89, v89, v90
	v_fmac_f32_e32 v91, 0x32a5705f, v88
	v_cvt_i32_f32_e32 v90, v90
	s_delay_alu instid0(VALU_DEP_2) | instskip(NEXT) | instid1(VALU_DEP_1)
	v_add_f32_e32 v89, v89, v91
	v_exp_f32_e32 v89, v89
	s_waitcnt_depctr 0xfff
	v_ldexp_f32 v89, v89, v90
	s_delay_alu instid0(VALU_DEP_1) | instskip(SKIP_1) | instid1(VALU_DEP_2)
	v_cndmask_b32_e32 v89, 0, v89, vcc_lo
	v_cmp_nlt_f32_e32 vcc_lo, 0x42b17218, v88
	v_cndmask_b32_e32 v88, 0x7f800000, v89, vcc_lo
	s_delay_alu instid0(VALU_DEP_1) | instskip(NEXT) | instid1(VALU_DEP_1)
	v_add_f32_e32 v88, 1.0, v88
	v_rcp_f32_e32 v88, v88
	s_waitcnt_depctr 0xfff
	v_fma_f32 v88, v88, -2.0, 1.0
	scratch_store_b32 off, v88, off offset:224 ; 4-byte Folded Spill
.LBB25_101:                             ;   in Loop: Header=BB25_87 Depth=2
	s_and_not1_saveexec_b32 s1, s1
	s_cbranch_execz .LBB25_103
; %bb.102:                              ;   in Loop: Header=BB25_87 Depth=2
	v_mul_f32_e32 v88, v99, v99
	s_delay_alu instid0(VALU_DEP_1) | instskip(NEXT) | instid1(VALU_DEP_1)
	v_fmaak_f32 v89, s51, v88, 0x3ca908c9
	v_fmaak_f32 v89, v88, v89, 0xbd5c1c4e
	s_delay_alu instid0(VALU_DEP_1) | instskip(NEXT) | instid1(VALU_DEP_1)
	v_fmaak_f32 v89, v88, v89, 0x3e088382
	v_fmaak_f32 v89, v88, v89, 0xbeaaaa99
	s_delay_alu instid0(VALU_DEP_1) | instskip(NEXT) | instid1(VALU_DEP_1)
	v_mul_f32_e64 v89, |v99|, v89
	v_fma_f32 v88, v88, v89, |v99|
	scratch_store_b32 off, v88, off offset:224 ; 4-byte Folded Spill
.LBB25_103:                             ;   in Loop: Header=BB25_87 Depth=2
	s_or_b32 exec_lo, exec_lo, s1
	v_cmp_ngt_f32_e64 s1, 0x3f200000, |v100|
                                        ; implicit-def: $vgpr88
                                        ; kill: killed $vgpr88
	s_delay_alu instid0(VALU_DEP_1) | instskip(NEXT) | instid1(SALU_CYCLE_1)
	s_and_saveexec_b32 s2, s1
	s_xor_b32 s1, exec_lo, s2
	s_cbranch_execz .LBB25_105
; %bb.104:                              ;   in Loop: Header=BB25_87 Depth=2
	v_add_f32_e64 v88, |v100|, |v100|
	s_delay_alu instid0(VALU_DEP_1) | instskip(SKIP_1) | instid1(VALU_DEP_2)
	v_mul_f32_e32 v89, 0x3fb8aa3b, v88
	v_cmp_ngt_f32_e32 vcc_lo, 0xc2ce8ed0, v88
	v_rndne_f32_e32 v90, v89
	v_fma_f32 v91, 0x3fb8aa3b, v88, -v89
	s_delay_alu instid0(VALU_DEP_2) | instskip(NEXT) | instid1(VALU_DEP_2)
	v_sub_f32_e32 v89, v89, v90
	v_fmac_f32_e32 v91, 0x32a5705f, v88
	v_cvt_i32_f32_e32 v90, v90
	s_delay_alu instid0(VALU_DEP_2) | instskip(NEXT) | instid1(VALU_DEP_1)
	v_add_f32_e32 v89, v89, v91
	v_exp_f32_e32 v89, v89
	s_waitcnt_depctr 0xfff
	v_ldexp_f32 v89, v89, v90
	s_delay_alu instid0(VALU_DEP_1) | instskip(SKIP_1) | instid1(VALU_DEP_2)
	v_cndmask_b32_e32 v89, 0, v89, vcc_lo
	v_cmp_nlt_f32_e32 vcc_lo, 0x42b17218, v88
	v_cndmask_b32_e32 v88, 0x7f800000, v89, vcc_lo
	s_delay_alu instid0(VALU_DEP_1) | instskip(NEXT) | instid1(VALU_DEP_1)
	v_add_f32_e32 v88, 1.0, v88
	v_rcp_f32_e32 v88, v88
	s_waitcnt_depctr 0xfff
	v_fma_f32 v88, v88, -2.0, 1.0
	scratch_store_b32 off, v88, off offset:256 ; 4-byte Folded Spill
.LBB25_105:                             ;   in Loop: Header=BB25_87 Depth=2
	s_and_not1_saveexec_b32 s1, s1
	s_cbranch_execz .LBB25_107
; %bb.106:                              ;   in Loop: Header=BB25_87 Depth=2
	v_mul_f32_e32 v88, v100, v100
	s_delay_alu instid0(VALU_DEP_1) | instskip(NEXT) | instid1(VALU_DEP_1)
	v_fmaak_f32 v89, s51, v88, 0x3ca908c9
	v_fmaak_f32 v89, v88, v89, 0xbd5c1c4e
	s_delay_alu instid0(VALU_DEP_1) | instskip(NEXT) | instid1(VALU_DEP_1)
	v_fmaak_f32 v89, v88, v89, 0x3e088382
	v_fmaak_f32 v89, v88, v89, 0xbeaaaa99
	s_delay_alu instid0(VALU_DEP_1) | instskip(NEXT) | instid1(VALU_DEP_1)
	v_mul_f32_e64 v89, |v100|, v89
	v_fma_f32 v88, v88, v89, |v100|
	scratch_store_b32 off, v88, off offset:256 ; 4-byte Folded Spill
.LBB25_107:                             ;   in Loop: Header=BB25_87 Depth=2
	s_or_b32 exec_lo, exec_lo, s1
	v_cmp_ngt_f32_e64 s1, 0x3f200000, |v101|
                                        ; implicit-def: $vgpr248
	s_delay_alu instid0(VALU_DEP_1) | instskip(NEXT) | instid1(SALU_CYCLE_1)
	s_and_saveexec_b32 s2, s1
	s_xor_b32 s1, exec_lo, s2
	s_cbranch_execz .LBB25_109
; %bb.108:                              ;   in Loop: Header=BB25_87 Depth=2
	v_add_f32_e64 v88, |v101|, |v101|
	s_delay_alu instid0(VALU_DEP_1) | instskip(SKIP_1) | instid1(VALU_DEP_2)
	v_mul_f32_e32 v89, 0x3fb8aa3b, v88
	v_cmp_ngt_f32_e32 vcc_lo, 0xc2ce8ed0, v88
	v_rndne_f32_e32 v90, v89
	v_fma_f32 v91, 0x3fb8aa3b, v88, -v89
	s_delay_alu instid0(VALU_DEP_2) | instskip(NEXT) | instid1(VALU_DEP_2)
	v_sub_f32_e32 v89, v89, v90
	v_fmac_f32_e32 v91, 0x32a5705f, v88
	v_cvt_i32_f32_e32 v90, v90
	s_delay_alu instid0(VALU_DEP_2) | instskip(NEXT) | instid1(VALU_DEP_1)
	v_add_f32_e32 v89, v89, v91
	v_exp_f32_e32 v89, v89
	s_waitcnt_depctr 0xfff
	v_ldexp_f32 v89, v89, v90
	s_delay_alu instid0(VALU_DEP_1) | instskip(SKIP_1) | instid1(VALU_DEP_2)
	v_cndmask_b32_e32 v89, 0, v89, vcc_lo
	v_cmp_nlt_f32_e32 vcc_lo, 0x42b17218, v88
	v_cndmask_b32_e32 v88, 0x7f800000, v89, vcc_lo
	s_delay_alu instid0(VALU_DEP_1) | instskip(NEXT) | instid1(VALU_DEP_1)
	v_add_f32_e32 v88, 1.0, v88
	v_rcp_f32_e32 v88, v88
	s_waitcnt_depctr 0xfff
	v_fma_f32 v248, v88, -2.0, 1.0
.LBB25_109:                             ;   in Loop: Header=BB25_87 Depth=2
	s_and_not1_saveexec_b32 s1, s1
; %bb.110:                              ;   in Loop: Header=BB25_87 Depth=2
	v_mul_f32_e32 v88, v101, v101
	s_delay_alu instid0(VALU_DEP_1) | instskip(NEXT) | instid1(VALU_DEP_1)
	v_fmaak_f32 v89, s51, v88, 0x3ca908c9
	v_fmaak_f32 v89, v88, v89, 0xbd5c1c4e
	s_delay_alu instid0(VALU_DEP_1) | instskip(NEXT) | instid1(VALU_DEP_1)
	v_fmaak_f32 v89, v88, v89, 0x3e088382
	v_fmaak_f32 v89, v88, v89, 0xbeaaaa99
	s_delay_alu instid0(VALU_DEP_1) | instskip(NEXT) | instid1(VALU_DEP_1)
	v_mul_f32_e64 v89, |v101|, v89
	v_fma_f32 v248, v88, v89, |v101|
; %bb.111:                              ;   in Loop: Header=BB25_87 Depth=2
	s_or_b32 exec_lo, exec_lo, s1
	v_cmp_ngt_f32_e64 s1, 0x3f200000, |v102|
                                        ; implicit-def: $vgpr249
	s_delay_alu instid0(VALU_DEP_1) | instskip(NEXT) | instid1(SALU_CYCLE_1)
	s_and_saveexec_b32 s2, s1
	s_xor_b32 s1, exec_lo, s2
	s_cbranch_execz .LBB25_113
; %bb.112:                              ;   in Loop: Header=BB25_87 Depth=2
	v_add_f32_e64 v88, |v102|, |v102|
	s_delay_alu instid0(VALU_DEP_1) | instskip(SKIP_1) | instid1(VALU_DEP_2)
	v_mul_f32_e32 v89, 0x3fb8aa3b, v88
	v_cmp_ngt_f32_e32 vcc_lo, 0xc2ce8ed0, v88
	v_rndne_f32_e32 v90, v89
	v_fma_f32 v91, 0x3fb8aa3b, v88, -v89
	s_delay_alu instid0(VALU_DEP_2) | instskip(NEXT) | instid1(VALU_DEP_2)
	v_sub_f32_e32 v89, v89, v90
	v_fmac_f32_e32 v91, 0x32a5705f, v88
	v_cvt_i32_f32_e32 v90, v90
	s_delay_alu instid0(VALU_DEP_2) | instskip(NEXT) | instid1(VALU_DEP_1)
	v_add_f32_e32 v89, v89, v91
	v_exp_f32_e32 v89, v89
	s_waitcnt_depctr 0xfff
	v_ldexp_f32 v89, v89, v90
	s_delay_alu instid0(VALU_DEP_1) | instskip(SKIP_1) | instid1(VALU_DEP_2)
	v_cndmask_b32_e32 v89, 0, v89, vcc_lo
	v_cmp_nlt_f32_e32 vcc_lo, 0x42b17218, v88
	v_cndmask_b32_e32 v88, 0x7f800000, v89, vcc_lo
	s_delay_alu instid0(VALU_DEP_1) | instskip(NEXT) | instid1(VALU_DEP_1)
	v_add_f32_e32 v88, 1.0, v88
	v_rcp_f32_e32 v88, v88
	s_waitcnt_depctr 0xfff
	v_fma_f32 v249, v88, -2.0, 1.0
.LBB25_113:                             ;   in Loop: Header=BB25_87 Depth=2
	s_and_not1_saveexec_b32 s1, s1
; %bb.114:                              ;   in Loop: Header=BB25_87 Depth=2
	v_mul_f32_e32 v88, v102, v102
	s_delay_alu instid0(VALU_DEP_1) | instskip(NEXT) | instid1(VALU_DEP_1)
	v_fmaak_f32 v89, s51, v88, 0x3ca908c9
	v_fmaak_f32 v89, v88, v89, 0xbd5c1c4e
	s_delay_alu instid0(VALU_DEP_1) | instskip(NEXT) | instid1(VALU_DEP_1)
	v_fmaak_f32 v89, v88, v89, 0x3e088382
	v_fmaak_f32 v89, v88, v89, 0xbeaaaa99
	s_delay_alu instid0(VALU_DEP_1) | instskip(NEXT) | instid1(VALU_DEP_1)
	v_mul_f32_e64 v89, |v102|, v89
	v_fma_f32 v249, v88, v89, |v102|
; %bb.115:                              ;   in Loop: Header=BB25_87 Depth=2
	s_or_b32 exec_lo, exec_lo, s1
	v_cmp_ngt_f32_e64 s1, 0x3f200000, |v103|
                                        ; implicit-def: $vgpr250
	s_delay_alu instid0(VALU_DEP_1) | instskip(NEXT) | instid1(SALU_CYCLE_1)
	s_and_saveexec_b32 s2, s1
	s_xor_b32 s1, exec_lo, s2
	s_cbranch_execz .LBB25_117
; %bb.116:                              ;   in Loop: Header=BB25_87 Depth=2
	v_add_f32_e64 v88, |v103|, |v103|
	s_delay_alu instid0(VALU_DEP_1) | instskip(SKIP_1) | instid1(VALU_DEP_2)
	v_mul_f32_e32 v89, 0x3fb8aa3b, v88
	v_cmp_ngt_f32_e32 vcc_lo, 0xc2ce8ed0, v88
	v_rndne_f32_e32 v90, v89
	v_fma_f32 v91, 0x3fb8aa3b, v88, -v89
	s_delay_alu instid0(VALU_DEP_2) | instskip(NEXT) | instid1(VALU_DEP_2)
	v_sub_f32_e32 v89, v89, v90
	v_fmac_f32_e32 v91, 0x32a5705f, v88
	v_cvt_i32_f32_e32 v90, v90
	s_delay_alu instid0(VALU_DEP_2) | instskip(NEXT) | instid1(VALU_DEP_1)
	v_add_f32_e32 v89, v89, v91
	v_exp_f32_e32 v89, v89
	s_waitcnt_depctr 0xfff
	v_ldexp_f32 v89, v89, v90
	s_delay_alu instid0(VALU_DEP_1) | instskip(SKIP_1) | instid1(VALU_DEP_2)
	v_cndmask_b32_e32 v89, 0, v89, vcc_lo
	v_cmp_nlt_f32_e32 vcc_lo, 0x42b17218, v88
	v_cndmask_b32_e32 v88, 0x7f800000, v89, vcc_lo
	s_delay_alu instid0(VALU_DEP_1) | instskip(NEXT) | instid1(VALU_DEP_1)
	v_add_f32_e32 v88, 1.0, v88
	v_rcp_f32_e32 v88, v88
	s_waitcnt_depctr 0xfff
	v_fma_f32 v250, v88, -2.0, 1.0
.LBB25_117:                             ;   in Loop: Header=BB25_87 Depth=2
	s_and_not1_saveexec_b32 s1, s1
; %bb.118:                              ;   in Loop: Header=BB25_87 Depth=2
	v_mul_f32_e32 v88, v103, v103
	s_delay_alu instid0(VALU_DEP_1) | instskip(NEXT) | instid1(VALU_DEP_1)
	v_fmaak_f32 v89, s51, v88, 0x3ca908c9
	v_fmaak_f32 v89, v88, v89, 0xbd5c1c4e
	s_delay_alu instid0(VALU_DEP_1) | instskip(NEXT) | instid1(VALU_DEP_1)
	v_fmaak_f32 v89, v88, v89, 0x3e088382
	v_fmaak_f32 v89, v88, v89, 0xbeaaaa99
	s_delay_alu instid0(VALU_DEP_1) | instskip(NEXT) | instid1(VALU_DEP_1)
	v_mul_f32_e64 v89, |v103|, v89
	v_fma_f32 v250, v88, v89, |v103|
; %bb.119:                              ;   in Loop: Header=BB25_87 Depth=2
	s_or_b32 exec_lo, exec_lo, s1
	s_clause 0x1
	scratch_load_b128 v[120:123], off, off offset:32
	scratch_load_b128 v[124:127], off, off offset:48
	v_dual_mov_b32 v95, s43 :: v_dual_mov_b32 v94, s42
	v_dual_mov_b32 v93, s41 :: v_dual_mov_b32 v92, s40
	;; [unrolled: 1-line block ×4, first 2 shown]
	s_waitcnt vmcnt(0)
	s_delay_alu instid0(VALU_DEP_1) | instskip(NEXT) | instid1(VALU_DEP_1)
	v_wmma_f32_16x16x16_f16 v[104:111], v[80:87], v[120:127], v[88:95]
	v_wmma_f32_16x16x16_f16 v[104:111], v[72:79], v[112:119], v[104:111]
	s_delay_alu instid0(VALU_DEP_1) | instskip(NEXT) | instid1(VALU_DEP_1)
	v_wmma_f32_16x16x16_f16 v[104:111], v[64:71], v[128:135], v[104:111]
	v_wmma_f32_16x16x16_f16 v[104:111], v[56:63], v[136:143], v[104:111]
	;; [unrolled: 3-line block ×3, first 2 shown]
	s_clause 0x1
	scratch_load_b128 v[40:43], off, off offset:64
	scratch_load_b128 v[44:47], off, off offset:80
	s_waitcnt vmcnt(0)
	v_wmma_f32_16x16x16_f16 v[104:111], v[32:39], v[40:47], v[104:111]
	s_clause 0x1
	scratch_load_b128 v[32:35], off, off offset:96
	scratch_load_b128 v[36:39], off, off offset:112
                                        ; implicit-def: $vgpr46
	s_waitcnt vmcnt(0)
	v_wmma_f32_16x16x16_f16 v[104:111], v[208:215], v[32:39], v[104:111]
	s_delay_alu instid0(VALU_DEP_1) | instskip(NEXT) | instid1(VALU_DEP_1)
	v_cmp_ngt_f32_e64 s1, 0x3f200000, |v104|
	s_and_saveexec_b32 s2, s1
	s_delay_alu instid0(SALU_CYCLE_1)
	s_xor_b32 s1, exec_lo, s2
	s_cbranch_execz .LBB25_121
; %bb.120:                              ;   in Loop: Header=BB25_87 Depth=2
	v_add_f32_e64 v32, |v104|, |v104|
	s_delay_alu instid0(VALU_DEP_1) | instskip(SKIP_1) | instid1(VALU_DEP_2)
	v_mul_f32_e32 v33, 0x3fb8aa3b, v32
	v_cmp_ngt_f32_e32 vcc_lo, 0xc2ce8ed0, v32
	v_rndne_f32_e32 v34, v33
	v_fma_f32 v35, 0x3fb8aa3b, v32, -v33
	s_delay_alu instid0(VALU_DEP_2) | instskip(NEXT) | instid1(VALU_DEP_2)
	v_sub_f32_e32 v33, v33, v34
	v_fmac_f32_e32 v35, 0x32a5705f, v32
	v_cvt_i32_f32_e32 v34, v34
	s_delay_alu instid0(VALU_DEP_2) | instskip(NEXT) | instid1(VALU_DEP_1)
	v_add_f32_e32 v33, v33, v35
	v_exp_f32_e32 v33, v33
	s_waitcnt_depctr 0xfff
	v_ldexp_f32 v33, v33, v34
	s_delay_alu instid0(VALU_DEP_1) | instskip(SKIP_1) | instid1(VALU_DEP_2)
	v_cndmask_b32_e32 v33, 0, v33, vcc_lo
	v_cmp_nlt_f32_e32 vcc_lo, 0x42b17218, v32
	v_cndmask_b32_e32 v32, 0x7f800000, v33, vcc_lo
	s_delay_alu instid0(VALU_DEP_1) | instskip(NEXT) | instid1(VALU_DEP_1)
	v_add_f32_e32 v32, 1.0, v32
	v_rcp_f32_e32 v32, v32
	s_waitcnt_depctr 0xfff
	v_fma_f32 v46, v32, -2.0, 1.0
.LBB25_121:                             ;   in Loop: Header=BB25_87 Depth=2
	s_and_not1_saveexec_b32 s1, s1
; %bb.122:                              ;   in Loop: Header=BB25_87 Depth=2
	v_mul_f32_e32 v32, v104, v104
	s_delay_alu instid0(VALU_DEP_1) | instskip(NEXT) | instid1(VALU_DEP_1)
	v_fmaak_f32 v33, s51, v32, 0x3ca908c9
	v_fmaak_f32 v33, v32, v33, 0xbd5c1c4e
	s_delay_alu instid0(VALU_DEP_1) | instskip(NEXT) | instid1(VALU_DEP_1)
	v_fmaak_f32 v33, v32, v33, 0x3e088382
	v_fmaak_f32 v33, v32, v33, 0xbeaaaa99
	s_delay_alu instid0(VALU_DEP_1) | instskip(NEXT) | instid1(VALU_DEP_1)
	v_mul_f32_e64 v33, |v104|, v33
	v_fma_f32 v46, v32, v33, |v104|
; %bb.123:                              ;   in Loop: Header=BB25_87 Depth=2
	s_or_b32 exec_lo, exec_lo, s1
	v_cmp_ngt_f32_e64 s1, 0x3f200000, |v105|
                                        ; implicit-def: $vgpr47
	s_delay_alu instid0(VALU_DEP_1) | instskip(NEXT) | instid1(SALU_CYCLE_1)
	s_and_saveexec_b32 s2, s1
	s_xor_b32 s1, exec_lo, s2
	s_cbranch_execz .LBB25_125
; %bb.124:                              ;   in Loop: Header=BB25_87 Depth=2
	v_add_f32_e64 v32, |v105|, |v105|
	s_delay_alu instid0(VALU_DEP_1) | instskip(SKIP_1) | instid1(VALU_DEP_2)
	v_mul_f32_e32 v33, 0x3fb8aa3b, v32
	v_cmp_ngt_f32_e32 vcc_lo, 0xc2ce8ed0, v32
	v_rndne_f32_e32 v34, v33
	v_fma_f32 v35, 0x3fb8aa3b, v32, -v33
	s_delay_alu instid0(VALU_DEP_2) | instskip(NEXT) | instid1(VALU_DEP_2)
	v_sub_f32_e32 v33, v33, v34
	v_fmac_f32_e32 v35, 0x32a5705f, v32
	v_cvt_i32_f32_e32 v34, v34
	s_delay_alu instid0(VALU_DEP_2) | instskip(NEXT) | instid1(VALU_DEP_1)
	v_add_f32_e32 v33, v33, v35
	v_exp_f32_e32 v33, v33
	s_waitcnt_depctr 0xfff
	v_ldexp_f32 v33, v33, v34
	s_delay_alu instid0(VALU_DEP_1) | instskip(SKIP_1) | instid1(VALU_DEP_2)
	v_cndmask_b32_e32 v33, 0, v33, vcc_lo
	v_cmp_nlt_f32_e32 vcc_lo, 0x42b17218, v32
	v_cndmask_b32_e32 v32, 0x7f800000, v33, vcc_lo
	s_delay_alu instid0(VALU_DEP_1) | instskip(NEXT) | instid1(VALU_DEP_1)
	v_add_f32_e32 v32, 1.0, v32
	v_rcp_f32_e32 v32, v32
	s_waitcnt_depctr 0xfff
	v_fma_f32 v47, v32, -2.0, 1.0
.LBB25_125:                             ;   in Loop: Header=BB25_87 Depth=2
	s_and_not1_saveexec_b32 s1, s1
; %bb.126:                              ;   in Loop: Header=BB25_87 Depth=2
	v_mul_f32_e32 v32, v105, v105
	s_delay_alu instid0(VALU_DEP_1) | instskip(NEXT) | instid1(VALU_DEP_1)
	v_fmaak_f32 v33, s51, v32, 0x3ca908c9
	v_fmaak_f32 v33, v32, v33, 0xbd5c1c4e
	s_delay_alu instid0(VALU_DEP_1) | instskip(NEXT) | instid1(VALU_DEP_1)
	v_fmaak_f32 v33, v32, v33, 0x3e088382
	v_fmaak_f32 v33, v32, v33, 0xbeaaaa99
	s_delay_alu instid0(VALU_DEP_1) | instskip(NEXT) | instid1(VALU_DEP_1)
	v_mul_f32_e64 v33, |v105|, v33
	v_fma_f32 v47, v32, v33, |v105|
; %bb.127:                              ;   in Loop: Header=BB25_87 Depth=2
	s_or_b32 exec_lo, exec_lo, s1
	v_cmp_ngt_f32_e64 s1, 0x3f200000, |v106|
                                        ; implicit-def: $vgpr50
	s_delay_alu instid0(VALU_DEP_1) | instskip(NEXT) | instid1(SALU_CYCLE_1)
	s_and_saveexec_b32 s2, s1
	s_xor_b32 s1, exec_lo, s2
	s_cbranch_execz .LBB25_129
; %bb.128:                              ;   in Loop: Header=BB25_87 Depth=2
	v_add_f32_e64 v32, |v106|, |v106|
	s_delay_alu instid0(VALU_DEP_1) | instskip(SKIP_1) | instid1(VALU_DEP_2)
	v_mul_f32_e32 v33, 0x3fb8aa3b, v32
	v_cmp_ngt_f32_e32 vcc_lo, 0xc2ce8ed0, v32
	v_rndne_f32_e32 v34, v33
	v_fma_f32 v35, 0x3fb8aa3b, v32, -v33
	s_delay_alu instid0(VALU_DEP_2) | instskip(NEXT) | instid1(VALU_DEP_2)
	v_sub_f32_e32 v33, v33, v34
	v_fmac_f32_e32 v35, 0x32a5705f, v32
	v_cvt_i32_f32_e32 v34, v34
	s_delay_alu instid0(VALU_DEP_2) | instskip(NEXT) | instid1(VALU_DEP_1)
	v_add_f32_e32 v33, v33, v35
	v_exp_f32_e32 v33, v33
	s_waitcnt_depctr 0xfff
	v_ldexp_f32 v33, v33, v34
	s_delay_alu instid0(VALU_DEP_1) | instskip(SKIP_1) | instid1(VALU_DEP_2)
	v_cndmask_b32_e32 v33, 0, v33, vcc_lo
	v_cmp_nlt_f32_e32 vcc_lo, 0x42b17218, v32
	v_cndmask_b32_e32 v32, 0x7f800000, v33, vcc_lo
	s_delay_alu instid0(VALU_DEP_1) | instskip(NEXT) | instid1(VALU_DEP_1)
	v_add_f32_e32 v32, 1.0, v32
	v_rcp_f32_e32 v32, v32
	s_waitcnt_depctr 0xfff
	v_fma_f32 v50, v32, -2.0, 1.0
.LBB25_129:                             ;   in Loop: Header=BB25_87 Depth=2
	s_and_not1_saveexec_b32 s1, s1
; %bb.130:                              ;   in Loop: Header=BB25_87 Depth=2
	v_mul_f32_e32 v32, v106, v106
	s_delay_alu instid0(VALU_DEP_1) | instskip(NEXT) | instid1(VALU_DEP_1)
	v_fmaak_f32 v33, s51, v32, 0x3ca908c9
	v_fmaak_f32 v33, v32, v33, 0xbd5c1c4e
	s_delay_alu instid0(VALU_DEP_1) | instskip(NEXT) | instid1(VALU_DEP_1)
	v_fmaak_f32 v33, v32, v33, 0x3e088382
	v_fmaak_f32 v33, v32, v33, 0xbeaaaa99
	s_delay_alu instid0(VALU_DEP_1) | instskip(NEXT) | instid1(VALU_DEP_1)
	v_mul_f32_e64 v33, |v106|, v33
	v_fma_f32 v50, v32, v33, |v106|
; %bb.131:                              ;   in Loop: Header=BB25_87 Depth=2
	s_or_b32 exec_lo, exec_lo, s1
	v_cmp_ngt_f32_e64 s1, 0x3f200000, |v107|
                                        ; implicit-def: $vgpr51
	s_delay_alu instid0(VALU_DEP_1) | instskip(NEXT) | instid1(SALU_CYCLE_1)
	s_and_saveexec_b32 s2, s1
	s_xor_b32 s1, exec_lo, s2
	s_cbranch_execz .LBB25_133
; %bb.132:                              ;   in Loop: Header=BB25_87 Depth=2
	v_add_f32_e64 v32, |v107|, |v107|
	s_delay_alu instid0(VALU_DEP_1) | instskip(SKIP_1) | instid1(VALU_DEP_2)
	v_mul_f32_e32 v33, 0x3fb8aa3b, v32
	v_cmp_ngt_f32_e32 vcc_lo, 0xc2ce8ed0, v32
	v_rndne_f32_e32 v34, v33
	v_fma_f32 v35, 0x3fb8aa3b, v32, -v33
	s_delay_alu instid0(VALU_DEP_2) | instskip(NEXT) | instid1(VALU_DEP_2)
	v_sub_f32_e32 v33, v33, v34
	v_fmac_f32_e32 v35, 0x32a5705f, v32
	v_cvt_i32_f32_e32 v34, v34
	s_delay_alu instid0(VALU_DEP_2) | instskip(NEXT) | instid1(VALU_DEP_1)
	v_add_f32_e32 v33, v33, v35
	v_exp_f32_e32 v33, v33
	s_waitcnt_depctr 0xfff
	v_ldexp_f32 v33, v33, v34
	s_delay_alu instid0(VALU_DEP_1) | instskip(SKIP_1) | instid1(VALU_DEP_2)
	v_cndmask_b32_e32 v33, 0, v33, vcc_lo
	v_cmp_nlt_f32_e32 vcc_lo, 0x42b17218, v32
	v_cndmask_b32_e32 v32, 0x7f800000, v33, vcc_lo
	s_delay_alu instid0(VALU_DEP_1) | instskip(NEXT) | instid1(VALU_DEP_1)
	v_add_f32_e32 v32, 1.0, v32
	v_rcp_f32_e32 v32, v32
	s_waitcnt_depctr 0xfff
	v_fma_f32 v51, v32, -2.0, 1.0
.LBB25_133:                             ;   in Loop: Header=BB25_87 Depth=2
	s_and_not1_saveexec_b32 s1, s1
; %bb.134:                              ;   in Loop: Header=BB25_87 Depth=2
	v_mul_f32_e32 v32, v107, v107
	s_delay_alu instid0(VALU_DEP_1) | instskip(NEXT) | instid1(VALU_DEP_1)
	v_fmaak_f32 v33, s51, v32, 0x3ca908c9
	v_fmaak_f32 v33, v32, v33, 0xbd5c1c4e
	s_delay_alu instid0(VALU_DEP_1) | instskip(NEXT) | instid1(VALU_DEP_1)
	v_fmaak_f32 v33, v32, v33, 0x3e088382
	v_fmaak_f32 v33, v32, v33, 0xbeaaaa99
	s_delay_alu instid0(VALU_DEP_1) | instskip(NEXT) | instid1(VALU_DEP_1)
	v_mul_f32_e64 v33, |v107|, v33
	v_fma_f32 v51, v32, v33, |v107|
; %bb.135:                              ;   in Loop: Header=BB25_87 Depth=2
	s_or_b32 exec_lo, exec_lo, s1
	v_cmp_ngt_f32_e64 s1, 0x3f200000, |v108|
                                        ; implicit-def: $vgpr53
	s_delay_alu instid0(VALU_DEP_1) | instskip(NEXT) | instid1(SALU_CYCLE_1)
	s_and_saveexec_b32 s2, s1
	s_xor_b32 s1, exec_lo, s2
	s_cbranch_execz .LBB25_137
; %bb.136:                              ;   in Loop: Header=BB25_87 Depth=2
	v_add_f32_e64 v32, |v108|, |v108|
	s_delay_alu instid0(VALU_DEP_1) | instskip(SKIP_1) | instid1(VALU_DEP_2)
	v_mul_f32_e32 v33, 0x3fb8aa3b, v32
	v_cmp_ngt_f32_e32 vcc_lo, 0xc2ce8ed0, v32
	v_rndne_f32_e32 v34, v33
	v_fma_f32 v35, 0x3fb8aa3b, v32, -v33
	s_delay_alu instid0(VALU_DEP_2) | instskip(NEXT) | instid1(VALU_DEP_2)
	v_sub_f32_e32 v33, v33, v34
	v_fmac_f32_e32 v35, 0x32a5705f, v32
	v_cvt_i32_f32_e32 v34, v34
	s_delay_alu instid0(VALU_DEP_2) | instskip(NEXT) | instid1(VALU_DEP_1)
	v_add_f32_e32 v33, v33, v35
	v_exp_f32_e32 v33, v33
	s_waitcnt_depctr 0xfff
	v_ldexp_f32 v33, v33, v34
	s_delay_alu instid0(VALU_DEP_1) | instskip(SKIP_1) | instid1(VALU_DEP_2)
	v_cndmask_b32_e32 v33, 0, v33, vcc_lo
	v_cmp_nlt_f32_e32 vcc_lo, 0x42b17218, v32
	v_cndmask_b32_e32 v32, 0x7f800000, v33, vcc_lo
	s_delay_alu instid0(VALU_DEP_1) | instskip(NEXT) | instid1(VALU_DEP_1)
	v_add_f32_e32 v32, 1.0, v32
	v_rcp_f32_e32 v32, v32
	s_waitcnt_depctr 0xfff
	v_fma_f32 v53, v32, -2.0, 1.0
.LBB25_137:                             ;   in Loop: Header=BB25_87 Depth=2
	s_and_not1_saveexec_b32 s1, s1
; %bb.138:                              ;   in Loop: Header=BB25_87 Depth=2
	v_mul_f32_e32 v32, v108, v108
	s_delay_alu instid0(VALU_DEP_1) | instskip(NEXT) | instid1(VALU_DEP_1)
	v_fmaak_f32 v33, s51, v32, 0x3ca908c9
	v_fmaak_f32 v33, v32, v33, 0xbd5c1c4e
	s_delay_alu instid0(VALU_DEP_1) | instskip(NEXT) | instid1(VALU_DEP_1)
	v_fmaak_f32 v33, v32, v33, 0x3e088382
	v_fmaak_f32 v33, v32, v33, 0xbeaaaa99
	s_delay_alu instid0(VALU_DEP_1) | instskip(NEXT) | instid1(VALU_DEP_1)
	v_mul_f32_e64 v33, |v108|, v33
	v_fma_f32 v53, v32, v33, |v108|
; %bb.139:                              ;   in Loop: Header=BB25_87 Depth=2
	s_or_b32 exec_lo, exec_lo, s1
	v_cmp_ngt_f32_e64 s1, 0x3f200000, |v109|
                                        ; implicit-def: $vgpr55
	s_delay_alu instid0(VALU_DEP_1) | instskip(NEXT) | instid1(SALU_CYCLE_1)
	s_and_saveexec_b32 s2, s1
	s_xor_b32 s1, exec_lo, s2
	s_cbranch_execz .LBB25_141
; %bb.140:                              ;   in Loop: Header=BB25_87 Depth=2
	v_add_f32_e64 v32, |v109|, |v109|
	s_delay_alu instid0(VALU_DEP_1) | instskip(SKIP_1) | instid1(VALU_DEP_2)
	v_mul_f32_e32 v33, 0x3fb8aa3b, v32
	v_cmp_ngt_f32_e32 vcc_lo, 0xc2ce8ed0, v32
	v_rndne_f32_e32 v34, v33
	v_fma_f32 v35, 0x3fb8aa3b, v32, -v33
	s_delay_alu instid0(VALU_DEP_2) | instskip(NEXT) | instid1(VALU_DEP_2)
	v_sub_f32_e32 v33, v33, v34
	v_fmac_f32_e32 v35, 0x32a5705f, v32
	v_cvt_i32_f32_e32 v34, v34
	s_delay_alu instid0(VALU_DEP_2) | instskip(NEXT) | instid1(VALU_DEP_1)
	v_add_f32_e32 v33, v33, v35
	v_exp_f32_e32 v33, v33
	s_waitcnt_depctr 0xfff
	v_ldexp_f32 v33, v33, v34
	s_delay_alu instid0(VALU_DEP_1) | instskip(SKIP_1) | instid1(VALU_DEP_2)
	v_cndmask_b32_e32 v33, 0, v33, vcc_lo
	v_cmp_nlt_f32_e32 vcc_lo, 0x42b17218, v32
	v_cndmask_b32_e32 v32, 0x7f800000, v33, vcc_lo
	s_delay_alu instid0(VALU_DEP_1) | instskip(NEXT) | instid1(VALU_DEP_1)
	v_add_f32_e32 v32, 1.0, v32
	v_rcp_f32_e32 v32, v32
	s_waitcnt_depctr 0xfff
	v_fma_f32 v55, v32, -2.0, 1.0
.LBB25_141:                             ;   in Loop: Header=BB25_87 Depth=2
	s_and_not1_saveexec_b32 s1, s1
; %bb.142:                              ;   in Loop: Header=BB25_87 Depth=2
	v_mul_f32_e32 v32, v109, v109
	s_delay_alu instid0(VALU_DEP_1) | instskip(NEXT) | instid1(VALU_DEP_1)
	v_fmaak_f32 v33, s51, v32, 0x3ca908c9
	v_fmaak_f32 v33, v32, v33, 0xbd5c1c4e
	s_delay_alu instid0(VALU_DEP_1) | instskip(NEXT) | instid1(VALU_DEP_1)
	v_fmaak_f32 v33, v32, v33, 0x3e088382
	v_fmaak_f32 v33, v32, v33, 0xbeaaaa99
	s_delay_alu instid0(VALU_DEP_1) | instskip(NEXT) | instid1(VALU_DEP_1)
	v_mul_f32_e64 v33, |v109|, v33
	v_fma_f32 v55, v32, v33, |v109|
; %bb.143:                              ;   in Loop: Header=BB25_87 Depth=2
	s_or_b32 exec_lo, exec_lo, s1
	v_cmp_ngt_f32_e64 s1, 0x3f200000, |v110|
                                        ; implicit-def: $vgpr60
	s_delay_alu instid0(VALU_DEP_1) | instskip(NEXT) | instid1(SALU_CYCLE_1)
	s_and_saveexec_b32 s2, s1
	s_xor_b32 s1, exec_lo, s2
	s_cbranch_execz .LBB25_145
; %bb.144:                              ;   in Loop: Header=BB25_87 Depth=2
	v_add_f32_e64 v32, |v110|, |v110|
	s_delay_alu instid0(VALU_DEP_1) | instskip(SKIP_1) | instid1(VALU_DEP_2)
	v_mul_f32_e32 v33, 0x3fb8aa3b, v32
	v_cmp_ngt_f32_e32 vcc_lo, 0xc2ce8ed0, v32
	v_rndne_f32_e32 v34, v33
	v_fma_f32 v35, 0x3fb8aa3b, v32, -v33
	s_delay_alu instid0(VALU_DEP_2) | instskip(NEXT) | instid1(VALU_DEP_2)
	v_sub_f32_e32 v33, v33, v34
	v_fmac_f32_e32 v35, 0x32a5705f, v32
	v_cvt_i32_f32_e32 v34, v34
	s_delay_alu instid0(VALU_DEP_2) | instskip(NEXT) | instid1(VALU_DEP_1)
	v_add_f32_e32 v33, v33, v35
	v_exp_f32_e32 v33, v33
	s_waitcnt_depctr 0xfff
	v_ldexp_f32 v33, v33, v34
	s_delay_alu instid0(VALU_DEP_1) | instskip(SKIP_1) | instid1(VALU_DEP_2)
	v_cndmask_b32_e32 v33, 0, v33, vcc_lo
	v_cmp_nlt_f32_e32 vcc_lo, 0x42b17218, v32
	v_cndmask_b32_e32 v32, 0x7f800000, v33, vcc_lo
	s_delay_alu instid0(VALU_DEP_1) | instskip(NEXT) | instid1(VALU_DEP_1)
	v_add_f32_e32 v32, 1.0, v32
	v_rcp_f32_e32 v32, v32
	s_waitcnt_depctr 0xfff
	v_fma_f32 v60, v32, -2.0, 1.0
.LBB25_145:                             ;   in Loop: Header=BB25_87 Depth=2
	s_and_not1_saveexec_b32 s1, s1
; %bb.146:                              ;   in Loop: Header=BB25_87 Depth=2
	v_mul_f32_e32 v32, v110, v110
	s_delay_alu instid0(VALU_DEP_1) | instskip(NEXT) | instid1(VALU_DEP_1)
	v_fmaak_f32 v33, s51, v32, 0x3ca908c9
	v_fmaak_f32 v33, v32, v33, 0xbd5c1c4e
	s_delay_alu instid0(VALU_DEP_1) | instskip(NEXT) | instid1(VALU_DEP_1)
	v_fmaak_f32 v33, v32, v33, 0x3e088382
	v_fmaak_f32 v33, v32, v33, 0xbeaaaa99
	s_delay_alu instid0(VALU_DEP_1) | instskip(NEXT) | instid1(VALU_DEP_1)
	v_mul_f32_e64 v33, |v110|, v33
	v_fma_f32 v60, v32, v33, |v110|
; %bb.147:                              ;   in Loop: Header=BB25_87 Depth=2
	s_or_b32 exec_lo, exec_lo, s1
	v_cmp_ngt_f32_e64 s1, 0x3f200000, |v111|
                                        ; implicit-def: $vgpr52
	s_delay_alu instid0(VALU_DEP_1) | instskip(NEXT) | instid1(SALU_CYCLE_1)
	s_and_saveexec_b32 s2, s1
	s_xor_b32 s1, exec_lo, s2
	s_cbranch_execz .LBB25_149
; %bb.148:                              ;   in Loop: Header=BB25_87 Depth=2
	v_add_f32_e64 v32, |v111|, |v111|
	s_delay_alu instid0(VALU_DEP_1) | instskip(SKIP_1) | instid1(VALU_DEP_2)
	v_mul_f32_e32 v33, 0x3fb8aa3b, v32
	v_cmp_ngt_f32_e32 vcc_lo, 0xc2ce8ed0, v32
	v_rndne_f32_e32 v34, v33
	v_fma_f32 v35, 0x3fb8aa3b, v32, -v33
	s_delay_alu instid0(VALU_DEP_2) | instskip(NEXT) | instid1(VALU_DEP_2)
	v_sub_f32_e32 v33, v33, v34
	v_fmac_f32_e32 v35, 0x32a5705f, v32
	v_cvt_i32_f32_e32 v34, v34
	s_delay_alu instid0(VALU_DEP_2) | instskip(NEXT) | instid1(VALU_DEP_1)
	v_add_f32_e32 v33, v33, v35
	v_exp_f32_e32 v33, v33
	s_waitcnt_depctr 0xfff
	v_ldexp_f32 v33, v33, v34
	s_delay_alu instid0(VALU_DEP_1) | instskip(SKIP_1) | instid1(VALU_DEP_2)
	v_cndmask_b32_e32 v33, 0, v33, vcc_lo
	v_cmp_nlt_f32_e32 vcc_lo, 0x42b17218, v32
	v_cndmask_b32_e32 v32, 0x7f800000, v33, vcc_lo
	s_delay_alu instid0(VALU_DEP_1) | instskip(NEXT) | instid1(VALU_DEP_1)
	v_add_f32_e32 v32, 1.0, v32
	v_rcp_f32_e32 v32, v32
	s_waitcnt_depctr 0xfff
	v_fma_f32 v52, v32, -2.0, 1.0
.LBB25_149:                             ;   in Loop: Header=BB25_87 Depth=2
	s_and_not1_saveexec_b32 s1, s1
; %bb.150:                              ;   in Loop: Header=BB25_87 Depth=2
	v_mul_f32_e32 v32, v111, v111
	s_delay_alu instid0(VALU_DEP_1) | instskip(NEXT) | instid1(VALU_DEP_1)
	v_fmaak_f32 v33, s51, v32, 0x3ca908c9
	v_fmaak_f32 v33, v32, v33, 0xbd5c1c4e
	s_delay_alu instid0(VALU_DEP_1) | instskip(NEXT) | instid1(VALU_DEP_1)
	v_fmaak_f32 v33, v32, v33, 0x3e088382
	v_fmaak_f32 v33, v32, v33, 0xbeaaaa99
	s_delay_alu instid0(VALU_DEP_1) | instskip(NEXT) | instid1(VALU_DEP_1)
	v_mul_f32_e64 v33, |v111|, v33
	v_fma_f32 v52, v32, v33, |v111|
; %bb.151:                              ;   in Loop: Header=BB25_87 Depth=2
	s_or_b32 exec_lo, exec_lo, s1
	s_clause 0x1
	scratch_load_b128 v[61:64], off, off offset:32
	scratch_load_b128 v[65:68], off, off offset:48
	v_dual_mov_b32 v32, s36 :: v_dual_mov_b32 v33, s37
	v_dual_mov_b32 v34, s38 :: v_dual_mov_b32 v35, s39
	;; [unrolled: 1-line block ×4, first 2 shown]
                                        ; implicit-def: $vgpr41
	s_waitcnt vmcnt(0)
	s_delay_alu instid0(VALU_DEP_1)
	v_wmma_f32_16x16x16_f16 v[208:215], v[240:247], v[61:68], v[32:39]
	s_clause 0x1
	scratch_load_b128 v[32:35], off, off offset:64
	scratch_load_b128 v[36:39], off, off offset:80
	v_dual_mov_b32 v247, v68 :: v_dual_mov_b32 v246, v67
	v_wmma_f32_16x16x16_f16 v[208:215], v[232:239], v[112:119], v[208:215]
	v_dual_mov_b32 v239, v119 :: v_dual_mov_b32 v238, v118
	v_dual_mov_b32 v245, v66 :: v_dual_mov_b32 v244, v65
	s_delay_alu instid0(VALU_DEP_3) | instskip(SKIP_2) | instid1(VALU_DEP_3)
	v_wmma_f32_16x16x16_f16 v[208:215], v[224:231], v[128:135], v[208:215]
	v_dual_mov_b32 v231, v135 :: v_dual_mov_b32 v230, v134
	v_dual_mov_b32 v243, v64 :: v_dual_mov_b32 v242, v63
	v_wmma_f32_16x16x16_f16 v[208:215], v[216:223], v[136:143], v[208:215]
	v_dual_mov_b32 v223, v143 :: v_dual_mov_b32 v222, v142
	v_dual_mov_b32 v241, v62 :: v_dual_mov_b32 v240, v61
	s_delay_alu instid0(VALU_DEP_3) | instskip(SKIP_2) | instid1(VALU_DEP_3)
	v_wmma_f32_16x16x16_f16 v[208:215], v[200:207], v[144:151], v[208:215]
	v_dual_mov_b32 v207, v151 :: v_dual_mov_b32 v206, v150
	v_dual_mov_b32 v237, v117 :: v_dual_mov_b32 v236, v116
	v_wmma_f32_16x16x16_f16 v[208:215], v[192:199], v[152:159], v[208:215]
	v_dual_mov_b32 v199, v159 :: v_dual_mov_b32 v198, v158
	v_dual_mov_b32 v235, v115 :: v_dual_mov_b32 v234, v114
	;; [unrolled: 1-line block ×15, first 2 shown]
	s_waitcnt vmcnt(0)
	v_wmma_f32_16x16x16_f16 v[208:215], v[184:191], v[32:39], v[208:215]
	v_dual_mov_b32 v191, v39 :: v_dual_mov_b32 v190, v38
	v_dual_mov_b32 v189, v37 :: v_dual_mov_b32 v188, v36
	;; [unrolled: 1-line block ×4, first 2 shown]
	s_clause 0x1
	scratch_load_b128 v[32:35], off, off offset:96
	scratch_load_b128 v[36:39], off, off offset:112
	s_waitcnt vmcnt(0)
	v_wmma_f32_16x16x16_f16 v[208:215], v[176:183], v[32:39], v[208:215]
	v_dual_mov_b32 v183, v39 :: v_dual_mov_b32 v182, v38
	v_dual_mov_b32 v181, v37 :: v_dual_mov_b32 v180, v36
	;; [unrolled: 1-line block ×4, first 2 shown]
	v_cmp_ngt_f32_e64 s1, 0x3f200000, |v208|
	s_delay_alu instid0(VALU_DEP_1) | instskip(NEXT) | instid1(SALU_CYCLE_1)
	s_and_saveexec_b32 s2, s1
	s_xor_b32 s1, exec_lo, s2
	s_cbranch_execz .LBB25_153
; %bb.152:                              ;   in Loop: Header=BB25_87 Depth=2
	v_add_f32_e64 v32, |v208|, |v208|
	s_delay_alu instid0(VALU_DEP_1) | instskip(SKIP_1) | instid1(VALU_DEP_2)
	v_mul_f32_e32 v33, 0x3fb8aa3b, v32
	v_cmp_ngt_f32_e32 vcc_lo, 0xc2ce8ed0, v32
	v_rndne_f32_e32 v34, v33
	v_fma_f32 v35, 0x3fb8aa3b, v32, -v33
	s_delay_alu instid0(VALU_DEP_2) | instskip(NEXT) | instid1(VALU_DEP_2)
	v_sub_f32_e32 v33, v33, v34
	v_fmac_f32_e32 v35, 0x32a5705f, v32
	v_cvt_i32_f32_e32 v34, v34
	s_delay_alu instid0(VALU_DEP_2) | instskip(NEXT) | instid1(VALU_DEP_1)
	v_add_f32_e32 v33, v33, v35
	v_exp_f32_e32 v33, v33
	s_waitcnt_depctr 0xfff
	v_ldexp_f32 v33, v33, v34
	s_delay_alu instid0(VALU_DEP_1) | instskip(SKIP_1) | instid1(VALU_DEP_2)
	v_cndmask_b32_e32 v33, 0, v33, vcc_lo
	v_cmp_nlt_f32_e32 vcc_lo, 0x42b17218, v32
	v_cndmask_b32_e32 v32, 0x7f800000, v33, vcc_lo
	s_delay_alu instid0(VALU_DEP_1) | instskip(NEXT) | instid1(VALU_DEP_1)
	v_add_f32_e32 v32, 1.0, v32
	v_rcp_f32_e32 v32, v32
	s_waitcnt_depctr 0xfff
	v_fma_f32 v41, v32, -2.0, 1.0
.LBB25_153:                             ;   in Loop: Header=BB25_87 Depth=2
	s_and_not1_saveexec_b32 s1, s1
; %bb.154:                              ;   in Loop: Header=BB25_87 Depth=2
	v_mul_f32_e32 v32, v208, v208
	s_delay_alu instid0(VALU_DEP_1) | instskip(NEXT) | instid1(VALU_DEP_1)
	v_fmaak_f32 v33, s51, v32, 0x3ca908c9
	v_fmaak_f32 v33, v32, v33, 0xbd5c1c4e
	s_delay_alu instid0(VALU_DEP_1) | instskip(NEXT) | instid1(VALU_DEP_1)
	v_fmaak_f32 v33, v32, v33, 0x3e088382
	v_fmaak_f32 v33, v32, v33, 0xbeaaaa99
	s_delay_alu instid0(VALU_DEP_1) | instskip(NEXT) | instid1(VALU_DEP_1)
	v_mul_f32_e64 v33, |v208|, v33
	v_fma_f32 v41, v32, v33, |v208|
; %bb.155:                              ;   in Loop: Header=BB25_87 Depth=2
	s_or_b32 exec_lo, exec_lo, s1
	v_cmp_ngt_f32_e64 s1, 0x3f200000, |v209|
                                        ; implicit-def: $vgpr42
	s_delay_alu instid0(VALU_DEP_1) | instskip(NEXT) | instid1(SALU_CYCLE_1)
	s_and_saveexec_b32 s2, s1
	s_xor_b32 s1, exec_lo, s2
	s_cbranch_execz .LBB25_157
; %bb.156:                              ;   in Loop: Header=BB25_87 Depth=2
	v_add_f32_e64 v32, |v209|, |v209|
	s_delay_alu instid0(VALU_DEP_1) | instskip(SKIP_1) | instid1(VALU_DEP_2)
	v_mul_f32_e32 v33, 0x3fb8aa3b, v32
	v_cmp_ngt_f32_e32 vcc_lo, 0xc2ce8ed0, v32
	v_rndne_f32_e32 v34, v33
	v_fma_f32 v35, 0x3fb8aa3b, v32, -v33
	s_delay_alu instid0(VALU_DEP_2) | instskip(NEXT) | instid1(VALU_DEP_2)
	v_sub_f32_e32 v33, v33, v34
	v_fmac_f32_e32 v35, 0x32a5705f, v32
	v_cvt_i32_f32_e32 v34, v34
	s_delay_alu instid0(VALU_DEP_2) | instskip(NEXT) | instid1(VALU_DEP_1)
	v_add_f32_e32 v33, v33, v35
	v_exp_f32_e32 v33, v33
	s_waitcnt_depctr 0xfff
	v_ldexp_f32 v33, v33, v34
	s_delay_alu instid0(VALU_DEP_1) | instskip(SKIP_1) | instid1(VALU_DEP_2)
	v_cndmask_b32_e32 v33, 0, v33, vcc_lo
	v_cmp_nlt_f32_e32 vcc_lo, 0x42b17218, v32
	v_cndmask_b32_e32 v32, 0x7f800000, v33, vcc_lo
	s_delay_alu instid0(VALU_DEP_1) | instskip(NEXT) | instid1(VALU_DEP_1)
	v_add_f32_e32 v32, 1.0, v32
	v_rcp_f32_e32 v32, v32
	s_waitcnt_depctr 0xfff
	v_fma_f32 v42, v32, -2.0, 1.0
.LBB25_157:                             ;   in Loop: Header=BB25_87 Depth=2
	s_and_not1_saveexec_b32 s1, s1
; %bb.158:                              ;   in Loop: Header=BB25_87 Depth=2
	v_mul_f32_e32 v32, v209, v209
	s_delay_alu instid0(VALU_DEP_1) | instskip(NEXT) | instid1(VALU_DEP_1)
	v_fmaak_f32 v33, s51, v32, 0x3ca908c9
	v_fmaak_f32 v33, v32, v33, 0xbd5c1c4e
	s_delay_alu instid0(VALU_DEP_1) | instskip(NEXT) | instid1(VALU_DEP_1)
	v_fmaak_f32 v33, v32, v33, 0x3e088382
	v_fmaak_f32 v33, v32, v33, 0xbeaaaa99
	s_delay_alu instid0(VALU_DEP_1) | instskip(NEXT) | instid1(VALU_DEP_1)
	v_mul_f32_e64 v33, |v209|, v33
	v_fma_f32 v42, v32, v33, |v209|
; %bb.159:                              ;   in Loop: Header=BB25_87 Depth=2
	s_or_b32 exec_lo, exec_lo, s1
	v_cmp_ngt_f32_e64 s1, 0x3f200000, |v210|
                                        ; implicit-def: $vgpr43
	s_delay_alu instid0(VALU_DEP_1) | instskip(NEXT) | instid1(SALU_CYCLE_1)
	s_and_saveexec_b32 s2, s1
	s_xor_b32 s1, exec_lo, s2
	s_cbranch_execz .LBB25_161
; %bb.160:                              ;   in Loop: Header=BB25_87 Depth=2
	v_add_f32_e64 v32, |v210|, |v210|
	s_delay_alu instid0(VALU_DEP_1) | instskip(SKIP_1) | instid1(VALU_DEP_2)
	v_mul_f32_e32 v33, 0x3fb8aa3b, v32
	v_cmp_ngt_f32_e32 vcc_lo, 0xc2ce8ed0, v32
	v_rndne_f32_e32 v34, v33
	v_fma_f32 v35, 0x3fb8aa3b, v32, -v33
	s_delay_alu instid0(VALU_DEP_2) | instskip(NEXT) | instid1(VALU_DEP_2)
	v_sub_f32_e32 v33, v33, v34
	v_fmac_f32_e32 v35, 0x32a5705f, v32
	v_cvt_i32_f32_e32 v34, v34
	s_delay_alu instid0(VALU_DEP_2) | instskip(NEXT) | instid1(VALU_DEP_1)
	v_add_f32_e32 v33, v33, v35
	v_exp_f32_e32 v33, v33
	s_waitcnt_depctr 0xfff
	v_ldexp_f32 v33, v33, v34
	s_delay_alu instid0(VALU_DEP_1) | instskip(SKIP_1) | instid1(VALU_DEP_2)
	v_cndmask_b32_e32 v33, 0, v33, vcc_lo
	v_cmp_nlt_f32_e32 vcc_lo, 0x42b17218, v32
	v_cndmask_b32_e32 v32, 0x7f800000, v33, vcc_lo
	s_delay_alu instid0(VALU_DEP_1) | instskip(NEXT) | instid1(VALU_DEP_1)
	v_add_f32_e32 v32, 1.0, v32
	v_rcp_f32_e32 v32, v32
	s_waitcnt_depctr 0xfff
	v_fma_f32 v43, v32, -2.0, 1.0
.LBB25_161:                             ;   in Loop: Header=BB25_87 Depth=2
	s_and_not1_saveexec_b32 s1, s1
; %bb.162:                              ;   in Loop: Header=BB25_87 Depth=2
	v_mul_f32_e32 v32, v210, v210
	s_delay_alu instid0(VALU_DEP_1) | instskip(NEXT) | instid1(VALU_DEP_1)
	v_fmaak_f32 v33, s51, v32, 0x3ca908c9
	v_fmaak_f32 v33, v32, v33, 0xbd5c1c4e
	s_delay_alu instid0(VALU_DEP_1) | instskip(NEXT) | instid1(VALU_DEP_1)
	v_fmaak_f32 v33, v32, v33, 0x3e088382
	v_fmaak_f32 v33, v32, v33, 0xbeaaaa99
	s_delay_alu instid0(VALU_DEP_1) | instskip(NEXT) | instid1(VALU_DEP_1)
	v_mul_f32_e64 v33, |v210|, v33
	v_fma_f32 v43, v32, v33, |v210|
; %bb.163:                              ;   in Loop: Header=BB25_87 Depth=2
	s_or_b32 exec_lo, exec_lo, s1
	v_cmp_ngt_f32_e64 s1, 0x3f200000, |v211|
                                        ; implicit-def: $vgpr45
	s_delay_alu instid0(VALU_DEP_1) | instskip(NEXT) | instid1(SALU_CYCLE_1)
	s_and_saveexec_b32 s2, s1
	s_xor_b32 s1, exec_lo, s2
	s_cbranch_execz .LBB25_165
; %bb.164:                              ;   in Loop: Header=BB25_87 Depth=2
	v_add_f32_e64 v32, |v211|, |v211|
	s_delay_alu instid0(VALU_DEP_1) | instskip(SKIP_1) | instid1(VALU_DEP_2)
	v_mul_f32_e32 v33, 0x3fb8aa3b, v32
	v_cmp_ngt_f32_e32 vcc_lo, 0xc2ce8ed0, v32
	v_rndne_f32_e32 v34, v33
	v_fma_f32 v35, 0x3fb8aa3b, v32, -v33
	s_delay_alu instid0(VALU_DEP_2) | instskip(NEXT) | instid1(VALU_DEP_2)
	v_sub_f32_e32 v33, v33, v34
	v_fmac_f32_e32 v35, 0x32a5705f, v32
	v_cvt_i32_f32_e32 v34, v34
	s_delay_alu instid0(VALU_DEP_2) | instskip(NEXT) | instid1(VALU_DEP_1)
	v_add_f32_e32 v33, v33, v35
	v_exp_f32_e32 v33, v33
	s_waitcnt_depctr 0xfff
	v_ldexp_f32 v33, v33, v34
	s_delay_alu instid0(VALU_DEP_1) | instskip(SKIP_1) | instid1(VALU_DEP_2)
	v_cndmask_b32_e32 v33, 0, v33, vcc_lo
	v_cmp_nlt_f32_e32 vcc_lo, 0x42b17218, v32
	v_cndmask_b32_e32 v32, 0x7f800000, v33, vcc_lo
	s_delay_alu instid0(VALU_DEP_1) | instskip(NEXT) | instid1(VALU_DEP_1)
	v_add_f32_e32 v32, 1.0, v32
	v_rcp_f32_e32 v32, v32
	s_waitcnt_depctr 0xfff
	v_fma_f32 v45, v32, -2.0, 1.0
.LBB25_165:                             ;   in Loop: Header=BB25_87 Depth=2
	s_and_not1_saveexec_b32 s1, s1
; %bb.166:                              ;   in Loop: Header=BB25_87 Depth=2
	v_mul_f32_e32 v32, v211, v211
	s_delay_alu instid0(VALU_DEP_1) | instskip(NEXT) | instid1(VALU_DEP_1)
	v_fmaak_f32 v33, s51, v32, 0x3ca908c9
	v_fmaak_f32 v33, v32, v33, 0xbd5c1c4e
	s_delay_alu instid0(VALU_DEP_1) | instskip(NEXT) | instid1(VALU_DEP_1)
	v_fmaak_f32 v33, v32, v33, 0x3e088382
	v_fmaak_f32 v33, v32, v33, 0xbeaaaa99
	s_delay_alu instid0(VALU_DEP_1) | instskip(NEXT) | instid1(VALU_DEP_1)
	v_mul_f32_e64 v33, |v211|, v33
	v_fma_f32 v45, v32, v33, |v211|
; %bb.167:                              ;   in Loop: Header=BB25_87 Depth=2
	s_or_b32 exec_lo, exec_lo, s1
	v_cmp_ngt_f32_e64 s1, 0x3f200000, |v212|
                                        ; implicit-def: $vgpr54
	s_delay_alu instid0(VALU_DEP_1) | instskip(NEXT) | instid1(SALU_CYCLE_1)
	s_and_saveexec_b32 s2, s1
	s_xor_b32 s1, exec_lo, s2
	s_cbranch_execz .LBB25_169
; %bb.168:                              ;   in Loop: Header=BB25_87 Depth=2
	v_add_f32_e64 v32, |v212|, |v212|
	s_delay_alu instid0(VALU_DEP_1) | instskip(SKIP_1) | instid1(VALU_DEP_2)
	v_mul_f32_e32 v33, 0x3fb8aa3b, v32
	v_cmp_ngt_f32_e32 vcc_lo, 0xc2ce8ed0, v32
	v_rndne_f32_e32 v34, v33
	v_fma_f32 v35, 0x3fb8aa3b, v32, -v33
	s_delay_alu instid0(VALU_DEP_2) | instskip(NEXT) | instid1(VALU_DEP_2)
	v_sub_f32_e32 v33, v33, v34
	v_fmac_f32_e32 v35, 0x32a5705f, v32
	v_cvt_i32_f32_e32 v34, v34
	s_delay_alu instid0(VALU_DEP_2) | instskip(NEXT) | instid1(VALU_DEP_1)
	v_add_f32_e32 v33, v33, v35
	v_exp_f32_e32 v33, v33
	s_waitcnt_depctr 0xfff
	v_ldexp_f32 v33, v33, v34
	s_delay_alu instid0(VALU_DEP_1) | instskip(SKIP_1) | instid1(VALU_DEP_2)
	v_cndmask_b32_e32 v33, 0, v33, vcc_lo
	v_cmp_nlt_f32_e32 vcc_lo, 0x42b17218, v32
	v_cndmask_b32_e32 v32, 0x7f800000, v33, vcc_lo
	s_delay_alu instid0(VALU_DEP_1) | instskip(NEXT) | instid1(VALU_DEP_1)
	v_add_f32_e32 v32, 1.0, v32
	v_rcp_f32_e32 v32, v32
	s_waitcnt_depctr 0xfff
	v_fma_f32 v54, v32, -2.0, 1.0
.LBB25_169:                             ;   in Loop: Header=BB25_87 Depth=2
	s_and_not1_saveexec_b32 s1, s1
; %bb.170:                              ;   in Loop: Header=BB25_87 Depth=2
	v_mul_f32_e32 v32, v212, v212
	s_delay_alu instid0(VALU_DEP_1) | instskip(NEXT) | instid1(VALU_DEP_1)
	v_fmaak_f32 v33, s51, v32, 0x3ca908c9
	v_fmaak_f32 v33, v32, v33, 0xbd5c1c4e
	s_delay_alu instid0(VALU_DEP_1) | instskip(NEXT) | instid1(VALU_DEP_1)
	v_fmaak_f32 v33, v32, v33, 0x3e088382
	v_fmaak_f32 v33, v32, v33, 0xbeaaaa99
	s_delay_alu instid0(VALU_DEP_1) | instskip(NEXT) | instid1(VALU_DEP_1)
	v_mul_f32_e64 v33, |v212|, v33
	v_fma_f32 v54, v32, v33, |v212|
; %bb.171:                              ;   in Loop: Header=BB25_87 Depth=2
	s_or_b32 exec_lo, exec_lo, s1
	v_cmp_ngt_f32_e64 s1, 0x3f200000, |v213|
                                        ; implicit-def: $vgpr56
	s_delay_alu instid0(VALU_DEP_1) | instskip(NEXT) | instid1(SALU_CYCLE_1)
	s_and_saveexec_b32 s2, s1
	s_xor_b32 s1, exec_lo, s2
	s_cbranch_execz .LBB25_173
; %bb.172:                              ;   in Loop: Header=BB25_87 Depth=2
	v_add_f32_e64 v32, |v213|, |v213|
	s_delay_alu instid0(VALU_DEP_1) | instskip(SKIP_1) | instid1(VALU_DEP_2)
	v_mul_f32_e32 v33, 0x3fb8aa3b, v32
	v_cmp_ngt_f32_e32 vcc_lo, 0xc2ce8ed0, v32
	v_rndne_f32_e32 v34, v33
	v_fma_f32 v35, 0x3fb8aa3b, v32, -v33
	s_delay_alu instid0(VALU_DEP_2) | instskip(NEXT) | instid1(VALU_DEP_2)
	v_sub_f32_e32 v33, v33, v34
	v_fmac_f32_e32 v35, 0x32a5705f, v32
	v_cvt_i32_f32_e32 v34, v34
	s_delay_alu instid0(VALU_DEP_2) | instskip(NEXT) | instid1(VALU_DEP_1)
	v_add_f32_e32 v33, v33, v35
	v_exp_f32_e32 v33, v33
	s_waitcnt_depctr 0xfff
	v_ldexp_f32 v33, v33, v34
	s_delay_alu instid0(VALU_DEP_1) | instskip(SKIP_1) | instid1(VALU_DEP_2)
	v_cndmask_b32_e32 v33, 0, v33, vcc_lo
	v_cmp_nlt_f32_e32 vcc_lo, 0x42b17218, v32
	v_cndmask_b32_e32 v32, 0x7f800000, v33, vcc_lo
	s_delay_alu instid0(VALU_DEP_1) | instskip(NEXT) | instid1(VALU_DEP_1)
	v_add_f32_e32 v32, 1.0, v32
	v_rcp_f32_e32 v32, v32
	s_waitcnt_depctr 0xfff
	v_fma_f32 v56, v32, -2.0, 1.0
.LBB25_173:                             ;   in Loop: Header=BB25_87 Depth=2
	s_and_not1_saveexec_b32 s1, s1
; %bb.174:                              ;   in Loop: Header=BB25_87 Depth=2
	v_mul_f32_e32 v32, v213, v213
	s_delay_alu instid0(VALU_DEP_1) | instskip(NEXT) | instid1(VALU_DEP_1)
	v_fmaak_f32 v33, s51, v32, 0x3ca908c9
	v_fmaak_f32 v33, v32, v33, 0xbd5c1c4e
	s_delay_alu instid0(VALU_DEP_1) | instskip(NEXT) | instid1(VALU_DEP_1)
	v_fmaak_f32 v33, v32, v33, 0x3e088382
	v_fmaak_f32 v33, v32, v33, 0xbeaaaa99
	s_delay_alu instid0(VALU_DEP_1) | instskip(NEXT) | instid1(VALU_DEP_1)
	v_mul_f32_e64 v33, |v213|, v33
	v_fma_f32 v56, v32, v33, |v213|
; %bb.175:                              ;   in Loop: Header=BB25_87 Depth=2
	s_or_b32 exec_lo, exec_lo, s1
	v_cmp_ngt_f32_e64 s1, 0x3f200000, |v214|
                                        ; implicit-def: $vgpr57
	s_delay_alu instid0(VALU_DEP_1) | instskip(NEXT) | instid1(SALU_CYCLE_1)
	s_and_saveexec_b32 s2, s1
	s_xor_b32 s1, exec_lo, s2
	s_cbranch_execz .LBB25_177
; %bb.176:                              ;   in Loop: Header=BB25_87 Depth=2
	v_add_f32_e64 v32, |v214|, |v214|
	s_delay_alu instid0(VALU_DEP_1) | instskip(SKIP_1) | instid1(VALU_DEP_2)
	v_mul_f32_e32 v33, 0x3fb8aa3b, v32
	v_cmp_ngt_f32_e32 vcc_lo, 0xc2ce8ed0, v32
	v_rndne_f32_e32 v34, v33
	v_fma_f32 v35, 0x3fb8aa3b, v32, -v33
	s_delay_alu instid0(VALU_DEP_2) | instskip(NEXT) | instid1(VALU_DEP_2)
	v_sub_f32_e32 v33, v33, v34
	v_fmac_f32_e32 v35, 0x32a5705f, v32
	v_cvt_i32_f32_e32 v34, v34
	s_delay_alu instid0(VALU_DEP_2) | instskip(NEXT) | instid1(VALU_DEP_1)
	v_add_f32_e32 v33, v33, v35
	v_exp_f32_e32 v33, v33
	s_waitcnt_depctr 0xfff
	v_ldexp_f32 v33, v33, v34
	s_delay_alu instid0(VALU_DEP_1) | instskip(SKIP_1) | instid1(VALU_DEP_2)
	v_cndmask_b32_e32 v33, 0, v33, vcc_lo
	v_cmp_nlt_f32_e32 vcc_lo, 0x42b17218, v32
	v_cndmask_b32_e32 v32, 0x7f800000, v33, vcc_lo
	s_delay_alu instid0(VALU_DEP_1) | instskip(NEXT) | instid1(VALU_DEP_1)
	v_add_f32_e32 v32, 1.0, v32
	v_rcp_f32_e32 v32, v32
	s_waitcnt_depctr 0xfff
	v_fma_f32 v57, v32, -2.0, 1.0
.LBB25_177:                             ;   in Loop: Header=BB25_87 Depth=2
	s_and_not1_saveexec_b32 s1, s1
; %bb.178:                              ;   in Loop: Header=BB25_87 Depth=2
	v_mul_f32_e32 v32, v214, v214
	s_delay_alu instid0(VALU_DEP_1) | instskip(NEXT) | instid1(VALU_DEP_1)
	v_fmaak_f32 v33, s51, v32, 0x3ca908c9
	v_fmaak_f32 v33, v32, v33, 0xbd5c1c4e
	s_delay_alu instid0(VALU_DEP_1) | instskip(NEXT) | instid1(VALU_DEP_1)
	v_fmaak_f32 v33, v32, v33, 0x3e088382
	v_fmaak_f32 v33, v32, v33, 0xbeaaaa99
	s_delay_alu instid0(VALU_DEP_1) | instskip(NEXT) | instid1(VALU_DEP_1)
	v_mul_f32_e64 v33, |v214|, v33
	v_fma_f32 v57, v32, v33, |v214|
; %bb.179:                              ;   in Loop: Header=BB25_87 Depth=2
	s_or_b32 exec_lo, exec_lo, s1
	v_cmp_ngt_f32_e64 s1, 0x3f200000, |v215|
                                        ; implicit-def: $vgpr40
	s_delay_alu instid0(VALU_DEP_1) | instskip(NEXT) | instid1(SALU_CYCLE_1)
	s_and_saveexec_b32 s2, s1
	s_xor_b32 s1, exec_lo, s2
	s_cbranch_execz .LBB25_181
; %bb.180:                              ;   in Loop: Header=BB25_87 Depth=2
	v_add_f32_e64 v32, |v215|, |v215|
	s_delay_alu instid0(VALU_DEP_1) | instskip(SKIP_1) | instid1(VALU_DEP_2)
	v_mul_f32_e32 v33, 0x3fb8aa3b, v32
	v_cmp_ngt_f32_e32 vcc_lo, 0xc2ce8ed0, v32
	v_rndne_f32_e32 v34, v33
	v_fma_f32 v35, 0x3fb8aa3b, v32, -v33
	s_delay_alu instid0(VALU_DEP_2) | instskip(NEXT) | instid1(VALU_DEP_2)
	v_sub_f32_e32 v33, v33, v34
	v_fmac_f32_e32 v35, 0x32a5705f, v32
	v_cvt_i32_f32_e32 v34, v34
	s_delay_alu instid0(VALU_DEP_2) | instskip(NEXT) | instid1(VALU_DEP_1)
	v_add_f32_e32 v33, v33, v35
	v_exp_f32_e32 v33, v33
	s_waitcnt_depctr 0xfff
	v_ldexp_f32 v33, v33, v34
	s_delay_alu instid0(VALU_DEP_1) | instskip(SKIP_1) | instid1(VALU_DEP_2)
	v_cndmask_b32_e32 v33, 0, v33, vcc_lo
	v_cmp_nlt_f32_e32 vcc_lo, 0x42b17218, v32
	v_cndmask_b32_e32 v32, 0x7f800000, v33, vcc_lo
	s_delay_alu instid0(VALU_DEP_1) | instskip(NEXT) | instid1(VALU_DEP_1)
	v_add_f32_e32 v32, 1.0, v32
	v_rcp_f32_e32 v32, v32
	s_waitcnt_depctr 0xfff
	v_fma_f32 v40, v32, -2.0, 1.0
.LBB25_181:                             ;   in Loop: Header=BB25_87 Depth=2
	s_and_not1_saveexec_b32 s1, s1
; %bb.182:                              ;   in Loop: Header=BB25_87 Depth=2
	v_mul_f32_e32 v32, v215, v215
	s_delay_alu instid0(VALU_DEP_1) | instskip(NEXT) | instid1(VALU_DEP_1)
	v_fmaak_f32 v33, s51, v32, 0x3ca908c9
	v_fmaak_f32 v33, v32, v33, 0xbd5c1c4e
	s_delay_alu instid0(VALU_DEP_1) | instskip(NEXT) | instid1(VALU_DEP_1)
	v_fmaak_f32 v33, v32, v33, 0x3e088382
	v_fmaak_f32 v33, v32, v33, 0xbeaaaa99
	s_delay_alu instid0(VALU_DEP_1) | instskip(NEXT) | instid1(VALU_DEP_1)
	v_mul_f32_e64 v33, |v215|, v33
	v_fma_f32 v40, v32, v33, |v215|
; %bb.183:                              ;   in Loop: Header=BB25_87 Depth=2
	s_or_b32 exec_lo, exec_lo, s1
	v_dual_mov_b32 v68, s43 :: v_dual_mov_b32 v67, s42
	v_dual_mov_b32 v66, s41 :: v_dual_mov_b32 v65, s40
	;; [unrolled: 1-line block ×4, first 2 shown]
	s_delay_alu instid0(VALU_DEP_1)
	v_wmma_f32_16x16x16_f16 v[32:39], v[168:175], v[240:247], v[61:68]
	s_clause 0x1
	scratch_load_b128 v[61:64], off, off offset:448
	scratch_load_b128 v[65:68], off, off offset:464
	v_wmma_f32_16x16x16_f16 v[32:39], v[160:167], v[232:239], v[32:39]
	s_waitcnt vmcnt(0)
	s_delay_alu instid0(VALU_DEP_1)
	v_wmma_f32_16x16x16_f16 v[32:39], v[61:68], v[224:231], v[32:39]
	s_clause 0x1
	scratch_load_b128 v[61:64], off, off offset:416
	scratch_load_b128 v[65:68], off, off offset:432
	s_waitcnt vmcnt(0)
	v_wmma_f32_16x16x16_f16 v[32:39], v[61:68], v[216:223], v[32:39]
	s_clause 0x1
	scratch_load_b128 v[61:64], off, off offset:384
	scratch_load_b128 v[65:68], off, off offset:400
	s_waitcnt vmcnt(0)
	;; [unrolled: 5-line block ×5, first 2 shown]
	v_wmma_f32_16x16x16_f16 v[32:39], v[61:68], v[176:183], v[32:39]
                                        ; implicit-def: $vgpr68
	s_delay_alu instid0(VALU_DEP_1) | instskip(NEXT) | instid1(VALU_DEP_1)
	v_cmp_ngt_f32_e64 s1, 0x3f200000, |v32|
	s_and_saveexec_b32 s2, s1
	s_delay_alu instid0(SALU_CYCLE_1)
	s_xor_b32 s1, exec_lo, s2
	s_cbranch_execz .LBB25_185
; %bb.184:                              ;   in Loop: Header=BB25_87 Depth=2
	v_add_f32_e64 v44, |v32|, |v32|
	s_delay_alu instid0(VALU_DEP_1) | instskip(SKIP_1) | instid1(VALU_DEP_2)
	v_mul_f32_e32 v48, 0x3fb8aa3b, v44
	v_cmp_ngt_f32_e32 vcc_lo, 0xc2ce8ed0, v44
	v_rndne_f32_e32 v49, v48
	v_fma_f32 v58, 0x3fb8aa3b, v44, -v48
	s_delay_alu instid0(VALU_DEP_2) | instskip(NEXT) | instid1(VALU_DEP_2)
	v_sub_f32_e32 v48, v48, v49
	v_fmac_f32_e32 v58, 0x32a5705f, v44
	v_cvt_i32_f32_e32 v49, v49
	s_delay_alu instid0(VALU_DEP_2) | instskip(NEXT) | instid1(VALU_DEP_1)
	v_add_f32_e32 v48, v48, v58
	v_exp_f32_e32 v48, v48
	s_waitcnt_depctr 0xfff
	v_ldexp_f32 v48, v48, v49
	s_delay_alu instid0(VALU_DEP_1) | instskip(SKIP_1) | instid1(VALU_DEP_2)
	v_cndmask_b32_e32 v48, 0, v48, vcc_lo
	v_cmp_nlt_f32_e32 vcc_lo, 0x42b17218, v44
	v_cndmask_b32_e32 v44, 0x7f800000, v48, vcc_lo
	s_delay_alu instid0(VALU_DEP_1) | instskip(NEXT) | instid1(VALU_DEP_1)
	v_add_f32_e32 v44, 1.0, v44
	v_rcp_f32_e32 v44, v44
	s_waitcnt_depctr 0xfff
	v_fma_f32 v68, v44, -2.0, 1.0
.LBB25_185:                             ;   in Loop: Header=BB25_87 Depth=2
	s_and_not1_saveexec_b32 s1, s1
; %bb.186:                              ;   in Loop: Header=BB25_87 Depth=2
	v_mul_f32_e32 v44, v32, v32
	s_delay_alu instid0(VALU_DEP_1) | instskip(NEXT) | instid1(VALU_DEP_1)
	v_fmaak_f32 v48, s51, v44, 0x3ca908c9
	v_fmaak_f32 v48, v44, v48, 0xbd5c1c4e
	s_delay_alu instid0(VALU_DEP_1) | instskip(NEXT) | instid1(VALU_DEP_1)
	v_fmaak_f32 v48, v44, v48, 0x3e088382
	v_fmaak_f32 v48, v44, v48, 0xbeaaaa99
	s_delay_alu instid0(VALU_DEP_1) | instskip(NEXT) | instid1(VALU_DEP_1)
	v_mul_f32_e64 v48, |v32|, v48
	v_fma_f32 v68, v44, v48, |v32|
; %bb.187:                              ;   in Loop: Header=BB25_87 Depth=2
	s_or_b32 exec_lo, exec_lo, s1
	v_cmp_ngt_f32_e64 s1, 0x3f200000, |v33|
                                        ; implicit-def: $vgpr69
	s_delay_alu instid0(VALU_DEP_1) | instskip(NEXT) | instid1(SALU_CYCLE_1)
	s_and_saveexec_b32 s2, s1
	s_xor_b32 s1, exec_lo, s2
	s_cbranch_execz .LBB25_189
; %bb.188:                              ;   in Loop: Header=BB25_87 Depth=2
	v_add_f32_e64 v44, |v33|, |v33|
	s_delay_alu instid0(VALU_DEP_1) | instskip(SKIP_1) | instid1(VALU_DEP_2)
	v_mul_f32_e32 v48, 0x3fb8aa3b, v44
	v_cmp_ngt_f32_e32 vcc_lo, 0xc2ce8ed0, v44
	v_rndne_f32_e32 v49, v48
	v_fma_f32 v58, 0x3fb8aa3b, v44, -v48
	s_delay_alu instid0(VALU_DEP_2) | instskip(NEXT) | instid1(VALU_DEP_2)
	v_sub_f32_e32 v48, v48, v49
	v_fmac_f32_e32 v58, 0x32a5705f, v44
	v_cvt_i32_f32_e32 v49, v49
	s_delay_alu instid0(VALU_DEP_2) | instskip(NEXT) | instid1(VALU_DEP_1)
	v_add_f32_e32 v48, v48, v58
	v_exp_f32_e32 v48, v48
	s_waitcnt_depctr 0xfff
	v_ldexp_f32 v48, v48, v49
	s_delay_alu instid0(VALU_DEP_1) | instskip(SKIP_1) | instid1(VALU_DEP_2)
	v_cndmask_b32_e32 v48, 0, v48, vcc_lo
	v_cmp_nlt_f32_e32 vcc_lo, 0x42b17218, v44
	v_cndmask_b32_e32 v44, 0x7f800000, v48, vcc_lo
	s_delay_alu instid0(VALU_DEP_1) | instskip(NEXT) | instid1(VALU_DEP_1)
	v_add_f32_e32 v44, 1.0, v44
	v_rcp_f32_e32 v44, v44
	s_waitcnt_depctr 0xfff
	v_fma_f32 v69, v44, -2.0, 1.0
.LBB25_189:                             ;   in Loop: Header=BB25_87 Depth=2
	s_and_not1_saveexec_b32 s1, s1
; %bb.190:                              ;   in Loop: Header=BB25_87 Depth=2
	v_mul_f32_e32 v44, v33, v33
	s_delay_alu instid0(VALU_DEP_1) | instskip(NEXT) | instid1(VALU_DEP_1)
	v_fmaak_f32 v48, s51, v44, 0x3ca908c9
	v_fmaak_f32 v48, v44, v48, 0xbd5c1c4e
	s_delay_alu instid0(VALU_DEP_1) | instskip(NEXT) | instid1(VALU_DEP_1)
	v_fmaak_f32 v48, v44, v48, 0x3e088382
	v_fmaak_f32 v48, v44, v48, 0xbeaaaa99
	s_delay_alu instid0(VALU_DEP_1) | instskip(NEXT) | instid1(VALU_DEP_1)
	v_mul_f32_e64 v48, |v33|, v48
	v_fma_f32 v69, v44, v48, |v33|
; %bb.191:                              ;   in Loop: Header=BB25_87 Depth=2
	s_or_b32 exec_lo, exec_lo, s1
	v_cmp_ngt_f32_e64 s1, 0x3f200000, |v34|
                                        ; implicit-def: $vgpr70
	s_delay_alu instid0(VALU_DEP_1) | instskip(NEXT) | instid1(SALU_CYCLE_1)
	s_and_saveexec_b32 s2, s1
	s_xor_b32 s1, exec_lo, s2
	s_cbranch_execz .LBB25_193
; %bb.192:                              ;   in Loop: Header=BB25_87 Depth=2
	v_add_f32_e64 v44, |v34|, |v34|
	s_delay_alu instid0(VALU_DEP_1) | instskip(SKIP_1) | instid1(VALU_DEP_2)
	v_mul_f32_e32 v48, 0x3fb8aa3b, v44
	v_cmp_ngt_f32_e32 vcc_lo, 0xc2ce8ed0, v44
	v_rndne_f32_e32 v49, v48
	v_fma_f32 v58, 0x3fb8aa3b, v44, -v48
	s_delay_alu instid0(VALU_DEP_2) | instskip(NEXT) | instid1(VALU_DEP_2)
	v_sub_f32_e32 v48, v48, v49
	v_fmac_f32_e32 v58, 0x32a5705f, v44
	v_cvt_i32_f32_e32 v49, v49
	s_delay_alu instid0(VALU_DEP_2) | instskip(NEXT) | instid1(VALU_DEP_1)
	v_add_f32_e32 v48, v48, v58
	v_exp_f32_e32 v48, v48
	s_waitcnt_depctr 0xfff
	v_ldexp_f32 v48, v48, v49
	s_delay_alu instid0(VALU_DEP_1) | instskip(SKIP_1) | instid1(VALU_DEP_2)
	v_cndmask_b32_e32 v48, 0, v48, vcc_lo
	v_cmp_nlt_f32_e32 vcc_lo, 0x42b17218, v44
	v_cndmask_b32_e32 v44, 0x7f800000, v48, vcc_lo
	s_delay_alu instid0(VALU_DEP_1) | instskip(NEXT) | instid1(VALU_DEP_1)
	v_add_f32_e32 v44, 1.0, v44
	v_rcp_f32_e32 v44, v44
	s_waitcnt_depctr 0xfff
	v_fma_f32 v70, v44, -2.0, 1.0
.LBB25_193:                             ;   in Loop: Header=BB25_87 Depth=2
	s_and_not1_saveexec_b32 s1, s1
; %bb.194:                              ;   in Loop: Header=BB25_87 Depth=2
	v_mul_f32_e32 v44, v34, v34
	s_delay_alu instid0(VALU_DEP_1) | instskip(NEXT) | instid1(VALU_DEP_1)
	v_fmaak_f32 v48, s51, v44, 0x3ca908c9
	v_fmaak_f32 v48, v44, v48, 0xbd5c1c4e
	s_delay_alu instid0(VALU_DEP_1) | instskip(NEXT) | instid1(VALU_DEP_1)
	v_fmaak_f32 v48, v44, v48, 0x3e088382
	v_fmaak_f32 v48, v44, v48, 0xbeaaaa99
	s_delay_alu instid0(VALU_DEP_1) | instskip(NEXT) | instid1(VALU_DEP_1)
	v_mul_f32_e64 v48, |v34|, v48
	v_fma_f32 v70, v44, v48, |v34|
; %bb.195:                              ;   in Loop: Header=BB25_87 Depth=2
	s_or_b32 exec_lo, exec_lo, s1
	v_cmp_ngt_f32_e64 s1, 0x3f200000, |v35|
                                        ; implicit-def: $vgpr71
	s_delay_alu instid0(VALU_DEP_1) | instskip(NEXT) | instid1(SALU_CYCLE_1)
	s_and_saveexec_b32 s2, s1
	s_xor_b32 s1, exec_lo, s2
	s_cbranch_execz .LBB25_197
; %bb.196:                              ;   in Loop: Header=BB25_87 Depth=2
	v_add_f32_e64 v44, |v35|, |v35|
	s_delay_alu instid0(VALU_DEP_1) | instskip(SKIP_1) | instid1(VALU_DEP_2)
	v_mul_f32_e32 v48, 0x3fb8aa3b, v44
	v_cmp_ngt_f32_e32 vcc_lo, 0xc2ce8ed0, v44
	v_rndne_f32_e32 v49, v48
	v_fma_f32 v58, 0x3fb8aa3b, v44, -v48
	s_delay_alu instid0(VALU_DEP_2) | instskip(NEXT) | instid1(VALU_DEP_2)
	v_sub_f32_e32 v48, v48, v49
	v_fmac_f32_e32 v58, 0x32a5705f, v44
	v_cvt_i32_f32_e32 v49, v49
	s_delay_alu instid0(VALU_DEP_2) | instskip(NEXT) | instid1(VALU_DEP_1)
	v_add_f32_e32 v48, v48, v58
	v_exp_f32_e32 v48, v48
	s_waitcnt_depctr 0xfff
	v_ldexp_f32 v48, v48, v49
	s_delay_alu instid0(VALU_DEP_1) | instskip(SKIP_1) | instid1(VALU_DEP_2)
	v_cndmask_b32_e32 v48, 0, v48, vcc_lo
	v_cmp_nlt_f32_e32 vcc_lo, 0x42b17218, v44
	v_cndmask_b32_e32 v44, 0x7f800000, v48, vcc_lo
	s_delay_alu instid0(VALU_DEP_1) | instskip(NEXT) | instid1(VALU_DEP_1)
	v_add_f32_e32 v44, 1.0, v44
	v_rcp_f32_e32 v44, v44
	s_waitcnt_depctr 0xfff
	v_fma_f32 v71, v44, -2.0, 1.0
.LBB25_197:                             ;   in Loop: Header=BB25_87 Depth=2
	s_and_not1_saveexec_b32 s1, s1
; %bb.198:                              ;   in Loop: Header=BB25_87 Depth=2
	v_mul_f32_e32 v44, v35, v35
	s_delay_alu instid0(VALU_DEP_1) | instskip(NEXT) | instid1(VALU_DEP_1)
	v_fmaak_f32 v48, s51, v44, 0x3ca908c9
	v_fmaak_f32 v48, v44, v48, 0xbd5c1c4e
	s_delay_alu instid0(VALU_DEP_1) | instskip(NEXT) | instid1(VALU_DEP_1)
	v_fmaak_f32 v48, v44, v48, 0x3e088382
	v_fmaak_f32 v48, v44, v48, 0xbeaaaa99
	s_delay_alu instid0(VALU_DEP_1) | instskip(NEXT) | instid1(VALU_DEP_1)
	v_mul_f32_e64 v48, |v35|, v48
	v_fma_f32 v71, v44, v48, |v35|
; %bb.199:                              ;   in Loop: Header=BB25_87 Depth=2
	s_or_b32 exec_lo, exec_lo, s1
	v_cmp_ngt_f32_e64 s1, 0x3f200000, |v36|
                                        ; implicit-def: $vgpr72
	s_delay_alu instid0(VALU_DEP_1) | instskip(NEXT) | instid1(SALU_CYCLE_1)
	s_and_saveexec_b32 s2, s1
	s_xor_b32 s1, exec_lo, s2
	s_cbranch_execz .LBB25_201
; %bb.200:                              ;   in Loop: Header=BB25_87 Depth=2
	v_add_f32_e64 v44, |v36|, |v36|
	s_delay_alu instid0(VALU_DEP_1) | instskip(SKIP_1) | instid1(VALU_DEP_2)
	v_mul_f32_e32 v48, 0x3fb8aa3b, v44
	v_cmp_ngt_f32_e32 vcc_lo, 0xc2ce8ed0, v44
	v_rndne_f32_e32 v49, v48
	v_fma_f32 v58, 0x3fb8aa3b, v44, -v48
	s_delay_alu instid0(VALU_DEP_2) | instskip(NEXT) | instid1(VALU_DEP_2)
	v_sub_f32_e32 v48, v48, v49
	v_fmac_f32_e32 v58, 0x32a5705f, v44
	v_cvt_i32_f32_e32 v49, v49
	s_delay_alu instid0(VALU_DEP_2) | instskip(NEXT) | instid1(VALU_DEP_1)
	v_add_f32_e32 v48, v48, v58
	v_exp_f32_e32 v48, v48
	s_waitcnt_depctr 0xfff
	v_ldexp_f32 v48, v48, v49
	s_delay_alu instid0(VALU_DEP_1) | instskip(SKIP_1) | instid1(VALU_DEP_2)
	v_cndmask_b32_e32 v48, 0, v48, vcc_lo
	v_cmp_nlt_f32_e32 vcc_lo, 0x42b17218, v44
	v_cndmask_b32_e32 v44, 0x7f800000, v48, vcc_lo
	s_delay_alu instid0(VALU_DEP_1) | instskip(NEXT) | instid1(VALU_DEP_1)
	v_add_f32_e32 v44, 1.0, v44
	v_rcp_f32_e32 v44, v44
	s_waitcnt_depctr 0xfff
	v_fma_f32 v72, v44, -2.0, 1.0
.LBB25_201:                             ;   in Loop: Header=BB25_87 Depth=2
	s_and_not1_saveexec_b32 s1, s1
; %bb.202:                              ;   in Loop: Header=BB25_87 Depth=2
	v_mul_f32_e32 v44, v36, v36
	s_delay_alu instid0(VALU_DEP_1) | instskip(NEXT) | instid1(VALU_DEP_1)
	v_fmaak_f32 v48, s51, v44, 0x3ca908c9
	v_fmaak_f32 v48, v44, v48, 0xbd5c1c4e
	s_delay_alu instid0(VALU_DEP_1) | instskip(NEXT) | instid1(VALU_DEP_1)
	v_fmaak_f32 v48, v44, v48, 0x3e088382
	v_fmaak_f32 v48, v44, v48, 0xbeaaaa99
	s_delay_alu instid0(VALU_DEP_1) | instskip(NEXT) | instid1(VALU_DEP_1)
	v_mul_f32_e64 v48, |v36|, v48
	v_fma_f32 v72, v44, v48, |v36|
; %bb.203:                              ;   in Loop: Header=BB25_87 Depth=2
	s_or_b32 exec_lo, exec_lo, s1
	v_cmp_ngt_f32_e64 s1, 0x3f200000, |v37|
                                        ; implicit-def: $vgpr73
	s_delay_alu instid0(VALU_DEP_1) | instskip(NEXT) | instid1(SALU_CYCLE_1)
	s_and_saveexec_b32 s2, s1
	s_xor_b32 s1, exec_lo, s2
	s_cbranch_execz .LBB25_205
; %bb.204:                              ;   in Loop: Header=BB25_87 Depth=2
	v_add_f32_e64 v44, |v37|, |v37|
	s_delay_alu instid0(VALU_DEP_1) | instskip(SKIP_1) | instid1(VALU_DEP_2)
	v_mul_f32_e32 v48, 0x3fb8aa3b, v44
	v_cmp_ngt_f32_e32 vcc_lo, 0xc2ce8ed0, v44
	v_rndne_f32_e32 v49, v48
	v_fma_f32 v58, 0x3fb8aa3b, v44, -v48
	s_delay_alu instid0(VALU_DEP_2) | instskip(NEXT) | instid1(VALU_DEP_2)
	v_sub_f32_e32 v48, v48, v49
	v_fmac_f32_e32 v58, 0x32a5705f, v44
	v_cvt_i32_f32_e32 v49, v49
	s_delay_alu instid0(VALU_DEP_2) | instskip(NEXT) | instid1(VALU_DEP_1)
	v_add_f32_e32 v48, v48, v58
	v_exp_f32_e32 v48, v48
	s_waitcnt_depctr 0xfff
	v_ldexp_f32 v48, v48, v49
	s_delay_alu instid0(VALU_DEP_1) | instskip(SKIP_1) | instid1(VALU_DEP_2)
	v_cndmask_b32_e32 v48, 0, v48, vcc_lo
	v_cmp_nlt_f32_e32 vcc_lo, 0x42b17218, v44
	v_cndmask_b32_e32 v44, 0x7f800000, v48, vcc_lo
	s_delay_alu instid0(VALU_DEP_1) | instskip(NEXT) | instid1(VALU_DEP_1)
	v_add_f32_e32 v44, 1.0, v44
	v_rcp_f32_e32 v44, v44
	s_waitcnt_depctr 0xfff
	v_fma_f32 v73, v44, -2.0, 1.0
.LBB25_205:                             ;   in Loop: Header=BB25_87 Depth=2
	s_and_not1_saveexec_b32 s1, s1
; %bb.206:                              ;   in Loop: Header=BB25_87 Depth=2
	v_mul_f32_e32 v44, v37, v37
	s_delay_alu instid0(VALU_DEP_1) | instskip(NEXT) | instid1(VALU_DEP_1)
	v_fmaak_f32 v48, s51, v44, 0x3ca908c9
	v_fmaak_f32 v48, v44, v48, 0xbd5c1c4e
	s_delay_alu instid0(VALU_DEP_1) | instskip(NEXT) | instid1(VALU_DEP_1)
	v_fmaak_f32 v48, v44, v48, 0x3e088382
	v_fmaak_f32 v48, v44, v48, 0xbeaaaa99
	s_delay_alu instid0(VALU_DEP_1) | instskip(NEXT) | instid1(VALU_DEP_1)
	v_mul_f32_e64 v48, |v37|, v48
	v_fma_f32 v73, v44, v48, |v37|
; %bb.207:                              ;   in Loop: Header=BB25_87 Depth=2
	s_or_b32 exec_lo, exec_lo, s1
	v_cmp_ngt_f32_e64 s1, 0x3f200000, |v38|
                                        ; implicit-def: $vgpr74
	s_delay_alu instid0(VALU_DEP_1) | instskip(NEXT) | instid1(SALU_CYCLE_1)
	s_and_saveexec_b32 s2, s1
	s_xor_b32 s1, exec_lo, s2
	s_cbranch_execz .LBB25_209
; %bb.208:                              ;   in Loop: Header=BB25_87 Depth=2
	v_add_f32_e64 v44, |v38|, |v38|
	s_delay_alu instid0(VALU_DEP_1) | instskip(SKIP_1) | instid1(VALU_DEP_2)
	v_mul_f32_e32 v48, 0x3fb8aa3b, v44
	v_cmp_ngt_f32_e32 vcc_lo, 0xc2ce8ed0, v44
	v_rndne_f32_e32 v49, v48
	v_fma_f32 v58, 0x3fb8aa3b, v44, -v48
	s_delay_alu instid0(VALU_DEP_2) | instskip(NEXT) | instid1(VALU_DEP_2)
	v_sub_f32_e32 v48, v48, v49
	v_fmac_f32_e32 v58, 0x32a5705f, v44
	v_cvt_i32_f32_e32 v49, v49
	s_delay_alu instid0(VALU_DEP_2) | instskip(NEXT) | instid1(VALU_DEP_1)
	v_add_f32_e32 v48, v48, v58
	v_exp_f32_e32 v48, v48
	s_waitcnt_depctr 0xfff
	v_ldexp_f32 v48, v48, v49
	s_delay_alu instid0(VALU_DEP_1) | instskip(SKIP_1) | instid1(VALU_DEP_2)
	v_cndmask_b32_e32 v48, 0, v48, vcc_lo
	v_cmp_nlt_f32_e32 vcc_lo, 0x42b17218, v44
	v_cndmask_b32_e32 v44, 0x7f800000, v48, vcc_lo
	s_delay_alu instid0(VALU_DEP_1) | instskip(NEXT) | instid1(VALU_DEP_1)
	v_add_f32_e32 v44, 1.0, v44
	v_rcp_f32_e32 v44, v44
	s_waitcnt_depctr 0xfff
	v_fma_f32 v74, v44, -2.0, 1.0
.LBB25_209:                             ;   in Loop: Header=BB25_87 Depth=2
	s_and_not1_saveexec_b32 s1, s1
; %bb.210:                              ;   in Loop: Header=BB25_87 Depth=2
	v_mul_f32_e32 v44, v38, v38
	s_delay_alu instid0(VALU_DEP_1) | instskip(NEXT) | instid1(VALU_DEP_1)
	v_fmaak_f32 v48, s51, v44, 0x3ca908c9
	v_fmaak_f32 v48, v44, v48, 0xbd5c1c4e
	s_delay_alu instid0(VALU_DEP_1) | instskip(NEXT) | instid1(VALU_DEP_1)
	v_fmaak_f32 v48, v44, v48, 0x3e088382
	v_fmaak_f32 v48, v44, v48, 0xbeaaaa99
	s_delay_alu instid0(VALU_DEP_1) | instskip(NEXT) | instid1(VALU_DEP_1)
	v_mul_f32_e64 v48, |v38|, v48
	v_fma_f32 v74, v44, v48, |v38|
; %bb.211:                              ;   in Loop: Header=BB25_87 Depth=2
	s_or_b32 exec_lo, exec_lo, s1
	v_cmp_ngt_f32_e64 s1, 0x3f200000, |v39|
                                        ; implicit-def: $vgpr75
	s_delay_alu instid0(VALU_DEP_1) | instskip(NEXT) | instid1(SALU_CYCLE_1)
	s_and_saveexec_b32 s2, s1
	s_xor_b32 s1, exec_lo, s2
	s_cbranch_execz .LBB25_213
; %bb.212:                              ;   in Loop: Header=BB25_87 Depth=2
	v_add_f32_e64 v44, |v39|, |v39|
	s_delay_alu instid0(VALU_DEP_1) | instskip(SKIP_1) | instid1(VALU_DEP_2)
	v_mul_f32_e32 v48, 0x3fb8aa3b, v44
	v_cmp_ngt_f32_e32 vcc_lo, 0xc2ce8ed0, v44
	v_rndne_f32_e32 v49, v48
	v_fma_f32 v58, 0x3fb8aa3b, v44, -v48
	s_delay_alu instid0(VALU_DEP_2) | instskip(NEXT) | instid1(VALU_DEP_2)
	v_sub_f32_e32 v48, v48, v49
	v_fmac_f32_e32 v58, 0x32a5705f, v44
	v_cvt_i32_f32_e32 v49, v49
	s_delay_alu instid0(VALU_DEP_2) | instskip(NEXT) | instid1(VALU_DEP_1)
	v_add_f32_e32 v48, v48, v58
	v_exp_f32_e32 v48, v48
	s_waitcnt_depctr 0xfff
	v_ldexp_f32 v48, v48, v49
	s_delay_alu instid0(VALU_DEP_1) | instskip(SKIP_1) | instid1(VALU_DEP_2)
	v_cndmask_b32_e32 v48, 0, v48, vcc_lo
	v_cmp_nlt_f32_e32 vcc_lo, 0x42b17218, v44
	v_cndmask_b32_e32 v44, 0x7f800000, v48, vcc_lo
	s_delay_alu instid0(VALU_DEP_1) | instskip(NEXT) | instid1(VALU_DEP_1)
	v_add_f32_e32 v44, 1.0, v44
	v_rcp_f32_e32 v44, v44
	s_waitcnt_depctr 0xfff
	v_fma_f32 v75, v44, -2.0, 1.0
.LBB25_213:                             ;   in Loop: Header=BB25_87 Depth=2
	s_and_not1_saveexec_b32 s1, s1
; %bb.214:                              ;   in Loop: Header=BB25_87 Depth=2
	v_mul_f32_e32 v44, v39, v39
	s_delay_alu instid0(VALU_DEP_1) | instskip(NEXT) | instid1(VALU_DEP_1)
	v_fmaak_f32 v48, s51, v44, 0x3ca908c9
	v_fmaak_f32 v48, v44, v48, 0xbd5c1c4e
	s_delay_alu instid0(VALU_DEP_1) | instskip(NEXT) | instid1(VALU_DEP_1)
	v_fmaak_f32 v48, v44, v48, 0x3e088382
	v_fmaak_f32 v48, v44, v48, 0xbeaaaa99
	s_delay_alu instid0(VALU_DEP_1) | instskip(NEXT) | instid1(VALU_DEP_1)
	v_mul_f32_e64 v48, |v39|, v48
	v_fma_f32 v75, v44, v48, |v39|
; %bb.215:                              ;   in Loop: Header=BB25_87 Depth=2
	s_or_b32 exec_lo, exec_lo, s1
	v_bfi_b32 v58, 0x7fffffff, v46, v104
	scratch_load_b32 v46, off, off offset:128 ; 4-byte Folded Reload
	v_bfi_b32 v48, 0x7fffffff, v41, v208
	v_bfi_b32 v41, 0x7fffffff, v57, v214
	;; [unrolled: 1-line block ×4, first 2 shown]
	s_clause 0x1
	scratch_load_b32 v69, off, off offset:524
	scratch_load_b32 v94, off, off
	v_bfi_b32 v59, 0x7fffffff, v47, v105
	v_bfi_b32 v47, 0x7fffffff, v71, v35
	;; [unrolled: 1-line block ×3, first 2 shown]
	s_mul_hi_i32 s3, s76, s10
	s_mul_i32 s2, s76, s10
	v_bfi_b32 v44, 0x7fffffff, v43, v210
	s_lshl_b64 s[2:3], s[2:3], 2
	v_bfi_b32 v43, 0x7fffffff, v56, v213
	s_add_u32 s1, s99, s2
	s_addc_u32 s2, s100, s3
	v_bfi_b32 v56, 0x7fffffff, v50, v106
	v_bfi_b32 v63, 0x7fffffff, v248, v101
	;; [unrolled: 1-line block ×15, first 2 shown]
	s_add_i32 s14, s14, 1
	s_add_i32 s76, s76, 64
	s_cmp_lt_i32 s14, s0
	s_waitcnt vmcnt(2)
	v_bfi_b32 v64, 0x7fffffff, v46, v96
	scratch_load_b32 v46, off, off offset:160 ; 4-byte Folded Reload
	s_waitcnt vmcnt(0)
	v_bfi_b32 v65, 0x7fffffff, v46, v97
	scratch_load_b32 v46, off, off offset:192 ; 4-byte Folded Reload
	;; [unrolled: 3-line block ×4, first 2 shown]
	s_waitcnt vmcnt(0)
	v_bfi_b32 v62, 0x7fffffff, v46, v100
	v_bfi_b32 v46, 0x7fffffff, v70, v34
	;; [unrolled: 1-line block ×3, first 2 shown]
	scratch_load_b64 v[36:37], off, off offset:1052 ; 8-byte Folded Reload
	s_waitcnt vmcnt(0)
	v_add_co_u32 v36, vcc_lo, s1, v36
	v_add_co_ci_u32_e32 v37, vcc_lo, s2, v37, vcc_lo
	s_delay_alu instid0(VALU_DEP_2) | instskip(NEXT) | instid1(VALU_DEP_2)
	v_add_co_u32 v92, vcc_lo, v36, v94
	v_add_co_ci_u32_e32 v93, vcc_lo, 0, v37, vcc_lo
	ds_load_u16 v95, v69
	ds_load_u16 v96, v69 offset:4
	ds_load_u16 v97, v69 offset:8
	;; [unrolled: 1-line block ×31, first 2 shown]
	global_load_b128 v[99:102], v[92:93], off
	s_clause 0x1
	scratch_load_b32 v137, off, off offset:516
	scratch_load_b64 v[92:93], off, off offset:1060
	s_waitcnt lgkmcnt(31)
	v_fma_mix_f32 v64, v64, s33, v95 op_sel_hi:[0,0,1]
	s_waitcnt lgkmcnt(30)
	v_fma_mix_f32 v65, v65, s33, v96 op_sel_hi:[0,0,1]
	;; [unrolled: 2-line block ×9, first 2 shown]
	v_dual_add_f32 v90, 0x40051340, v62 :: v_dual_add_f32 v91, 0x40051340, v63
	s_waitcnt lgkmcnt(15)
	v_fma_mix_f32 v105, v48, s33, v82 op_sel_hi:[0,0,1]
	s_waitcnt lgkmcnt(14)
	v_fma_mix_f32 v104, v49, s33, v83 op_sel_hi:[0,0,1]
	s_delay_alu instid0(VALU_DEP_1)
	v_add_f32_e32 v49, 0x40051340, v104
	s_waitcnt vmcnt(1)
	ds_store_b128 v137, v[99:102]
	s_waitcnt vmcnt(0)
	v_add_co_u32 v92, vcc_lo, s1, v92
	v_add_co_ci_u32_e32 v93, vcc_lo, s2, v93, vcc_lo
	s_delay_alu instid0(VALU_DEP_2) | instskip(NEXT) | instid1(VALU_DEP_2)
	v_add_co_u32 v92, vcc_lo, v92, v94
	v_add_co_ci_u32_e32 v93, vcc_lo, 0, v93, vcc_lo
	global_load_b128 v[99:102], v[92:93], off
	s_clause 0x1
	scratch_load_b32 v139, off, off offset:640
	scratch_load_b64 v[92:93], off, off offset:1068
	s_waitcnt vmcnt(1)
	ds_store_b128 v139, v[99:102]
	s_waitcnt vmcnt(0)
	v_add_co_u32 v92, vcc_lo, s1, v92
	v_add_co_ci_u32_e32 v93, vcc_lo, s2, v93, vcc_lo
	s_delay_alu instid0(VALU_DEP_2) | instskip(NEXT) | instid1(VALU_DEP_2)
	v_add_co_u32 v92, vcc_lo, v92, v94
	v_add_co_ci_u32_e32 v93, vcc_lo, 0, v93, vcc_lo
	global_load_b128 v[99:102], v[92:93], off
	s_clause 0x1
	scratch_load_b32 v140, off, off offset:644
	scratch_load_b64 v[92:93], off, off offset:1076
	;; [unrolled: 12-line block ×6, first 2 shown]
	s_waitcnt vmcnt(1)
	ds_store_b128 v144, v[99:102]
	s_waitcnt vmcnt(0)
	v_add_co_u32 v92, vcc_lo, s1, v92
	v_add_co_ci_u32_e32 v93, vcc_lo, s2, v93, vcc_lo
	s_delay_alu instid0(VALU_DEP_2) | instskip(NEXT) | instid1(VALU_DEP_2)
	v_add_co_u32 v92, vcc_lo, v92, v94
	v_add_co_ci_u32_e32 v93, vcc_lo, 0, v93, vcc_lo
	global_load_b128 v[99:102], v[92:93], off
	scratch_load_b32 v145, off, off offset:664 ; 4-byte Folded Reload
	v_dual_add_f32 v92, 0x40051340, v64 :: v_dual_add_f32 v93, 0x40051340, v65
	v_add_f32_e32 v94, 0x40051340, v67
	s_delay_alu instid0(VALU_DEP_2) | instskip(SKIP_1) | instid1(VALU_DEP_1)
	v_max3_f32 v92, v252, v92, v93
	v_add_f32_e32 v93, 0x40051340, v66
	v_max3_f32 v92, v92, v93, v94
	s_delay_alu instid0(VALU_DEP_1)
	v_max3_f32 v90, v92, v90, v91
	v_fma_mix_f32 v92, v60, s33, v89 op_sel_hi:[0,0,1]
	v_add_f32_e32 v60, 0x40051340, v61
	s_waitcnt lgkmcnt(20)
	v_fma_mix_f32 v91, v44, s33, v80 op_sel_hi:[0,0,1]
	s_waitcnt lgkmcnt(18)
	v_fma_mix_f32 v89, v42, s33, v78 op_sel_hi:[0,0,1]
	s_waitcnt lgkmcnt(14)
	v_fma_mix_f32 v78, v50, s33, v74 op_sel_hi:[0,0,1]
	v_add_f32_e32 v88, 0x40051340, v92
	v_fma_mix_f32 v80, v41, s33, v76 op_sel_hi:[0,0,1]
	v_add_f32_e32 v44, 0x40051340, v91
	s_waitcnt lgkmcnt(12)
	v_fma_mix_f32 v76, v46, s33, v72 op_sel_hi:[0,0,1]
	s_waitcnt lgkmcnt(10)
	v_fma_mix_f32 v74, v34, s33, v70 op_sel_hi:[0,0,1]
	v_max3_f32 v88, v90, v60, v88
	v_fma_mix_f32 v60, v58, s33, v86 op_sel_hi:[0,0,1]
	v_add_f32_e32 v86, 0x40051340, v59
	v_fma_mix_f32 v90, v45, s33, v81 op_sel_hi:[0,0,1]
	s_waitcnt lgkmcnt(8)
	v_fma_mix_f32 v72, v32, s33, v68 op_sel_hi:[0,0,1]
	s_delay_alu instid0(VALU_DEP_2) | instskip(NEXT) | instid1(VALU_DEP_2)
	v_dual_add_f32 v58, 0x40051340, v60 :: v_dual_add_f32 v45, 0x40051340, v90
	v_add_f32_e32 v32, 0x40051340, v72
	s_delay_alu instid0(VALU_DEP_2)
	v_max3_f32 v86, v88, v58, v86
	v_fma_mix_f32 v58, v56, s33, v39 op_sel_hi:[0,0,1]
	v_fma_mix_f32 v56, v57, s33, v85 op_sel_hi:[0,0,1]
	;; [unrolled: 1-line block ×3, first 2 shown]
	v_add_f32_e32 v48, 0x40051340, v105
	v_fma_mix_f32 v79, v40, s33, v77 op_sel_hi:[0,0,1]
	v_add_f32_e32 v39, 0x40051340, v58
	v_add_f32_e32 v57, 0x40051340, v56
	v_dual_add_f32 v43, 0x40051340, v88 :: v_dual_add_f32 v42, 0x40051340, v89
	s_delay_alu instid0(VALU_DEP_4) | instskip(SKIP_1) | instid1(VALU_DEP_4)
	v_add_f32_e32 v41, 0x40051340, v79
	v_fma_mix_f32 v77, v51, s33, v75 op_sel_hi:[0,0,1]
	v_max3_f32 v57, v86, v39, v57
	v_fma_mix_f32 v39, v54, s33, v37 op_sel_hi:[0,0,1]
	v_add_f32_e32 v54, 0x40051340, v38
	v_fma_mix_f32 v75, v47, s33, v73 op_sel_hi:[0,0,1]
	v_fma_mix_f32 v73, v35, s33, v71 op_sel_hi:[0,0,1]
	s_delay_alu instid0(VALU_DEP_4) | instskip(SKIP_2) | instid1(VALU_DEP_3)
	v_dual_add_f32 v40, 0x40051340, v80 :: v_dual_add_f32 v37, 0x40051340, v39
	s_waitcnt lgkmcnt(7)
	v_fma_mix_f32 v71, v33, s33, v69 op_sel_hi:[0,0,1]
	v_dual_add_f32 v34, 0x40051340, v74 :: v_dual_add_f32 v35, 0x40051340, v73
	s_delay_alu instid0(VALU_DEP_3) | instskip(NEXT) | instid1(VALU_DEP_3)
	v_max3_f32 v54, v57, v37, v54
	v_add_f32_e32 v33, 0x40051340, v71
	v_fma_mix_f32 v37, v53, s33, v36 op_sel_hi:[0,0,1]
	v_fma_mix_f32 v36, v52, s33, v84 op_sel_hi:[0,0,1]
	s_delay_alu instid0(VALU_DEP_1) | instskip(NEXT) | instid1(VALU_DEP_1)
	v_dual_add_f32 v52, 0x40051340, v37 :: v_dual_add_f32 v53, 0x40051340, v36
	v_max3_f32 v52, v54, v52, v53
	s_delay_alu instid0(VALU_DEP_1) | instskip(NEXT) | instid1(VALU_DEP_1)
	v_max3_f32 v48, v52, v48, v49
	v_max3_f32 v44, v48, v44, v45
	s_delay_alu instid0(VALU_DEP_1) | instskip(NEXT) | instid1(VALU_DEP_1)
	v_max3_f32 v42, v44, v42, v43
	v_max3_f32 v40, v42, v40, v41
	v_dual_add_f32 v41, 0x40051340, v78 :: v_dual_add_f32 v42, 0x40051340, v77
	s_delay_alu instid0(VALU_DEP_1) | instskip(SKIP_1) | instid1(VALU_DEP_1)
	v_max3_f32 v40, v40, v41, v42
	v_dual_add_f32 v41, 0x40051340, v76 :: v_dual_add_f32 v42, 0x40051340, v75
	v_max3_f32 v40, v40, v41, v42
	s_delay_alu instid0(VALU_DEP_1) | instskip(NEXT) | instid1(VALU_DEP_1)
	v_max3_f32 v34, v40, v34, v35
	v_max3_f32 v32, v34, v32, v33
	ds_bpermute_b32 v33, v253, v32
	s_waitcnt lgkmcnt(0)
	v_max_f32_e32 v33, v33, v33
	s_delay_alu instid0(VALU_DEP_1) | instskip(NEXT) | instid1(VALU_DEP_1)
	v_max_f32_e32 v81, v32, v33
	v_sub_f32_e32 v32, v64, v81
	s_delay_alu instid0(VALU_DEP_1) | instskip(SKIP_2) | instid1(VALU_DEP_3)
	v_mul_f32_e32 v33, 0x3fb8aa3b, v32
	v_cmp_ngt_f32_e32 vcc_lo, 0xc2ce8ed0, v32
	v_cmp_nlt_f32_e64 s1, 0x42b17218, v32
	v_fma_f32 v34, 0x3fb8aa3b, v32, -v33
	s_delay_alu instid0(VALU_DEP_1) | instskip(SKIP_1) | instid1(VALU_DEP_1)
	v_fmac_f32_e32 v34, 0x32a5705f, v32
	v_sub_f32_e32 v32, v65, v81
	v_mul_f32_e32 v35, 0x3fb8aa3b, v32
	v_cmp_ngt_f32_e64 s2, 0xc2ce8ed0, v32
	v_cmp_nlt_f32_e64 s4, 0x42b17218, v32
	s_delay_alu instid0(VALU_DEP_3) | instskip(NEXT) | instid1(VALU_DEP_1)
	v_fma_f32 v40, 0x3fb8aa3b, v32, -v35
	v_fmac_f32_e32 v40, 0x32a5705f, v32
	v_rndne_f32_e32 v32, v33
	s_delay_alu instid0(VALU_DEP_1) | instskip(SKIP_1) | instid1(VALU_DEP_2)
	v_sub_f32_e32 v33, v33, v32
	v_cvt_i32_f32_e32 v32, v32
	v_add_f32_e32 v33, v33, v34
	v_rndne_f32_e32 v34, v35
	s_delay_alu instid0(VALU_DEP_2) | instskip(NEXT) | instid1(VALU_DEP_1)
	v_exp_f32_e32 v33, v33
	v_sub_f32_e32 v35, v35, v34
	v_cvt_i32_f32_e32 v34, v34
	s_delay_alu instid0(VALU_DEP_2) | instskip(SKIP_3) | instid1(VALU_DEP_1)
	v_add_f32_e32 v35, v35, v40
	s_waitcnt_depctr 0xfff
	v_ldexp_f32 v32, v33, v32
	v_exp_f32_e32 v33, v35
	v_cndmask_b32_e32 v32, 0, v32, vcc_lo
	s_delay_alu instid0(VALU_DEP_1)
	v_cndmask_b32_e64 v82, 0x7f800000, v32, s1
	s_waitcnt_depctr 0xfff
	v_ldexp_f32 v33, v33, v34
	s_clause 0x1
	scratch_load_b32 v34, off, off offset:668
	scratch_load_b32 v32, off, off offset:480
	v_cndmask_b32_e64 v33, 0, v33, s2
	s_delay_alu instid0(VALU_DEP_1)
	v_cndmask_b32_e64 v83, 0x7f800000, v33, s4
	s_waitcnt vmcnt(2)
	ds_store_b128 v145, v[99:102]
	s_waitcnt vmcnt(0) lgkmcnt(0)
	s_waitcnt_vscnt null, 0x0
	s_barrier
	buffer_gl0_inv
	scratch_load_b32 v138, off, off offset:532 ; 4-byte Folded Reload
	v_cmp_eq_u32_e32 vcc_lo, 1, v34
	v_cmp_eq_u32_e64 s2, 0, v32
	v_cmp_eq_u32_e64 s3, 1, v32
	ds_bpermute_b32 v32, v253, v82
	v_cmp_eq_u32_e64 s1, 0, v34
	ds_bpermute_b32 v34, v253, v83
	s_waitcnt lgkmcnt(1)
	v_cndmask_b32_e32 v33, v82, v32, vcc_lo
	v_cndmask_b32_e64 v32, v82, v32, s1
	s_delay_alu instid0(VALU_DEP_2) | instskip(NEXT) | instid1(VALU_DEP_2)
	v_cndmask_b32_e64 v40, v33, v83, s3
	v_cndmask_b32_e64 v35, v32, v83, s2
	v_cvt_f16_f32_e32 v32, v32
	v_cvt_f16_f32_e32 v33, v33
	s_waitcnt lgkmcnt(0)
	s_delay_alu instid0(VALU_DEP_3) | instskip(SKIP_1) | instid1(VALU_DEP_3)
	v_cndmask_b32_e64 v35, v35, v34, s1
	v_cndmask_b32_e32 v34, v40, v34, vcc_lo
	v_pack_b32_f16 v96, v32, v33
	v_sub_f32_e32 v32, v66, v81
	s_delay_alu instid0(VALU_DEP_4) | instskip(NEXT) | instid1(VALU_DEP_4)
	v_cvt_f16_f32_e32 v40, v35
	v_cvt_f16_f32_e32 v41, v34
	s_delay_alu instid0(VALU_DEP_3) | instskip(SKIP_2) | instid1(VALU_DEP_4)
	v_mul_f32_e32 v33, 0x3fb8aa3b, v32
	v_cmp_ngt_f32_e64 s4, 0xc2ce8ed0, v32
	v_cmp_nlt_f32_e64 s5, 0x42b17218, v32
	v_pack_b32_f16 v97, v40, v41
	s_delay_alu instid0(VALU_DEP_4) | instskip(SKIP_1) | instid1(VALU_DEP_1)
	v_fma_f32 v40, 0x3fb8aa3b, v32, -v33
	v_rndne_f32_e32 v41, v33
	v_dual_fmac_f32 v40, 0x32a5705f, v32 :: v_dual_sub_f32 v33, v33, v41
	s_delay_alu instid0(VALU_DEP_1) | instskip(SKIP_1) | instid1(VALU_DEP_2)
	v_add_f32_e32 v33, v33, v40
	v_cvt_i32_f32_e32 v40, v41
	v_exp_f32_e32 v33, v33
	s_waitcnt_depctr 0xfff
	v_ldexp_f32 v33, v33, v40
	s_delay_alu instid0(VALU_DEP_1) | instskip(NEXT) | instid1(VALU_DEP_1)
	v_cndmask_b32_e64 v32, 0, v33, s4
	v_cndmask_b32_e64 v84, 0x7f800000, v32, s5
	s_delay_alu instid0(VALU_DEP_1)
	v_cndmask_b32_e64 v33, v34, v84, s3
	ds_bpermute_b32 v34, v253, v84
	v_cndmask_b32_e64 v32, v35, v84, s2
	s_waitcnt vmcnt(0)
	v_add_nc_u32_e32 v111, 0x800, v138
	v_add_nc_u32_e32 v94, 0x400, v138
	;; [unrolled: 1-line block ×3, first 2 shown]
	s_waitcnt lgkmcnt(0)
	v_cndmask_b32_e64 v32, v32, v34, s1
	v_cndmask_b32_e32 v33, v33, v34, vcc_lo
	s_delay_alu instid0(VALU_DEP_2) | instskip(NEXT) | instid1(VALU_DEP_2)
	v_cvt_f16_f32_e32 v34, v32
	v_cvt_f16_f32_e32 v35, v33
	s_delay_alu instid0(VALU_DEP_1) | instskip(SKIP_1) | instid1(VALU_DEP_1)
	v_pack_b32_f16 v98, v34, v35
	v_sub_f32_e32 v34, v67, v81
	v_mul_f32_e32 v35, 0x3fb8aa3b, v34
	v_cmp_ngt_f32_e64 s4, 0xc2ce8ed0, v34
	v_cmp_nlt_f32_e64 s5, 0x42b17218, v34
	s_delay_alu instid0(VALU_DEP_3) | instskip(SKIP_1) | instid1(VALU_DEP_1)
	v_fma_f32 v40, 0x3fb8aa3b, v34, -v35
	v_rndne_f32_e32 v41, v35
	v_dual_fmac_f32 v40, 0x32a5705f, v34 :: v_dual_sub_f32 v35, v35, v41
	s_delay_alu instid0(VALU_DEP_1) | instskip(SKIP_1) | instid1(VALU_DEP_2)
	v_add_f32_e32 v35, v35, v40
	v_cvt_i32_f32_e32 v40, v41
	v_exp_f32_e32 v35, v35
	s_waitcnt_depctr 0xfff
	v_ldexp_f32 v35, v35, v40
	s_delay_alu instid0(VALU_DEP_1) | instskip(NEXT) | instid1(VALU_DEP_1)
	v_cndmask_b32_e64 v34, 0, v35, s4
	v_cndmask_b32_e64 v85, 0x7f800000, v34, s5
	ds_bpermute_b32 v34, v253, v85
	v_cndmask_b32_e64 v32, v32, v85, s2
	v_cndmask_b32_e64 v33, v33, v85, s3
	s_waitcnt lgkmcnt(0)
	s_delay_alu instid0(VALU_DEP_2) | instskip(NEXT) | instid1(VALU_DEP_2)
	v_cndmask_b32_e64 v32, v32, v34, s1
	v_cndmask_b32_e32 v33, v33, v34, vcc_lo
	s_delay_alu instid0(VALU_DEP_2) | instskip(NEXT) | instid1(VALU_DEP_2)
	v_cvt_f16_f32_e32 v34, v32
	v_cvt_f16_f32_e32 v35, v33
	s_delay_alu instid0(VALU_DEP_1) | instskip(SKIP_1) | instid1(VALU_DEP_1)
	v_pack_b32_f16 v99, v34, v35
	v_sub_f32_e32 v34, v62, v81
	v_mul_f32_e32 v35, 0x3fb8aa3b, v34
	v_cmp_ngt_f32_e64 s4, 0xc2ce8ed0, v34
	v_cmp_nlt_f32_e64 s5, 0x42b17218, v34
	s_delay_alu instid0(VALU_DEP_3) | instskip(SKIP_1) | instid1(VALU_DEP_1)
	v_fma_f32 v40, 0x3fb8aa3b, v34, -v35
	v_rndne_f32_e32 v41, v35
	v_dual_fmac_f32 v40, 0x32a5705f, v34 :: v_dual_sub_f32 v35, v35, v41
	s_delay_alu instid0(VALU_DEP_1) | instskip(SKIP_1) | instid1(VALU_DEP_2)
	v_add_f32_e32 v35, v35, v40
	v_cvt_i32_f32_e32 v40, v41
	v_exp_f32_e32 v35, v35
	s_waitcnt_depctr 0xfff
	v_ldexp_f32 v35, v35, v40
	s_delay_alu instid0(VALU_DEP_1) | instskip(NEXT) | instid1(VALU_DEP_1)
	v_cndmask_b32_e64 v34, 0, v35, s4
	v_cndmask_b32_e64 v86, 0x7f800000, v34, s5
	ds_bpermute_b32 v34, v253, v86
	v_cndmask_b32_e64 v32, v32, v86, s2
	v_cndmask_b32_e64 v33, v33, v86, s3
	s_waitcnt lgkmcnt(0)
	s_delay_alu instid0(VALU_DEP_2) | instskip(NEXT) | instid1(VALU_DEP_2)
	;; [unrolled: 29-line block ×5, first 2 shown]
	v_cndmask_b32_e64 v32, v32, v34, s1
	v_cndmask_b32_e32 v33, v33, v34, vcc_lo
	s_delay_alu instid0(VALU_DEP_2) | instskip(NEXT) | instid1(VALU_DEP_2)
	v_cvt_f16_f32_e32 v32, v32
	v_cvt_f16_f32_e32 v33, v33
	s_delay_alu instid0(VALU_DEP_1) | instskip(SKIP_1) | instid1(VALU_DEP_1)
	v_pack_b32_f16 v103, v32, v33
	v_sub_f32_e32 v32, v252, v81
	v_mul_f32_e32 v33, 0x3fb8aa3b, v32
	v_cmp_ngt_f32_e64 s4, 0xc2ce8ed0, v32
	v_cmp_nlt_f32_e64 s5, 0x42b17218, v32
	v_cmp_le_f32_e64 s6, 0xc1a00000, v32
	s_delay_alu instid0(VALU_DEP_4) | instskip(SKIP_1) | instid1(VALU_DEP_1)
	v_fma_f32 v34, 0x3fb8aa3b, v32, -v33
	v_rndne_f32_e32 v35, v33
	v_dual_fmac_f32 v34, 0x32a5705f, v32 :: v_dual_sub_f32 v33, v33, v35
	s_delay_alu instid0(VALU_DEP_1) | instskip(SKIP_1) | instid1(VALU_DEP_2)
	v_add_f32_e32 v33, v33, v34
	v_cvt_i32_f32_e32 v34, v35
	v_exp_f32_e32 v33, v33
	s_waitcnt_depctr 0xfff
	v_ldexp_f32 v33, v33, v34
	s_delay_alu instid0(VALU_DEP_1) | instskip(NEXT) | instid1(VALU_DEP_1)
	v_cndmask_b32_e64 v32, 0, v33, s4
	v_cndmask_b32_e64 v32, 0x7f800000, v32, s5
	s_delay_alu instid0(VALU_DEP_1)
	v_cndmask_b32_e64 v113, 0, v32, s6
	ds_load_2addr_b32 v[32:33], v138 offset1:16
	ds_load_2addr_b32 v[34:35], v138 offset0:68 offset1:84
	ds_load_2addr_b32 v[48:49], v138 offset0:136 offset1:152
	;; [unrolled: 1-line block ×13, first 2 shown]
	v_cvt_f16_f32_e32 v57, v113
	s_delay_alu instid0(VALU_DEP_1)
	v_pk_mul_f16 v24, v57, v24 op_sel_hi:[0,1]
	v_pk_mul_f16 v25, v57, v25 op_sel_hi:[0,1]
	;; [unrolled: 1-line block ×8, first 2 shown]
	s_waitcnt lgkmcnt(12)
	v_perm_b32 v40, v34, v32, 0x5040100
	s_waitcnt lgkmcnt(10)
	v_perm_b32 v41, v50, v48, 0x5040100
	;; [unrolled: 2-line block ×8, first 2 shown]
	v_pk_mul_f16 v16, v57, v16 op_sel_hi:[0,1]
	v_pk_mul_f16 v17, v57, v17 op_sel_hi:[0,1]
	;; [unrolled: 1-line block ×4, first 2 shown]
	v_wmma_f16_16x16x16_f16 v[24:31], v[40:47], v[96:103], v[24:31]
	v_perm_b32 v42, v53, v52, 0x7060302
	v_perm_b32 v46, v93, v92, 0x7060302
	;; [unrolled: 1-line block ×8, first 2 shown]
	v_pk_mul_f16 v20, v57, v20 op_sel_hi:[0,1]
	v_pk_mul_f16 v21, v57, v21 op_sel_hi:[0,1]
	v_pk_mul_f16 v22, v57, v22 op_sel_hi:[0,1]
	v_pk_mul_f16 v23, v57, v23 op_sel_hi:[0,1]
	v_wmma_f16_16x16x16_f16 v[24:31], v[40:47], v[96:103], v[24:31] op_sel:[0,0,1]
	scratch_load_b32 v46, off, off offset:564 ; 4-byte Folded Reload
	v_perm_b32 v40, v35, v33, 0x5040100
	v_perm_b32 v41, v51, v49, 0x5040100
	;; [unrolled: 1-line block ×3, first 2 shown]
	v_pk_mul_f16 v8, v57, v8 op_sel_hi:[0,1]
	v_pk_mul_f16 v9, v57, v9 op_sel_hi:[0,1]
	;; [unrolled: 1-line block ×16, first 2 shown]
	s_waitcnt vmcnt(0)
	ds_load_b32 v32, v46 offset:1088
	ds_load_2addr_b32 v[52:53], v94 offset0:100 offset1:116
	ds_load_2addr_b32 v[64:65], v94 offset0:168 offset1:184
	;; [unrolled: 1-line block ×3, first 2 shown]
	v_add_nc_u32_e32 v94, 0x1000, v138
	ds_load_b32 v34, v46 offset:2176
	ds_load_b32 v48, v46 offset:3264
	ds_load_2addr_b32 v[109:110], v118 offset0:132 offset1:148
	ds_load_2addr_b32 v[114:115], v118 offset0:200 offset1:216
	ds_load_2addr_b32 v[116:117], v94 offset0:12 offset1:28
	s_waitcnt lgkmcnt(7)
	v_perm_b32 v42, v52, v32, 0x5040100
	s_waitcnt lgkmcnt(5)
	v_perm_b32 v43, v92, v64, 0x5040100
	;; [unrolled: 2-line block ×5, first 2 shown]
	s_delay_alu instid0(VALU_DEP_1)
	v_wmma_f16_16x16x16_f16 v[16:23], v[40:47], v[96:103], v[16:23]
	v_perm_b32 v40, v35, v33, 0x7060302
	v_perm_b32 v41, v51, v49, 0x7060302
	;; [unrolled: 1-line block ×8, first 2 shown]
	ds_load_2addr_b32 v[32:33], v138 offset0:32 offset1:48
	ds_load_2addr_b32 v[34:35], v138 offset0:100 offset1:116
	ds_load_2addr_b32 v[48:49], v138 offset0:168 offset1:184
	ds_load_2addr_b32 v[50:51], v138 offset0:236 offset1:252
	v_wmma_f16_16x16x16_f16 v[16:23], v[40:47], v[96:103], v[16:23] op_sel:[0,0,1]
	scratch_load_b32 v46, off, off offset:596 ; 4-byte Folded Reload
	v_perm_b32 v43, v93, v65, 0x5040100
	v_perm_b32 v47, v117, v115, 0x5040100
	s_waitcnt lgkmcnt(2)
	v_perm_b32 v40, v34, v32, 0x5040100
	s_waitcnt lgkmcnt(0)
	v_perm_b32 v41, v50, v48, 0x5040100
	s_waitcnt vmcnt(0)
	ds_load_b32 v52, v46 offset:1088
	ds_load_b32 v55, v46 offset:2176
	ds_load_2addr_b32 v[66:67], v111 offset0:132 offset1:148
	ds_load_2addr_b32 v[68:69], v111 offset0:200 offset1:216
	;; [unrolled: 1-line block ×3, first 2 shown]
	ds_load_b32 v62, v46 offset:3264
	s_waitcnt lgkmcnt(5)
	v_perm_b32 v42, v53, v52, 0x5040100
	s_waitcnt lgkmcnt(3)
	v_perm_b32 v44, v66, v55, 0x5040100
	;; [unrolled: 2-line block ×4, first 2 shown]
	s_delay_alu instid0(VALU_DEP_1)
	v_wmma_f16_16x16x16_f16 v[8:15], v[40:47], v[96:103], v[8:15]
	v_perm_b32 v43, v93, v65, 0x7060302
	v_perm_b32 v47, v117, v115, 0x7060302
	;; [unrolled: 1-line block ×8, first 2 shown]
	ds_load_2addr_b32 v[64:65], v94 offset0:44 offset1:64
	v_wmma_f16_16x16x16_f16 v[8:15], v[40:47], v[96:103], v[8:15] op_sel:[0,0,1]
	scratch_load_b32 v46, off, off offset:620 ; 4-byte Folded Reload
	v_perm_b32 v40, v35, v33, 0x5040100
	v_perm_b32 v41, v51, v49, 0x5040100
	;; [unrolled: 1-line block ×4, first 2 shown]
	s_waitcnt lgkmcnt(0)
	v_perm_b32 v47, v64, v108, 0x5040100
	s_waitcnt vmcnt(0)
	ds_load_b32 v32, v46 offset:1088
	ds_load_b32 v34, v46 offset:2176
	;; [unrolled: 1-line block ×3, first 2 shown]
	s_waitcnt lgkmcnt(2)
	v_perm_b32 v42, v54, v32, 0x5040100
	s_waitcnt lgkmcnt(1)
	v_perm_b32 v44, v67, v34, 0x5040100
	;; [unrolled: 2-line block ×3, first 2 shown]
	s_delay_alu instid0(VALU_DEP_1)
	v_wmma_f16_16x16x16_f16 v[0:7], v[40:47], v[96:103], v[0:7]
	v_perm_b32 v42, v54, v32, 0x7060302
	v_sub_f32_e32 v32, v60, v81
	v_perm_b32 v40, v35, v33, 0x7060302
	v_perm_b32 v44, v67, v34, 0x7060302
	;; [unrolled: 1-line block ×4, first 2 shown]
	v_mul_f32_e32 v33, 0x3fb8aa3b, v32
	v_perm_b32 v45, v119, v69, 0x7060302
	v_perm_b32 v46, v106, v48, 0x7060302
	;; [unrolled: 1-line block ×3, first 2 shown]
	v_cmp_ngt_f32_e64 s4, 0xc2ce8ed0, v32
	v_fma_f32 v34, 0x3fb8aa3b, v32, -v33
	v_rndne_f32_e32 v35, v33
	v_cmp_nlt_f32_e64 s5, 0x42b17218, v32
	v_wmma_f16_16x16x16_f16 v[0:7], v[40:47], v[96:103], v[0:7] op_sel:[0,0,1]
	v_add_nc_u32_e32 v106, 0x2000, v138
	s_delay_alu instid0(VALU_DEP_4) | instskip(SKIP_1) | instid1(VALU_DEP_2)
	v_dual_fmac_f32 v34, 0x32a5705f, v32 :: v_dual_sub_f32 v33, v33, v35
	v_cvt_i32_f32_e32 v35, v35
	v_dual_add_f32 v33, v33, v34 :: v_dual_sub_f32 v34, v59, v81
	s_delay_alu instid0(VALU_DEP_1) | instskip(NEXT) | instid1(VALU_DEP_1)
	v_exp_f32_e32 v33, v33
	v_mul_f32_e32 v40, 0x3fb8aa3b, v34
	v_cmp_ngt_f32_e64 s6, 0xc2ce8ed0, v34
	v_cmp_nlt_f32_e64 s7, 0x42b17218, v34
	s_delay_alu instid0(VALU_DEP_3)
	v_fma_f32 v41, 0x3fb8aa3b, v34, -v40
	v_rndne_f32_e32 v42, v40
	s_waitcnt_depctr 0xfff
	v_ldexp_f32 v33, v33, v35
	v_fmac_f32_e32 v41, 0x32a5705f, v34
	v_sub_f32_e32 v40, v40, v42
	v_cvt_i32_f32_e32 v35, v42
	s_delay_alu instid0(VALU_DEP_4) | instskip(NEXT) | instid1(VALU_DEP_3)
	v_cndmask_b32_e64 v33, 0, v33, s4
	v_add_f32_e32 v40, v40, v41
	s_delay_alu instid0(VALU_DEP_2) | instskip(NEXT) | instid1(VALU_DEP_2)
	v_cndmask_b32_e64 v93, 0x7f800000, v33, s5
	v_exp_f32_e32 v32, v40
	s_waitcnt_depctr 0xfff
	v_ldexp_f32 v32, v32, v35
	s_delay_alu instid0(VALU_DEP_1) | instskip(NEXT) | instid1(VALU_DEP_1)
	v_cndmask_b32_e64 v32, 0, v32, s6
	v_cndmask_b32_e64 v114, 0x7f800000, v32, s7
	ds_bpermute_b32 v32, v253, v93
	ds_bpermute_b32 v34, v253, v114
	s_waitcnt lgkmcnt(1)
	v_cndmask_b32_e32 v33, v93, v32, vcc_lo
	v_cndmask_b32_e64 v32, v93, v32, s1
	s_delay_alu instid0(VALU_DEP_2) | instskip(NEXT) | instid1(VALU_DEP_2)
	v_cndmask_b32_e64 v40, v33, v114, s3
	v_cndmask_b32_e64 v35, v32, v114, s2
	v_cvt_f16_f32_e32 v32, v32
	v_cvt_f16_f32_e32 v33, v33
	s_waitcnt lgkmcnt(0)
	s_delay_alu instid0(VALU_DEP_3) | instskip(SKIP_1) | instid1(VALU_DEP_3)
	v_cndmask_b32_e64 v35, v35, v34, s1
	v_cndmask_b32_e32 v34, v40, v34, vcc_lo
	v_pack_b32_f16 v96, v32, v33
	v_sub_f32_e32 v32, v58, v81
	s_delay_alu instid0(VALU_DEP_4) | instskip(NEXT) | instid1(VALU_DEP_4)
	v_cvt_f16_f32_e32 v40, v35
	v_cvt_f16_f32_e32 v41, v34
	s_delay_alu instid0(VALU_DEP_3) | instskip(SKIP_2) | instid1(VALU_DEP_4)
	v_mul_f32_e32 v33, 0x3fb8aa3b, v32
	v_cmp_ngt_f32_e64 s4, 0xc2ce8ed0, v32
	v_cmp_nlt_f32_e64 s5, 0x42b17218, v32
	v_pack_b32_f16 v97, v40, v41
	s_delay_alu instid0(VALU_DEP_4) | instskip(SKIP_1) | instid1(VALU_DEP_1)
	v_fma_f32 v40, 0x3fb8aa3b, v32, -v33
	v_rndne_f32_e32 v41, v33
	v_dual_fmac_f32 v40, 0x32a5705f, v32 :: v_dual_sub_f32 v33, v33, v41
	s_delay_alu instid0(VALU_DEP_1) | instskip(SKIP_1) | instid1(VALU_DEP_2)
	v_add_f32_e32 v33, v33, v40
	v_cvt_i32_f32_e32 v40, v41
	v_exp_f32_e32 v33, v33
	s_waitcnt_depctr 0xfff
	v_ldexp_f32 v33, v33, v40
	s_delay_alu instid0(VALU_DEP_1) | instskip(NEXT) | instid1(VALU_DEP_1)
	v_cndmask_b32_e64 v32, 0, v33, s4
	v_cndmask_b32_e64 v115, 0x7f800000, v32, s5
	s_delay_alu instid0(VALU_DEP_1) | instskip(SKIP_3) | instid1(VALU_DEP_1)
	v_cndmask_b32_e64 v33, v34, v115, s3
	ds_bpermute_b32 v34, v253, v115
	v_cndmask_b32_e64 v32, v35, v115, s2
	s_waitcnt lgkmcnt(0)
	v_cndmask_b32_e64 v32, v32, v34, s1
	v_cndmask_b32_e32 v33, v33, v34, vcc_lo
	s_delay_alu instid0(VALU_DEP_2) | instskip(NEXT) | instid1(VALU_DEP_2)
	v_cvt_f16_f32_e32 v34, v32
	v_cvt_f16_f32_e32 v35, v33
	s_delay_alu instid0(VALU_DEP_1) | instskip(SKIP_1) | instid1(VALU_DEP_1)
	v_pack_b32_f16 v98, v34, v35
	v_sub_f32_e32 v34, v56, v81
	v_mul_f32_e32 v35, 0x3fb8aa3b, v34
	v_cmp_ngt_f32_e64 s4, 0xc2ce8ed0, v34
	v_cmp_nlt_f32_e64 s5, 0x42b17218, v34
	s_delay_alu instid0(VALU_DEP_3) | instskip(SKIP_1) | instid1(VALU_DEP_1)
	v_fma_f32 v40, 0x3fb8aa3b, v34, -v35
	v_rndne_f32_e32 v41, v35
	v_dual_fmac_f32 v40, 0x32a5705f, v34 :: v_dual_sub_f32 v35, v35, v41
	s_delay_alu instid0(VALU_DEP_1) | instskip(SKIP_1) | instid1(VALU_DEP_2)
	v_add_f32_e32 v35, v35, v40
	v_cvt_i32_f32_e32 v40, v41
	v_exp_f32_e32 v35, v35
	s_waitcnt_depctr 0xfff
	v_ldexp_f32 v35, v35, v40
	s_delay_alu instid0(VALU_DEP_1) | instskip(NEXT) | instid1(VALU_DEP_1)
	v_cndmask_b32_e64 v34, 0, v35, s4
	v_cndmask_b32_e64 v116, 0x7f800000, v34, s5
	ds_bpermute_b32 v34, v253, v116
	v_cndmask_b32_e64 v32, v32, v116, s2
	v_cndmask_b32_e64 v33, v33, v116, s3
	s_waitcnt lgkmcnt(0)
	s_delay_alu instid0(VALU_DEP_2) | instskip(NEXT) | instid1(VALU_DEP_2)
	v_cndmask_b32_e64 v32, v32, v34, s1
	v_cndmask_b32_e32 v33, v33, v34, vcc_lo
	s_delay_alu instid0(VALU_DEP_2) | instskip(NEXT) | instid1(VALU_DEP_2)
	v_cvt_f16_f32_e32 v34, v32
	v_cvt_f16_f32_e32 v35, v33
	s_delay_alu instid0(VALU_DEP_1) | instskip(SKIP_1) | instid1(VALU_DEP_1)
	v_pack_b32_f16 v99, v34, v35
	v_sub_f32_e32 v34, v39, v81
	v_mul_f32_e32 v35, 0x3fb8aa3b, v34
	v_cmp_ngt_f32_e64 s4, 0xc2ce8ed0, v34
	v_cmp_nlt_f32_e64 s5, 0x42b17218, v34
	s_delay_alu instid0(VALU_DEP_3) | instskip(SKIP_1) | instid1(VALU_DEP_2)
	v_fma_f32 v39, 0x3fb8aa3b, v34, -v35
	v_rndne_f32_e32 v40, v35
	v_fmac_f32_e32 v39, 0x32a5705f, v34
	s_delay_alu instid0(VALU_DEP_2) | instskip(NEXT) | instid1(VALU_DEP_1)
	v_sub_f32_e32 v35, v35, v40
	v_add_f32_e32 v35, v35, v39
	v_cvt_i32_f32_e32 v39, v40
	s_delay_alu instid0(VALU_DEP_2) | instskip(SKIP_2) | instid1(VALU_DEP_1)
	v_exp_f32_e32 v35, v35
	s_waitcnt_depctr 0xfff
	v_ldexp_f32 v35, v35, v39
	v_cndmask_b32_e64 v34, 0, v35, s4
	s_delay_alu instid0(VALU_DEP_1) | instskip(SKIP_4) | instid1(VALU_DEP_2)
	v_cndmask_b32_e64 v117, 0x7f800000, v34, s5
	ds_bpermute_b32 v34, v253, v117
	v_cndmask_b32_e64 v32, v32, v117, s2
	v_cndmask_b32_e64 v33, v33, v117, s3
	s_waitcnt lgkmcnt(0)
	v_cndmask_b32_e64 v32, v32, v34, s1
	s_delay_alu instid0(VALU_DEP_2) | instskip(NEXT) | instid1(VALU_DEP_2)
	v_cndmask_b32_e32 v33, v33, v34, vcc_lo
	v_cvt_f16_f32_e32 v34, v32
	s_delay_alu instid0(VALU_DEP_2) | instskip(NEXT) | instid1(VALU_DEP_1)
	v_cvt_f16_f32_e32 v35, v33
	v_pack_b32_f16 v100, v34, v35
	v_sub_f32_e32 v34, v38, v81
	s_delay_alu instid0(VALU_DEP_1) | instskip(SKIP_2) | instid1(VALU_DEP_3)
	v_mul_f32_e32 v35, 0x3fb8aa3b, v34
	v_cmp_ngt_f32_e64 s4, 0xc2ce8ed0, v34
	v_cmp_nlt_f32_e64 s5, 0x42b17218, v34
	v_fma_f32 v38, 0x3fb8aa3b, v34, -v35
	v_rndne_f32_e32 v39, v35
	s_delay_alu instid0(VALU_DEP_1) | instskip(NEXT) | instid1(VALU_DEP_1)
	v_dual_fmac_f32 v38, 0x32a5705f, v34 :: v_dual_sub_f32 v35, v35, v39
	v_add_f32_e32 v35, v35, v38
	v_cvt_i32_f32_e32 v38, v39
	s_delay_alu instid0(VALU_DEP_2) | instskip(SKIP_2) | instid1(VALU_DEP_1)
	v_exp_f32_e32 v35, v35
	s_waitcnt_depctr 0xfff
	v_ldexp_f32 v35, v35, v38
	v_cndmask_b32_e64 v34, 0, v35, s4
	s_delay_alu instid0(VALU_DEP_1) | instskip(SKIP_4) | instid1(VALU_DEP_2)
	v_cndmask_b32_e64 v118, 0x7f800000, v34, s5
	ds_bpermute_b32 v34, v253, v118
	v_cndmask_b32_e64 v32, v32, v118, s2
	v_cndmask_b32_e64 v33, v33, v118, s3
	s_waitcnt lgkmcnt(0)
	v_cndmask_b32_e64 v32, v32, v34, s1
	s_delay_alu instid0(VALU_DEP_2) | instskip(NEXT) | instid1(VALU_DEP_2)
	v_cndmask_b32_e32 v33, v33, v34, vcc_lo
	v_cvt_f16_f32_e32 v34, v32
	s_delay_alu instid0(VALU_DEP_2) | instskip(NEXT) | instid1(VALU_DEP_1)
	v_cvt_f16_f32_e32 v35, v33
	v_pack_b32_f16 v101, v34, v35
	v_sub_f32_e32 v34, v37, v81
	s_delay_alu instid0(VALU_DEP_1) | instskip(SKIP_2) | instid1(VALU_DEP_3)
	v_mul_f32_e32 v35, 0x3fb8aa3b, v34
	v_cmp_ngt_f32_e64 s4, 0xc2ce8ed0, v34
	v_cmp_nlt_f32_e64 s5, 0x42b17218, v34
	v_fma_f32 v37, 0x3fb8aa3b, v34, -v35
	v_rndne_f32_e32 v38, v35
	s_delay_alu instid0(VALU_DEP_2) | instskip(NEXT) | instid1(VALU_DEP_2)
	v_fmac_f32_e32 v37, 0x32a5705f, v34
	v_sub_f32_e32 v35, v35, v38
	s_delay_alu instid0(VALU_DEP_1) | instskip(SKIP_2) | instid1(VALU_DEP_3)
	v_add_f32_e32 v35, v35, v37
	v_cvt_i32_f32_e32 v37, v38
	v_add_nc_u32_e32 v38, 0x1c00, v138
	v_exp_f32_e32 v35, v35
	s_waitcnt_depctr 0xfff
	v_ldexp_f32 v35, v35, v37
	s_delay_alu instid0(VALU_DEP_1) | instskip(NEXT) | instid1(VALU_DEP_1)
	v_cndmask_b32_e64 v34, 0, v35, s4
	v_cndmask_b32_e64 v119, 0x7f800000, v34, s5
	ds_bpermute_b32 v34, v253, v119
	v_cndmask_b32_e64 v32, v32, v119, s2
	v_cndmask_b32_e64 v33, v33, v119, s3
	s_waitcnt lgkmcnt(0)
	s_delay_alu instid0(VALU_DEP_2) | instskip(NEXT) | instid1(VALU_DEP_2)
	v_cndmask_b32_e64 v32, v32, v34, s1
	v_cndmask_b32_e32 v33, v33, v34, vcc_lo
	s_delay_alu instid0(VALU_DEP_2) | instskip(NEXT) | instid1(VALU_DEP_2)
	v_cvt_f16_f32_e32 v34, v32
	v_cvt_f16_f32_e32 v35, v33
	s_delay_alu instid0(VALU_DEP_1) | instskip(SKIP_1) | instid1(VALU_DEP_1)
	v_pack_b32_f16 v102, v34, v35
	v_sub_f32_e32 v34, v36, v81
	v_mul_f32_e32 v35, 0x3fb8aa3b, v34
	v_cmp_ngt_f32_e64 s4, 0xc2ce8ed0, v34
	v_cmp_nlt_f32_e64 s5, 0x42b17218, v34
	s_delay_alu instid0(VALU_DEP_3) | instskip(SKIP_1) | instid1(VALU_DEP_1)
	v_fma_f32 v36, 0x3fb8aa3b, v34, -v35
	v_rndne_f32_e32 v37, v35
	v_dual_fmac_f32 v36, 0x32a5705f, v34 :: v_dual_sub_f32 v35, v35, v37
	s_delay_alu instid0(VALU_DEP_1) | instskip(SKIP_2) | instid1(VALU_DEP_3)
	v_add_f32_e32 v35, v35, v36
	v_cvt_i32_f32_e32 v36, v37
	v_add_nc_u32_e32 v37, 0x1a00, v138
	v_exp_f32_e32 v35, v35
	s_waitcnt_depctr 0xfff
	v_ldexp_f32 v35, v35, v36
	v_add_nc_u32_e32 v36, 0x1800, v138
	s_delay_alu instid0(VALU_DEP_2) | instskip(SKIP_1) | instid1(VALU_DEP_2)
	v_cndmask_b32_e64 v34, 0, v35, s4
	v_add_nc_u32_e32 v35, 0x1400, v138
	v_cndmask_b32_e64 v120, 0x7f800000, v34, s5
	ds_bpermute_b32 v34, v253, v120
	v_cndmask_b32_e64 v32, v32, v120, s2
	v_cndmask_b32_e64 v33, v33, v120, s3
	s_waitcnt lgkmcnt(0)
	s_delay_alu instid0(VALU_DEP_2) | instskip(NEXT) | instid1(VALU_DEP_2)
	v_cndmask_b32_e64 v32, v32, v34, s1
	v_cndmask_b32_e32 v33, v33, v34, vcc_lo
	s_delay_alu instid0(VALU_DEP_2) | instskip(NEXT) | instid1(VALU_DEP_2)
	v_cvt_f16_f32_e32 v32, v32
	v_cvt_f16_f32_e32 v33, v33
	s_delay_alu instid0(VALU_DEP_1)
	v_pack_b32_f16 v103, v32, v33
	v_add_nc_u32_e32 v32, 0x1200, v138
	ds_load_2addr_b32 v[40:41], v32 offset0:120 offset1:140
	ds_load_2addr_b32 v[42:43], v94 offset0:112 offset1:132
	ds_load_2addr_b32 v[44:45], v94 offset0:180 offset1:200
	scratch_load_b32 v34, off, off offset:540 ; 4-byte Folded Reload
	s_waitcnt vmcnt(0)
	ds_load_b32 v32, v34 offset:1088
	ds_load_2addr_b32 v[46:47], v35 offset0:60 offset1:148
	ds_load_2addr_b32 v[48:49], v35 offset0:196 offset1:216
	ds_load_2addr_b32 v[50:51], v36 offset0:8 offset1:28
	ds_load_b32 v33, v34 offset:2176
	ds_load_2addr_b32 v[52:53], v36 offset0:76 offset1:164
	ds_load_2addr_b32 v[54:55], v36 offset0:212 offset1:232
	ds_load_2addr_b32 v[56:57], v38 offset0:24 offset1:44
	;; [unrolled: 4-line block ×3, first 2 shown]
	s_waitcnt lgkmcnt(13)
	v_perm_b32 v121, v43, v65, 0x5040100
	s_waitcnt lgkmcnt(12)
	v_perm_b32 v122, v41, v45, 0x5040100
	;; [unrolled: 2-line block ×8, first 2 shown]
	s_delay_alu instid0(VALU_DEP_1)
	v_wmma_f16_16x16x16_f16 v[24:31], v[121:128], v[96:103], v[24:31]
	v_perm_b32 v121, v43, v65, 0x7060302
	v_perm_b32 v128, v63, v61, 0x7060302
	ds_load_2addr_b32 v[63:64], v94 offset0:80 offset1:96
	ds_load_2addr_b32 v[65:66], v94 offset0:148 offset1:164
	;; [unrolled: 1-line block ×4, first 2 shown]
	scratch_load_b32 v39, off, off offset:572 ; 4-byte Folded Reload
	v_perm_b32 v123, v47, v32, 0x7060302
	v_perm_b32 v125, v53, v33, 0x7060302
	;; [unrolled: 1-line block ×6, first 2 shown]
	s_waitcnt vmcnt(0)
	ds_load_b32 v41, v39 offset:1088
	ds_load_2addr_b32 v[107:108], v35 offset0:164 offset1:180
	v_wmma_f16_16x16x16_f16 v[24:31], v[121:128], v[96:103], v[24:31] op_sel:[0,0,1]
	ds_load_2addr_b32 v[109:110], v35 offset0:232 offset1:248
	ds_load_2addr_b32 v[121:122], v36 offset0:44 offset1:60
	ds_load_b32 v43, v39 offset:2176
	ds_load_2addr_b32 v[123:124], v36 offset0:180 offset1:196
	ds_load_2addr_b32 v[125:126], v37 offset0:120 offset1:136
	;; [unrolled: 1-line block ×3, first 2 shown]
	ds_load_b32 v45, v39 offset:3264
	ds_load_2addr_b32 v[129:130], v38 offset0:196 offset1:212
	ds_load_2addr_b32 v[131:132], v106 offset0:8 offset1:24
	;; [unrolled: 1-line block ×3, first 2 shown]
	s_waitcnt lgkmcnt(14)
	v_perm_b32 v32, v65, v63, 0x5040100
	s_waitcnt lgkmcnt(12)
	v_perm_b32 v33, v69, v67, 0x5040100
	v_add_nc_u32_e32 v94, 0x2400, v138
	s_waitcnt lgkmcnt(10)
	v_perm_b32 v34, v107, v41, 0x5040100
	s_waitcnt lgkmcnt(8)
	v_perm_b32 v35, v121, v109, 0x5040100
	;; [unrolled: 2-line block ×6, first 2 shown]
	s_delay_alu instid0(VALU_DEP_1)
	v_wmma_f16_16x16x16_f16 v[16:23], v[32:39], v[96:103], v[16:23]
	v_perm_b32 v34, v107, v41, 0x7060302
	v_perm_b32 v36, v123, v43, 0x7060302
	;; [unrolled: 1-line block ×8, first 2 shown]
	v_add_nc_u32_e32 v107, 0x2c00, v138
	v_add_nc_u32_e32 v65, 0x3000, v138
	s_delay_alu instid0(VALU_DEP_3)
	v_wmma_f16_16x16x16_f16 v[16:23], v[32:39], v[96:103], v[16:23] op_sel:[0,0,1]
	scratch_load_b32 v38, off, off offset:604 ; 4-byte Folded Reload
	v_perm_b32 v32, v66, v64, 0x5040100
	v_perm_b32 v33, v70, v68, 0x5040100
	;; [unrolled: 1-line block ×5, first 2 shown]
	s_waitcnt vmcnt(0)
	ds_load_b32 v41, v38 offset:1088
	ds_load_b32 v43, v38 offset:2176
	;; [unrolled: 1-line block ×3, first 2 shown]
	s_waitcnt lgkmcnt(2)
	v_perm_b32 v34, v108, v41, 0x5040100
	s_waitcnt lgkmcnt(1)
	v_perm_b32 v36, v124, v43, 0x5040100
	;; [unrolled: 2-line block ×3, first 2 shown]
	s_delay_alu instid0(VALU_DEP_1)
	v_wmma_f16_16x16x16_f16 v[8:15], v[32:39], v[96:103], v[8:15]
	v_perm_b32 v32, v66, v64, 0x7060302
	v_perm_b32 v33, v70, v68, 0x7060302
	;; [unrolled: 1-line block ×8, first 2 shown]
	ds_load_2addr_b32 v[63:64], v106 offset0:108 offset1:128
	v_wmma_f16_16x16x16_f16 v[8:15], v[32:39], v[96:103], v[8:15] op_sel:[0,0,1]
	scratch_load_b32 v38, off, off offset:624 ; 4-byte Folded Reload
	v_perm_b32 v32, v44, v42, 0x5040100
	v_perm_b32 v33, v46, v40, 0x5040100
	;; [unrolled: 1-line block ×4, first 2 shown]
	s_waitcnt lgkmcnt(0)
	v_perm_b32 v39, v63, v62, 0x5040100
	s_waitcnt vmcnt(0)
	ds_load_b32 v41, v38 offset:1088
	ds_load_b32 v43, v38 offset:2176
	;; [unrolled: 1-line block ×3, first 2 shown]
	s_waitcnt lgkmcnt(2)
	v_perm_b32 v34, v48, v41, 0x5040100
	s_waitcnt lgkmcnt(1)
	v_perm_b32 v36, v54, v43, 0x5040100
	;; [unrolled: 2-line block ×3, first 2 shown]
	s_delay_alu instid0(VALU_DEP_1)
	v_wmma_f16_16x16x16_f16 v[0:7], v[32:39], v[96:103], v[0:7]
	v_perm_b32 v32, v44, v42, 0x7060302
	v_perm_b32 v33, v46, v40, 0x7060302
	;; [unrolled: 1-line block ×8, first 2 shown]
	s_delay_alu instid0(VALU_DEP_1) | instskip(SKIP_2) | instid1(VALU_DEP_2)
	v_wmma_f16_16x16x16_f16 v[0:7], v[32:39], v[96:103], v[0:7] op_sel:[0,0,1]
	v_sub_f32_e32 v32, v105, v81
	v_add_nc_u32_e32 v100, 0x2800, v138
	v_mul_f32_e32 v33, 0x3fb8aa3b, v32
	v_cmp_ngt_f32_e64 s4, 0xc2ce8ed0, v32
	v_cmp_nlt_f32_e64 s5, 0x42b17218, v32
	s_delay_alu instid0(VALU_DEP_3) | instskip(SKIP_1) | instid1(VALU_DEP_1)
	v_fma_f32 v34, 0x3fb8aa3b, v32, -v33
	v_rndne_f32_e32 v35, v33
	v_dual_fmac_f32 v34, 0x32a5705f, v32 :: v_dual_sub_f32 v33, v33, v35
	v_cvt_i32_f32_e32 v35, v35
	s_delay_alu instid0(VALU_DEP_2) | instskip(NEXT) | instid1(VALU_DEP_1)
	v_dual_add_f32 v33, v33, v34 :: v_dual_sub_f32 v34, v104, v81
	v_exp_f32_e32 v33, v33
	s_delay_alu instid0(VALU_DEP_1) | instskip(SKIP_2) | instid1(VALU_DEP_3)
	v_mul_f32_e32 v36, 0x3fb8aa3b, v34
	v_cmp_ngt_f32_e64 s6, 0xc2ce8ed0, v34
	v_cmp_nlt_f32_e64 s7, 0x42b17218, v34
	v_fma_f32 v37, 0x3fb8aa3b, v34, -v36
	v_rndne_f32_e32 v38, v36
	s_waitcnt_depctr 0xfff
	v_ldexp_f32 v33, v33, v35
	v_fmac_f32_e32 v37, 0x32a5705f, v34
	v_sub_f32_e32 v36, v36, v38
	v_cvt_i32_f32_e32 v35, v38
	s_delay_alu instid0(VALU_DEP_4) | instskip(NEXT) | instid1(VALU_DEP_3)
	v_cndmask_b32_e64 v33, 0, v33, s4
	v_add_f32_e32 v36, v36, v37
	s_delay_alu instid0(VALU_DEP_2) | instskip(NEXT) | instid1(VALU_DEP_2)
	v_cndmask_b32_e64 v121, 0x7f800000, v33, s5
	v_exp_f32_e32 v32, v36
	s_waitcnt_depctr 0xfff
	v_ldexp_f32 v32, v32, v35
	s_delay_alu instid0(VALU_DEP_1) | instskip(NEXT) | instid1(VALU_DEP_1)
	v_cndmask_b32_e64 v32, 0, v32, s6
	v_cndmask_b32_e64 v122, 0x7f800000, v32, s7
	ds_bpermute_b32 v32, v253, v121
	ds_bpermute_b32 v34, v253, v122
	s_waitcnt lgkmcnt(1)
	v_cndmask_b32_e32 v33, v121, v32, vcc_lo
	v_cndmask_b32_e64 v32, v121, v32, s1
	s_delay_alu instid0(VALU_DEP_2) | instskip(NEXT) | instid1(VALU_DEP_2)
	v_cndmask_b32_e64 v36, v33, v122, s3
	v_cndmask_b32_e64 v35, v32, v122, s2
	v_cvt_f16_f32_e32 v32, v32
	v_cvt_f16_f32_e32 v33, v33
	s_waitcnt lgkmcnt(0)
	s_delay_alu instid0(VALU_DEP_3) | instskip(SKIP_1) | instid1(VALU_DEP_3)
	v_cndmask_b32_e64 v35, v35, v34, s1
	v_cndmask_b32_e32 v34, v36, v34, vcc_lo
	v_pack_b32_f16 v32, v32, v33
	s_delay_alu instid0(VALU_DEP_3) | instskip(NEXT) | instid1(VALU_DEP_3)
	v_cvt_f16_f32_e32 v36, v35
	v_cvt_f16_f32_e32 v37, v34
	s_delay_alu instid0(VALU_DEP_1) | instskip(SKIP_1) | instid1(VALU_DEP_1)
	v_pack_b32_f16 v33, v36, v37
	v_sub_f32_e32 v36, v91, v81
	v_mul_f32_e32 v37, 0x3fb8aa3b, v36
	v_cmp_ngt_f32_e64 s4, 0xc2ce8ed0, v36
	v_cmp_nlt_f32_e64 s5, 0x42b17218, v36
	s_delay_alu instid0(VALU_DEP_3) | instskip(SKIP_1) | instid1(VALU_DEP_1)
	v_fma_f32 v38, 0x3fb8aa3b, v36, -v37
	v_rndne_f32_e32 v39, v37
	v_dual_fmac_f32 v38, 0x32a5705f, v36 :: v_dual_sub_f32 v37, v37, v39
	s_delay_alu instid0(VALU_DEP_1) | instskip(SKIP_1) | instid1(VALU_DEP_2)
	v_add_f32_e32 v37, v37, v38
	v_cvt_i32_f32_e32 v38, v39
	v_exp_f32_e32 v37, v37
	s_waitcnt_depctr 0xfff
	v_ldexp_f32 v37, v37, v38
	s_delay_alu instid0(VALU_DEP_1) | instskip(NEXT) | instid1(VALU_DEP_1)
	v_cndmask_b32_e64 v36, 0, v37, s4
	v_cndmask_b32_e64 v123, 0x7f800000, v36, s5
	ds_bpermute_b32 v36, v253, v123
	v_cndmask_b32_e64 v35, v35, v123, s2
	v_cndmask_b32_e64 v34, v34, v123, s3
	s_waitcnt lgkmcnt(0)
	s_delay_alu instid0(VALU_DEP_2) | instskip(NEXT) | instid1(VALU_DEP_2)
	v_cndmask_b32_e64 v35, v35, v36, s1
	v_cndmask_b32_e32 v36, v34, v36, vcc_lo
	s_delay_alu instid0(VALU_DEP_2) | instskip(NEXT) | instid1(VALU_DEP_2)
	v_cvt_f16_f32_e32 v34, v35
	v_cvt_f16_f32_e32 v37, v36
	s_delay_alu instid0(VALU_DEP_1) | instskip(SKIP_1) | instid1(VALU_DEP_1)
	v_pack_b32_f16 v34, v34, v37
	v_sub_f32_e32 v37, v90, v81
	v_mul_f32_e32 v38, 0x3fb8aa3b, v37
	v_cmp_ngt_f32_e64 s4, 0xc2ce8ed0, v37
	v_cmp_nlt_f32_e64 s5, 0x42b17218, v37
	s_delay_alu instid0(VALU_DEP_3) | instskip(SKIP_1) | instid1(VALU_DEP_1)
	v_fma_f32 v39, 0x3fb8aa3b, v37, -v38
	v_rndne_f32_e32 v40, v38
	v_dual_fmac_f32 v39, 0x32a5705f, v37 :: v_dual_sub_f32 v38, v38, v40
	s_delay_alu instid0(VALU_DEP_1) | instskip(SKIP_1) | instid1(VALU_DEP_2)
	v_add_f32_e32 v38, v38, v39
	v_cvt_i32_f32_e32 v39, v40
	v_exp_f32_e32 v38, v38
	s_waitcnt_depctr 0xfff
	v_ldexp_f32 v38, v38, v39
	s_delay_alu instid0(VALU_DEP_1) | instskip(NEXT) | instid1(VALU_DEP_1)
	v_cndmask_b32_e64 v37, 0, v38, s4
	v_cndmask_b32_e64 v124, 0x7f800000, v37, s5
	ds_bpermute_b32 v37, v253, v124
	v_cndmask_b32_e64 v35, v35, v124, s2
	v_cndmask_b32_e64 v36, v36, v124, s3
	s_waitcnt lgkmcnt(0)
	s_delay_alu instid0(VALU_DEP_2) | instskip(NEXT) | instid1(VALU_DEP_2)
	v_cndmask_b32_e64 v38, v35, v37, s1
	v_cndmask_b32_e32 v36, v36, v37, vcc_lo
	s_delay_alu instid0(VALU_DEP_2) | instskip(NEXT) | instid1(VALU_DEP_2)
	v_cvt_f16_f32_e32 v35, v38
	v_cvt_f16_f32_e32 v37, v36
	s_delay_alu instid0(VALU_DEP_1) | instskip(SKIP_1) | instid1(VALU_DEP_1)
	v_pack_b32_f16 v35, v35, v37
	v_sub_f32_e32 v37, v89, v81
	v_mul_f32_e32 v39, 0x3fb8aa3b, v37
	v_cmp_ngt_f32_e64 s4, 0xc2ce8ed0, v37
	v_cmp_nlt_f32_e64 s5, 0x42b17218, v37
	s_delay_alu instid0(VALU_DEP_3) | instskip(SKIP_1) | instid1(VALU_DEP_2)
	v_fma_f32 v40, 0x3fb8aa3b, v37, -v39
	v_rndne_f32_e32 v41, v39
	v_fmac_f32_e32 v40, 0x32a5705f, v37
	s_delay_alu instid0(VALU_DEP_2) | instskip(NEXT) | instid1(VALU_DEP_1)
	v_sub_f32_e32 v39, v39, v41
	v_add_f32_e32 v39, v39, v40
	v_cvt_i32_f32_e32 v40, v41
	s_delay_alu instid0(VALU_DEP_2) | instskip(SKIP_2) | instid1(VALU_DEP_1)
	v_exp_f32_e32 v39, v39
	s_waitcnt_depctr 0xfff
	v_ldexp_f32 v39, v39, v40
	v_cndmask_b32_e64 v37, 0, v39, s4
	s_delay_alu instid0(VALU_DEP_1) | instskip(NEXT) | instid1(VALU_DEP_1)
	v_cndmask_b32_e64 v125, 0x7f800000, v37, s5
	v_cndmask_b32_e64 v37, v38, v125, s2
	ds_bpermute_b32 v38, v253, v125
	v_cndmask_b32_e64 v36, v36, v125, s3
	s_waitcnt lgkmcnt(0)
	v_cndmask_b32_e64 v37, v37, v38, s1
	s_delay_alu instid0(VALU_DEP_2) | instskip(NEXT) | instid1(VALU_DEP_2)
	v_cndmask_b32_e32 v38, v36, v38, vcc_lo
	v_cvt_f16_f32_e32 v36, v37
	s_delay_alu instid0(VALU_DEP_2) | instskip(NEXT) | instid1(VALU_DEP_1)
	v_cvt_f16_f32_e32 v39, v38
	v_pack_b32_f16 v36, v36, v39
	v_sub_f32_e32 v39, v88, v81
	s_delay_alu instid0(VALU_DEP_1) | instskip(SKIP_2) | instid1(VALU_DEP_3)
	v_mul_f32_e32 v40, 0x3fb8aa3b, v39
	v_cmp_ngt_f32_e64 s4, 0xc2ce8ed0, v39
	v_cmp_nlt_f32_e64 s5, 0x42b17218, v39
	v_fma_f32 v41, 0x3fb8aa3b, v39, -v40
	v_rndne_f32_e32 v42, v40
	s_delay_alu instid0(VALU_DEP_1) | instskip(NEXT) | instid1(VALU_DEP_1)
	v_dual_fmac_f32 v41, 0x32a5705f, v39 :: v_dual_sub_f32 v40, v40, v42
	v_add_f32_e32 v40, v40, v41
	v_cvt_i32_f32_e32 v41, v42
	s_delay_alu instid0(VALU_DEP_2) | instskip(SKIP_2) | instid1(VALU_DEP_1)
	v_exp_f32_e32 v40, v40
	s_waitcnt_depctr 0xfff
	v_ldexp_f32 v40, v40, v41
	v_cndmask_b32_e64 v39, 0, v40, s4
	s_delay_alu instid0(VALU_DEP_1) | instskip(SKIP_4) | instid1(VALU_DEP_2)
	v_cndmask_b32_e64 v126, 0x7f800000, v39, s5
	ds_bpermute_b32 v39, v253, v126
	v_cndmask_b32_e64 v37, v37, v126, s2
	v_cndmask_b32_e64 v38, v38, v126, s3
	s_waitcnt lgkmcnt(0)
	v_cndmask_b32_e64 v40, v37, v39, s1
	s_delay_alu instid0(VALU_DEP_2) | instskip(NEXT) | instid1(VALU_DEP_2)
	v_cndmask_b32_e32 v38, v38, v39, vcc_lo
	v_cvt_f16_f32_e32 v37, v40
	s_delay_alu instid0(VALU_DEP_2) | instskip(NEXT) | instid1(VALU_DEP_1)
	v_cvt_f16_f32_e32 v39, v38
	v_pack_b32_f16 v37, v37, v39
	v_sub_f32_e32 v39, v80, v81
	s_delay_alu instid0(VALU_DEP_1) | instskip(SKIP_2) | instid1(VALU_DEP_3)
	v_mul_f32_e32 v41, 0x3fb8aa3b, v39
	v_cmp_ngt_f32_e64 s4, 0xc2ce8ed0, v39
	v_cmp_nlt_f32_e64 s5, 0x42b17218, v39
	v_fma_f32 v42, 0x3fb8aa3b, v39, -v41
	v_rndne_f32_e32 v43, v41
	s_delay_alu instid0(VALU_DEP_2) | instskip(NEXT) | instid1(VALU_DEP_2)
	v_fmac_f32_e32 v42, 0x32a5705f, v39
	v_sub_f32_e32 v41, v41, v43
	s_delay_alu instid0(VALU_DEP_1) | instskip(SKIP_1) | instid1(VALU_DEP_2)
	v_add_f32_e32 v41, v41, v42
	v_cvt_i32_f32_e32 v42, v43
	v_exp_f32_e32 v41, v41
	s_waitcnt_depctr 0xfff
	v_ldexp_f32 v41, v41, v42
	s_delay_alu instid0(VALU_DEP_1) | instskip(NEXT) | instid1(VALU_DEP_1)
	v_cndmask_b32_e64 v39, 0, v41, s4
	v_cndmask_b32_e64 v127, 0x7f800000, v39, s5
	s_delay_alu instid0(VALU_DEP_1) | instskip(SKIP_4) | instid1(VALU_DEP_2)
	v_cndmask_b32_e64 v39, v40, v127, s2
	ds_bpermute_b32 v40, v253, v127
	v_cndmask_b32_e64 v38, v38, v127, s3
	s_waitcnt lgkmcnt(0)
	v_cndmask_b32_e64 v39, v39, v40, s1
	v_cndmask_b32_e32 v40, v38, v40, vcc_lo
	s_delay_alu instid0(VALU_DEP_2) | instskip(NEXT) | instid1(VALU_DEP_2)
	v_cvt_f16_f32_e32 v38, v39
	v_cvt_f16_f32_e32 v41, v40
	s_delay_alu instid0(VALU_DEP_1) | instskip(SKIP_1) | instid1(VALU_DEP_1)
	v_pack_b32_f16 v38, v38, v41
	v_sub_f32_e32 v41, v79, v81
	v_mul_f32_e32 v42, 0x3fb8aa3b, v41
	v_cmp_ngt_f32_e64 s4, 0xc2ce8ed0, v41
	v_cmp_nlt_f32_e64 s5, 0x42b17218, v41
	s_delay_alu instid0(VALU_DEP_3) | instskip(SKIP_1) | instid1(VALU_DEP_1)
	v_fma_f32 v43, 0x3fb8aa3b, v41, -v42
	v_rndne_f32_e32 v44, v42
	v_dual_fmac_f32 v43, 0x32a5705f, v41 :: v_dual_sub_f32 v42, v42, v44
	s_delay_alu instid0(VALU_DEP_1) | instskip(SKIP_1) | instid1(VALU_DEP_2)
	v_add_f32_e32 v42, v42, v43
	v_cvt_i32_f32_e32 v43, v44
	v_exp_f32_e32 v42, v42
	s_waitcnt_depctr 0xfff
	v_ldexp_f32 v42, v42, v43
	s_delay_alu instid0(VALU_DEP_1) | instskip(NEXT) | instid1(VALU_DEP_1)
	v_cndmask_b32_e64 v41, 0, v42, s4
	v_cndmask_b32_e64 v128, 0x7f800000, v41, s5
	ds_bpermute_b32 v41, v253, v128
	v_cndmask_b32_e64 v39, v39, v128, s2
	v_cndmask_b32_e64 v40, v40, v128, s3
	s_waitcnt lgkmcnt(0)
	s_delay_alu instid0(VALU_DEP_2) | instskip(NEXT) | instid1(VALU_DEP_2)
	v_cndmask_b32_e64 v39, v39, v41, s1
	v_cndmask_b32_e32 v40, v40, v41, vcc_lo
	s_delay_alu instid0(VALU_DEP_2) | instskip(NEXT) | instid1(VALU_DEP_2)
	v_cvt_f16_f32_e32 v39, v39
	v_cvt_f16_f32_e32 v40, v40
	s_delay_alu instid0(VALU_DEP_1)
	v_pack_b32_f16 v39, v39, v40
	v_add_nc_u32_e32 v40, 0x2200, v138
	ds_load_2addr_b32 v[48:49], v40 offset0:116 offset1:136
	ds_load_2addr_b32 v[50:51], v106 offset0:176 offset1:196
	;; [unrolled: 1-line block ×3, first 2 shown]
	scratch_load_b32 v46, off, off offset:548 ; 4-byte Folded Reload
	s_waitcnt vmcnt(0)
	ds_load_b32 v70, v46 offset:1088
	ds_load_2addr_b32 v[54:55], v94 offset0:124 offset1:212
	ds_load_2addr_b32 v[56:57], v100 offset0:4 offset1:24
	ds_load_2addr_b32 v[58:59], v100 offset0:72 offset1:92
	ds_load_b32 v90, v46 offset:2176
	ds_load_2addr_b32 v[60:61], v100 offset0:140 offset1:228
	ds_load_2addr_b32 v[62:63], v107 offset0:20 offset1:40
	ds_load_2addr_b32 v[66:67], v107 offset0:88 offset1:108
	;; [unrolled: 4-line block ×3, first 2 shown]
	s_waitcnt lgkmcnt(13)
	v_perm_b32 v40, v51, v64, 0x5040100
	s_waitcnt lgkmcnt(12)
	v_perm_b32 v41, v53, v49, 0x5040100
	;; [unrolled: 2-line block ×8, first 2 shown]
	s_delay_alu instid0(VALU_DEP_1)
	v_wmma_f16_16x16x16_f16 v[24:31], v[40:47], v[32:39], v[24:31]
	v_perm_b32 v40, v51, v64, 0x7060302
	v_perm_b32 v42, v55, v70, 0x7060302
	;; [unrolled: 1-line block ×8, first 2 shown]
	ds_load_2addr_b32 v[63:64], v106 offset0:144 offset1:160
	ds_load_2addr_b32 v[69:70], v106 offset0:212 offset1:228
	;; [unrolled: 1-line block ×4, first 2 shown]
	v_wmma_f16_16x16x16_f16 v[24:31], v[40:47], v[32:39], v[24:31] op_sel:[0,0,1]
	scratch_load_b32 v46, off, off offset:580 ; 4-byte Folded Reload
	v_add_nc_u32_e32 v44, 0x2a00, v138
	s_waitcnt vmcnt(0)
	ds_load_b32 v49, v46 offset:1088
	ds_load_2addr_b32 v[96:97], v94 offset0:228 offset1:244
	ds_load_2addr_b32 v[98:99], v100 offset0:40 offset1:56
	ds_load_2addr_b32 v[100:101], v100 offset0:108 offset1:124
	ds_load_b32 v51, v46 offset:2176
	ds_load_2addr_b32 v[102:103], v44 offset0:116 offset1:132
	ds_load_2addr_b32 v[104:105], v107 offset0:56 offset1:72
	ds_load_2addr_b32 v[106:107], v107 offset0:124 offset1:140
	;; [unrolled: 4-line block ×3, first 2 shown]
	s_waitcnt lgkmcnt(14)
	v_perm_b32 v40, v69, v63, 0x5040100
	s_waitcnt lgkmcnt(12)
	v_perm_b32 v41, v91, v89, 0x5040100
	;; [unrolled: 2-line block ×8, first 2 shown]
	s_delay_alu instid0(VALU_DEP_1)
	v_wmma_f16_16x16x16_f16 v[16:23], v[40:47], v[32:39], v[16:23]
	v_perm_b32 v42, v96, v49, 0x7060302
	v_perm_b32 v44, v102, v51, 0x7060302
	;; [unrolled: 1-line block ×8, first 2 shown]
	v_add_nc_u32_e32 v69, 0x3800, v138
	s_delay_alu instid0(VALU_DEP_2)
	v_wmma_f16_16x16x16_f16 v[16:23], v[40:47], v[32:39], v[16:23] op_sel:[0,0,1]
	scratch_load_b32 v46, off, off offset:612 ; 4-byte Folded Reload
	v_perm_b32 v40, v70, v64, 0x5040100
	v_perm_b32 v41, v92, v90, 0x5040100
	;; [unrolled: 1-line block ×5, first 2 shown]
	s_waitcnt vmcnt(0)
	ds_load_b32 v49, v46 offset:1088
	ds_load_b32 v51, v46 offset:2176
	ds_load_b32 v53, v46 offset:3264
	s_waitcnt lgkmcnt(2)
	v_perm_b32 v42, v97, v49, 0x5040100
	s_waitcnt lgkmcnt(1)
	v_perm_b32 v44, v103, v51, 0x5040100
	s_waitcnt lgkmcnt(0)
	v_perm_b32 v46, v109, v53, 0x5040100
	s_delay_alu instid0(VALU_DEP_1)
	v_wmma_f16_16x16x16_f16 v[8:15], v[40:47], v[32:39], v[8:15]
	v_perm_b32 v40, v70, v64, 0x7060302
	v_perm_b32 v41, v92, v90, 0x7060302
	;; [unrolled: 1-line block ×8, first 2 shown]
	ds_load_2addr_b32 v[63:64], v65 offset0:172 offset1:192
	v_wmma_f16_16x16x16_f16 v[8:15], v[40:47], v[32:39], v[8:15] op_sel:[0,0,1]
	scratch_load_b32 v46, off, off offset:628 ; 4-byte Folded Reload
	v_perm_b32 v40, v48, v50, 0x5040100
	v_perm_b32 v41, v54, v52, 0x5040100
	;; [unrolled: 1-line block ×4, first 2 shown]
	s_waitcnt lgkmcnt(0)
	v_perm_b32 v47, v63, v88, 0x5040100
	s_waitcnt vmcnt(0)
	ds_load_b32 v49, v46 offset:1088
	ds_load_b32 v51, v46 offset:2176
	;; [unrolled: 1-line block ×3, first 2 shown]
	s_waitcnt lgkmcnt(2)
	v_perm_b32 v42, v56, v49, 0x5040100
	s_waitcnt lgkmcnt(1)
	v_perm_b32 v44, v62, v51, 0x5040100
	;; [unrolled: 2-line block ×3, first 2 shown]
	s_delay_alu instid0(VALU_DEP_1)
	v_wmma_f16_16x16x16_f16 v[0:7], v[40:47], v[32:39], v[0:7]
	v_perm_b32 v40, v48, v50, 0x7060302
	v_perm_b32 v41, v54, v52, 0x7060302
	;; [unrolled: 1-line block ×8, first 2 shown]
	v_add_nc_u32_e32 v66, 0x3400, v138
	v_add_nc_u32_e32 v79, 0x4000, v138
	s_delay_alu instid0(VALU_DEP_3) | instskip(SKIP_1) | instid1(VALU_DEP_1)
	v_wmma_f16_16x16x16_f16 v[0:7], v[40:47], v[32:39], v[0:7] op_sel:[0,0,1]
	v_sub_f32_e32 v32, v78, v81
	v_mul_f32_e32 v33, 0x3fb8aa3b, v32
	v_cmp_ngt_f32_e64 s4, 0xc2ce8ed0, v32
	v_cmp_nlt_f32_e64 s5, 0x42b17218, v32
	s_delay_alu instid0(VALU_DEP_3) | instskip(SKIP_1) | instid1(VALU_DEP_1)
	v_fma_f32 v34, 0x3fb8aa3b, v32, -v33
	v_rndne_f32_e32 v35, v33
	v_dual_fmac_f32 v34, 0x32a5705f, v32 :: v_dual_sub_f32 v33, v33, v35
	v_cvt_i32_f32_e32 v35, v35
	s_delay_alu instid0(VALU_DEP_2) | instskip(SKIP_1) | instid1(VALU_DEP_2)
	v_add_f32_e32 v33, v33, v34
	v_sub_f32_e32 v34, v77, v81
	v_exp_f32_e32 v33, v33
	s_delay_alu instid0(VALU_DEP_1) | instskip(SKIP_2) | instid1(VALU_DEP_3)
	v_mul_f32_e32 v36, 0x3fb8aa3b, v34
	v_cmp_ngt_f32_e64 s6, 0xc2ce8ed0, v34
	v_cmp_nlt_f32_e64 s7, 0x42b17218, v34
	v_fma_f32 v37, 0x3fb8aa3b, v34, -v36
	v_rndne_f32_e32 v38, v36
	s_waitcnt_depctr 0xfff
	v_ldexp_f32 v33, v33, v35
	v_fmac_f32_e32 v37, 0x32a5705f, v34
	v_sub_f32_e32 v36, v36, v38
	v_cvt_i32_f32_e32 v35, v38
	v_add_nc_u32_e32 v38, 0x3e00, v138
	v_cndmask_b32_e64 v33, 0, v33, s4
	s_delay_alu instid0(VALU_DEP_4) | instskip(NEXT) | instid1(VALU_DEP_2)
	v_add_f32_e32 v36, v36, v37
	v_cndmask_b32_e64 v129, 0x7f800000, v33, s5
	s_delay_alu instid0(VALU_DEP_2) | instskip(SKIP_2) | instid1(VALU_DEP_1)
	v_exp_f32_e32 v32, v36
	s_waitcnt_depctr 0xfff
	v_ldexp_f32 v32, v32, v35
	v_cndmask_b32_e64 v32, 0, v32, s6
	s_delay_alu instid0(VALU_DEP_1)
	v_cndmask_b32_e64 v130, 0x7f800000, v32, s7
	ds_bpermute_b32 v32, v253, v129
	ds_bpermute_b32 v34, v253, v130
	s_waitcnt lgkmcnt(1)
	v_cndmask_b32_e32 v33, v129, v32, vcc_lo
	v_cndmask_b32_e64 v32, v129, v32, s1
	s_delay_alu instid0(VALU_DEP_2) | instskip(NEXT) | instid1(VALU_DEP_2)
	v_cndmask_b32_e64 v36, v33, v130, s3
	v_cndmask_b32_e64 v35, v32, v130, s2
	v_cvt_f16_f32_e32 v32, v32
	v_cvt_f16_f32_e32 v33, v33
	s_waitcnt lgkmcnt(0)
	s_delay_alu instid0(VALU_DEP_3) | instskip(SKIP_1) | instid1(VALU_DEP_3)
	v_cndmask_b32_e64 v35, v35, v34, s1
	v_cndmask_b32_e32 v34, v36, v34, vcc_lo
	v_pack_b32_f16 v96, v32, v33
	v_sub_f32_e32 v32, v76, v81
	s_delay_alu instid0(VALU_DEP_4) | instskip(NEXT) | instid1(VALU_DEP_4)
	v_cvt_f16_f32_e32 v36, v35
	v_cvt_f16_f32_e32 v37, v34
	s_delay_alu instid0(VALU_DEP_3) | instskip(SKIP_2) | instid1(VALU_DEP_4)
	v_mul_f32_e32 v33, 0x3fb8aa3b, v32
	v_cmp_ngt_f32_e64 s4, 0xc2ce8ed0, v32
	v_cmp_nlt_f32_e64 s5, 0x42b17218, v32
	v_pack_b32_f16 v97, v36, v37
	s_delay_alu instid0(VALU_DEP_4) | instskip(SKIP_1) | instid1(VALU_DEP_1)
	v_fma_f32 v36, 0x3fb8aa3b, v32, -v33
	v_rndne_f32_e32 v37, v33
	v_dual_fmac_f32 v36, 0x32a5705f, v32 :: v_dual_sub_f32 v33, v33, v37
	s_delay_alu instid0(VALU_DEP_1) | instskip(SKIP_1) | instid1(VALU_DEP_2)
	v_add_f32_e32 v33, v33, v36
	v_cvt_i32_f32_e32 v36, v37
	v_exp_f32_e32 v33, v33
	s_waitcnt_depctr 0xfff
	v_ldexp_f32 v33, v33, v36
	s_delay_alu instid0(VALU_DEP_1) | instskip(NEXT) | instid1(VALU_DEP_1)
	v_cndmask_b32_e64 v32, 0, v33, s4
	v_cndmask_b32_e64 v131, 0x7f800000, v32, s5
	s_delay_alu instid0(VALU_DEP_1) | instskip(SKIP_3) | instid1(VALU_DEP_1)
	v_cndmask_b32_e64 v33, v34, v131, s3
	ds_bpermute_b32 v34, v253, v131
	v_cndmask_b32_e64 v32, v35, v131, s2
	s_waitcnt lgkmcnt(0)
	v_cndmask_b32_e64 v32, v32, v34, s1
	v_cndmask_b32_e32 v33, v33, v34, vcc_lo
	s_delay_alu instid0(VALU_DEP_2) | instskip(NEXT) | instid1(VALU_DEP_2)
	v_cvt_f16_f32_e32 v34, v32
	v_cvt_f16_f32_e32 v35, v33
	s_delay_alu instid0(VALU_DEP_1) | instskip(SKIP_1) | instid1(VALU_DEP_1)
	v_pack_b32_f16 v98, v34, v35
	v_sub_f32_e32 v34, v75, v81
	v_mul_f32_e32 v35, 0x3fb8aa3b, v34
	v_cmp_ngt_f32_e64 s4, 0xc2ce8ed0, v34
	v_cmp_nlt_f32_e64 s5, 0x42b17218, v34
	s_delay_alu instid0(VALU_DEP_3) | instskip(SKIP_1) | instid1(VALU_DEP_1)
	v_fma_f32 v36, 0x3fb8aa3b, v34, -v35
	v_rndne_f32_e32 v37, v35
	v_dual_fmac_f32 v36, 0x32a5705f, v34 :: v_dual_sub_f32 v35, v35, v37
	s_delay_alu instid0(VALU_DEP_1) | instskip(SKIP_1) | instid1(VALU_DEP_2)
	v_add_f32_e32 v35, v35, v36
	v_cvt_i32_f32_e32 v36, v37
	v_exp_f32_e32 v35, v35
	s_waitcnt_depctr 0xfff
	v_ldexp_f32 v35, v35, v36
	s_delay_alu instid0(VALU_DEP_1) | instskip(NEXT) | instid1(VALU_DEP_1)
	v_cndmask_b32_e64 v34, 0, v35, s4
	v_cndmask_b32_e64 v132, 0x7f800000, v34, s5
	ds_bpermute_b32 v34, v253, v132
	v_cndmask_b32_e64 v32, v32, v132, s2
	v_cndmask_b32_e64 v33, v33, v132, s3
	s_waitcnt lgkmcnt(0)
	s_delay_alu instid0(VALU_DEP_2) | instskip(NEXT) | instid1(VALU_DEP_2)
	v_cndmask_b32_e64 v32, v32, v34, s1
	v_cndmask_b32_e32 v33, v33, v34, vcc_lo
	s_delay_alu instid0(VALU_DEP_2) | instskip(NEXT) | instid1(VALU_DEP_2)
	v_cvt_f16_f32_e32 v34, v32
	v_cvt_f16_f32_e32 v35, v33
	s_delay_alu instid0(VALU_DEP_1) | instskip(SKIP_1) | instid1(VALU_DEP_1)
	v_pack_b32_f16 v99, v34, v35
	v_sub_f32_e32 v34, v74, v81
	v_mul_f32_e32 v35, 0x3fb8aa3b, v34
	v_cmp_ngt_f32_e64 s4, 0xc2ce8ed0, v34
	v_cmp_nlt_f32_e64 s5, 0x42b17218, v34
	s_delay_alu instid0(VALU_DEP_3) | instskip(SKIP_1) | instid1(VALU_DEP_1)
	v_fma_f32 v36, 0x3fb8aa3b, v34, -v35
	v_rndne_f32_e32 v37, v35
	v_dual_fmac_f32 v36, 0x32a5705f, v34 :: v_dual_sub_f32 v35, v35, v37
	s_delay_alu instid0(VALU_DEP_1) | instskip(SKIP_1) | instid1(VALU_DEP_2)
	v_add_f32_e32 v35, v35, v36
	v_cvt_i32_f32_e32 v36, v37
	v_exp_f32_e32 v35, v35
	s_waitcnt_depctr 0xfff
	v_ldexp_f32 v35, v35, v36
	s_delay_alu instid0(VALU_DEP_1) | instskip(NEXT) | instid1(VALU_DEP_1)
	v_cndmask_b32_e64 v34, 0, v35, s4
	v_cndmask_b32_e64 v133, 0x7f800000, v34, s5
	ds_bpermute_b32 v34, v253, v133
	v_cndmask_b32_e64 v32, v32, v133, s2
	v_cndmask_b32_e64 v33, v33, v133, s3
	s_waitcnt lgkmcnt(0)
	s_delay_alu instid0(VALU_DEP_2) | instskip(NEXT) | instid1(VALU_DEP_2)
	v_cndmask_b32_e64 v32, v32, v34, s1
	v_cndmask_b32_e32 v33, v33, v34, vcc_lo
	s_delay_alu instid0(VALU_DEP_2) | instskip(NEXT) | instid1(VALU_DEP_2)
	v_cvt_f16_f32_e32 v34, v32
	v_cvt_f16_f32_e32 v35, v33
	s_delay_alu instid0(VALU_DEP_1) | instskip(SKIP_1) | instid1(VALU_DEP_1)
	v_pack_b32_f16 v100, v34, v35
	v_dual_sub_f32 v34, v73, v81 :: v_dual_add_nc_u32 v73, 0x3c00, v138
	v_mul_f32_e32 v35, 0x3fb8aa3b, v34
	v_cmp_ngt_f32_e64 s4, 0xc2ce8ed0, v34
	v_cmp_nlt_f32_e64 s5, 0x42b17218, v34
	s_delay_alu instid0(VALU_DEP_3) | instskip(SKIP_1) | instid1(VALU_DEP_1)
	v_fma_f32 v36, 0x3fb8aa3b, v34, -v35
	v_rndne_f32_e32 v37, v35
	v_dual_fmac_f32 v36, 0x32a5705f, v34 :: v_dual_sub_f32 v35, v35, v37
	s_delay_alu instid0(VALU_DEP_1) | instskip(SKIP_1) | instid1(VALU_DEP_2)
	v_add_f32_e32 v35, v35, v36
	v_cvt_i32_f32_e32 v36, v37
	v_exp_f32_e32 v35, v35
	s_waitcnt_depctr 0xfff
	v_ldexp_f32 v35, v35, v36
	s_delay_alu instid0(VALU_DEP_1) | instskip(NEXT) | instid1(VALU_DEP_1)
	v_cndmask_b32_e64 v34, 0, v35, s4
	v_cndmask_b32_e64 v134, 0x7f800000, v34, s5
	ds_bpermute_b32 v34, v253, v134
	v_cndmask_b32_e64 v32, v32, v134, s2
	v_cndmask_b32_e64 v33, v33, v134, s3
	s_waitcnt lgkmcnt(0)
	s_delay_alu instid0(VALU_DEP_2) | instskip(NEXT) | instid1(VALU_DEP_2)
	v_cndmask_b32_e64 v32, v32, v34, s1
	v_cndmask_b32_e32 v33, v33, v34, vcc_lo
	s_delay_alu instid0(VALU_DEP_2) | instskip(NEXT) | instid1(VALU_DEP_2)
	v_cvt_f16_f32_e32 v34, v32
	v_cvt_f16_f32_e32 v35, v33
	s_delay_alu instid0(VALU_DEP_1) | instskip(SKIP_1) | instid1(VALU_DEP_1)
	v_pack_b32_f16 v101, v34, v35
	v_sub_f32_e32 v34, v72, v81
	v_mul_f32_e32 v35, 0x3fb8aa3b, v34
	v_cmp_ngt_f32_e64 s4, 0xc2ce8ed0, v34
	v_cmp_nlt_f32_e64 s5, 0x42b17218, v34
	s_delay_alu instid0(VALU_DEP_3) | instskip(SKIP_1) | instid1(VALU_DEP_1)
	v_fma_f32 v36, 0x3fb8aa3b, v34, -v35
	v_rndne_f32_e32 v37, v35
	v_dual_fmac_f32 v36, 0x32a5705f, v34 :: v_dual_sub_f32 v35, v35, v37
	s_delay_alu instid0(VALU_DEP_1) | instskip(SKIP_1) | instid1(VALU_DEP_2)
	v_add_f32_e32 v35, v35, v36
	v_cvt_i32_f32_e32 v36, v37
	v_exp_f32_e32 v35, v35
	s_waitcnt_depctr 0xfff
	v_ldexp_f32 v35, v35, v36
	s_delay_alu instid0(VALU_DEP_1) | instskip(NEXT) | instid1(VALU_DEP_1)
	v_cndmask_b32_e64 v34, 0, v35, s4
	v_cndmask_b32_e64 v135, 0x7f800000, v34, s5
	ds_bpermute_b32 v34, v253, v135
	v_cndmask_b32_e64 v32, v32, v135, s2
	v_cndmask_b32_e64 v33, v33, v135, s3
	s_waitcnt lgkmcnt(0)
	s_delay_alu instid0(VALU_DEP_2) | instskip(NEXT) | instid1(VALU_DEP_2)
	v_cndmask_b32_e64 v32, v32, v34, s1
	v_cndmask_b32_e32 v33, v33, v34, vcc_lo
	s_delay_alu instid0(VALU_DEP_2) | instskip(NEXT) | instid1(VALU_DEP_2)
	v_cvt_f16_f32_e32 v34, v32
	v_cvt_f16_f32_e32 v35, v33
	s_delay_alu instid0(VALU_DEP_1) | instskip(SKIP_1) | instid1(VALU_DEP_1)
	v_pack_b32_f16 v102, v34, v35
	v_sub_f32_e32 v34, v71, v81
	v_mul_f32_e32 v35, 0x3fb8aa3b, v34
	v_cmp_ngt_f32_e64 s4, 0xc2ce8ed0, v34
	v_cmp_nlt_f32_e64 s5, 0x42b17218, v34
	s_delay_alu instid0(VALU_DEP_3) | instskip(SKIP_1) | instid1(VALU_DEP_1)
	v_fma_f32 v36, 0x3fb8aa3b, v34, -v35
	v_rndne_f32_e32 v37, v35
	v_dual_fmac_f32 v36, 0x32a5705f, v34 :: v_dual_sub_f32 v35, v35, v37
	s_delay_alu instid0(VALU_DEP_1) | instskip(SKIP_1) | instid1(VALU_DEP_2)
	v_add_f32_e32 v35, v35, v36
	v_cvt_i32_f32_e32 v36, v37
	v_exp_f32_e32 v35, v35
	s_waitcnt_depctr 0xfff
	v_ldexp_f32 v35, v35, v36
	v_add_nc_u32_e32 v36, 0x3a00, v138
	s_delay_alu instid0(VALU_DEP_2) | instskip(NEXT) | instid1(VALU_DEP_1)
	v_cndmask_b32_e64 v34, 0, v35, s4
	v_cndmask_b32_e64 v136, 0x7f800000, v34, s5
	ds_bpermute_b32 v34, v253, v136
	v_cndmask_b32_e64 v32, v32, v136, s2
	v_cndmask_b32_e64 v33, v33, v136, s3
	s_waitcnt lgkmcnt(0)
	s_delay_alu instid0(VALU_DEP_2) | instskip(NEXT) | instid1(VALU_DEP_2)
	v_cndmask_b32_e64 v32, v32, v34, s1
	v_cndmask_b32_e32 v33, v33, v34, vcc_lo
	v_add_nc_u32_e32 v34, 0x3600, v138
	s_delay_alu instid0(VALU_DEP_3) | instskip(NEXT) | instid1(VALU_DEP_3)
	v_cvt_f16_f32_e32 v32, v32
	v_cvt_f16_f32_e32 v33, v33
	s_delay_alu instid0(VALU_DEP_1)
	v_pack_b32_f16 v103, v32, v33
	v_add_nc_u32_e32 v32, 0x3200, v138
	ds_load_2addr_b32 v[40:41], v32 offset0:112 offset1:132
	ds_load_2addr_b32 v[44:45], v66 offset0:52 offset1:72
	;; [unrolled: 1-line block ×3, first 2 shown]
	scratch_load_b32 v39, off, off offset:556 ; 4-byte Folded Reload
	s_waitcnt vmcnt(0)
	ds_load_b32 v67, v39 offset:1088
	ds_load_2addr_b32 v[48:49], v34 offset0:60 offset1:148
	ds_load_2addr_b32 v[42:43], v69 offset0:68 offset1:88
	ds_load_2addr_b32 v[52:53], v69 offset0:136 offset1:156
	ds_load_b32 v68, v39 offset:2176
	ds_load_2addr_b32 v[54:55], v36 offset0:76 offset1:164
	ds_load_2addr_b32 v[50:51], v73 offset0:84 offset1:104
	ds_load_2addr_b32 v[56:57], v73 offset0:152 offset1:172
	;; [unrolled: 4-line block ×3, first 2 shown]
	s_waitcnt lgkmcnt(14)
	v_perm_b32 v32, v41, v64, 0x5040100
	s_waitcnt lgkmcnt(12)
	v_perm_b32 v33, v47, v45, 0x5040100
	;; [unrolled: 2-line block ×8, first 2 shown]
	s_delay_alu instid0(VALU_DEP_1)
	v_wmma_f16_16x16x16_f16 v[24:31], v[32:39], v[96:103], v[24:31]
	v_perm_b32 v32, v41, v64, 0x7060302
	v_perm_b32 v34, v49, v67, 0x7060302
	;; [unrolled: 1-line block ×8, first 2 shown]
	s_delay_alu instid0(VALU_DEP_1)
	v_wmma_f16_16x16x16_f16 v[24:31], v[32:39], v[96:103], v[24:31] op_sel:[0,0,1]
	ds_load_2addr_b32 v[36:37], v65 offset0:208 offset1:224
	ds_load_2addr_b32 v[38:39], v66 offset0:20 offset1:36
	ds_load_2addr_b32 v[63:64], v66 offset0:88 offset1:104
	ds_load_2addr_b32 v[65:66], v66 offset0:156 offset1:172
	scratch_load_b32 v45, off, off offset:588 ; 4-byte Folded Reload
	s_waitcnt vmcnt(0)
	ds_load_b32 v41, v45 offset:1088
	ds_load_2addr_b32 v[32:33], v69 offset0:36 offset1:52
	ds_load_2addr_b32 v[67:68], v69 offset0:104 offset1:120
	ds_load_2addr_b32 v[69:70], v69 offset0:172 offset1:188
	ds_load_b32 v43, v45 offset:2176
	ds_load_2addr_b32 v[34:35], v73 offset0:52 offset1:68
	ds_load_2addr_b32 v[71:72], v73 offset0:120 offset1:136
	ds_load_2addr_b32 v[73:74], v73 offset0:188 offset1:204
	;; [unrolled: 4-line block ×3, first 2 shown]
	s_waitcnt lgkmcnt(14)
	v_perm_b32 v104, v38, v36, 0x5040100
	s_waitcnt lgkmcnt(12)
	v_perm_b32 v105, v65, v63, 0x5040100
	;; [unrolled: 2-line block ×8, first 2 shown]
	s_delay_alu instid0(VALU_DEP_1)
	v_wmma_f16_16x16x16_f16 v[16:23], v[104:111], v[96:103], v[16:23]
	v_perm_b32 v104, v38, v36, 0x7060302
	scratch_load_b32 v36, off, off offset:616 ; 4-byte Folded Reload
	v_perm_b32 v108, v34, v43, 0x7060302
	scratch_load_b32 v43, off, off offset:632 ; 4-byte Folded Reload
	v_perm_b32 v106, v32, v41, 0x7060302
	v_perm_b32 v110, v75, v45, 0x7060302
	;; [unrolled: 1-line block ×10, first 2 shown]
	v_wmma_f16_16x16x16_f16 v[16:23], v[104:111], v[96:103], v[16:23] op_sel:[0,0,1]
	ds_load_b32 v45, v138 offset:17328
	v_perm_b32 v104, v39, v37, 0x5040100
	v_perm_b32 v105, v66, v64, 0x5040100
	;; [unrolled: 1-line block ×10, first 2 shown]
	s_waitcnt lgkmcnt(0)
	v_perm_b32 v79, v45, v58, 0x7060302
	s_waitcnt vmcnt(1)
	ds_load_b32 v32, v36 offset:1088
	ds_load_b32 v34, v36 offset:2176
	s_waitcnt vmcnt(0)
	ds_load_b32 v38, v43 offset:1088
	ds_load_b32 v36, v36 offset:3264
	;; [unrolled: 1-line block ×4, first 2 shown]
	s_waitcnt lgkmcnt(0)
	s_barrier
	buffer_gl0_inv
	v_perm_b32 v106, v33, v32, 0x5040100
	v_perm_b32 v65, v33, v32, 0x7060302
	v_add_f32_e32 v32, v82, v83
	v_perm_b32 v108, v35, v34, 0x5040100
	v_perm_b32 v110, v76, v36, 0x5040100
	;; [unrolled: 1-line block ×4, first 2 shown]
	v_add_f32_e32 v32, v84, v32
	v_perm_b32 v74, v42, v38, 0x7060302
	v_wmma_f16_16x16x16_f16 v[8:15], v[104:111], v[96:103], v[8:15]
	v_perm_b32 v104, v44, v40, 0x5040100
	v_perm_b32 v105, v48, v46, 0x5040100
	v_add_f32_e32 v32, v85, v32
	v_perm_b32 v106, v42, v38, 0x5040100
	v_perm_b32 v107, v54, v52, 0x5040100
	;; [unrolled: 1-line block ×4, first 2 shown]
	v_add_f32_e32 v32, v86, v32
	v_perm_b32 v110, v60, v43, 0x5040100
	v_perm_b32 v111, v45, v58, 0x5040100
	;; [unrolled: 1-line block ×4, first 2 shown]
	v_add_f32_e32 v32, v87, v32
	v_wmma_f16_16x16x16_f16 v[8:15], v[63:70], v[96:103], v[8:15] op_sel:[0,0,1]
	v_wmma_f16_16x16x16_f16 v[0:7], v[104:111], v[96:103], v[0:7]
	s_delay_alu instid0(VALU_DEP_3) | instskip(NEXT) | instid1(VALU_DEP_2)
	v_add_f32_e32 v32, v95, v32
	v_wmma_f16_16x16x16_f16 v[0:7], v[72:79], v[96:103], v[0:7] op_sel:[0,0,1]
	s_delay_alu instid0(VALU_DEP_2) | instskip(NEXT) | instid1(VALU_DEP_1)
	v_add_f32_e32 v32, v112, v32
	v_add_f32_e32 v32, v93, v32
	s_delay_alu instid0(VALU_DEP_1) | instskip(NEXT) | instid1(VALU_DEP_1)
	v_add_f32_e32 v32, v114, v32
	v_add_f32_e32 v32, v115, v32
	s_delay_alu instid0(VALU_DEP_1) | instskip(NEXT) | instid1(VALU_DEP_1)
	;; [unrolled: 3-line block ×12, first 2 shown]
	v_add_f32_e32 v93, v136, v32
	v_fmac_f32_e32 v93, v251, v113
	s_cbranch_scc0 .LBB25_217
; %bb.216:                              ;   in Loop: Header=BB25_87 Depth=2
	s_delay_alu instid0(VALU_DEP_1)
	v_mov_b32_e32 v251, v93
	v_mov_b32_e32 v252, v81
	s_branch .LBB25_87
.LBB25_217:                             ;   in Loop: Header=BB25_14 Depth=1
	scratch_load_b32 v32, off, off offset:1208 ; 4-byte Folded Reload
	s_lshl_b32 s4, s14, 6
	v_dual_mov_b32 v120, v232 :: v_dual_mov_b32 v125, v237
	s_ashr_i32 s5, s4, 31
	v_dual_mov_b32 v152, v200 :: v_dual_mov_b32 v157, v205
	s_lshl_b64 s[0:1], s[4:5], 1
	v_dual_mov_b32 v160, v192 :: v_dual_mov_b32 v165, v197
	s_add_u32 s0, vcc_hi, s0
	s_addc_u32 s1, s62, s1
	v_dual_mov_b32 v122, v234 :: v_dual_mov_b32 v127, v239
	v_mov_b32_e32 v124, v236
	v_mov_b32_e32 v126, v238
	v_dual_mov_b32 v154, v202 :: v_dual_mov_b32 v159, v207
	v_dual_mov_b32 v156, v204 :: v_dual_mov_b32 v161, v193
	;; [unrolled: 1-line block ×4, first 2 shown]
	v_mov_b32_e32 v164, v196
	v_mov_b32_e32 v166, v198
                                        ; implicit-def: $vgpr80
	s_clause 0x1
	scratch_load_b64 v[36:37], off, off offset:692
	scratch_load_b64 v[38:39], off, off offset:700
	v_mov_b32_e32 v121, v233
	v_mov_b32_e32 v123, v235
	;; [unrolled: 1-line block ×3, first 2 shown]
	s_waitcnt vmcnt(2)
	v_dual_mov_b32 v155, v203 :: v_dual_lshlrev_b32 v34, 1, v32
	scratch_load_b64 v[32:33], off, off offset:684 ; 8-byte Folded Reload
	v_add_co_u32 v40, s0, s0, v34
	scratch_load_b64 v[34:35], off, off offset:676 ; 8-byte Folded Reload
	v_add_co_ci_u32_e64 v41, null, s1, 0, s0
	s_mul_hi_i32 s1, s12, s4
	s_mul_i32 s0, s12, s4
	s_delay_alu instid0(SALU_CYCLE_1) | instskip(NEXT) | instid1(SALU_CYCLE_1)
	s_lshl_b64 s[0:1], s[0:1], 2
	s_add_u32 s0, s101, s0
	s_addc_u32 s1, s104, s1
	s_waitcnt vmcnt(3)
	v_lshlrev_b64 v[36:37], 1, v[36:37]
	s_waitcnt vmcnt(2)
	v_lshlrev_b64 v[38:39], 1, v[38:39]
	;; [unrolled: 2-line block ×4, first 2 shown]
	s_delay_alu instid0(VALU_DEP_2) | instskip(NEXT) | instid1(VALU_DEP_3)
	v_add_co_u32 v32, vcc_lo, v40, v32
	v_add_co_ci_u32_e32 v33, vcc_lo, v41, v33, vcc_lo
	s_delay_alu instid0(VALU_DEP_3) | instskip(NEXT) | instid1(VALU_DEP_4)
	v_add_co_u32 v34, vcc_lo, v40, v34
	v_add_co_ci_u32_e32 v35, vcc_lo, v41, v35, vcc_lo
	v_add_co_u32 v36, vcc_lo, v40, v36
	v_add_co_ci_u32_e32 v37, vcc_lo, v41, v37, vcc_lo
	s_clause 0x1
	global_load_b32 v44, v[32:33], off
	global_load_b32 v45, v[34:35], off
	v_add_co_u32 v32, vcc_lo, v40, v38
	v_add_co_ci_u32_e32 v33, vcc_lo, v41, v39, vcc_lo
	s_clause 0x1
	global_load_b32 v46, v[36:37], off
	global_load_b32 v47, v[32:33], off
	s_clause 0x3
	scratch_load_b64 v[32:33], off, off offset:1116
	scratch_load_b64 v[34:35], off, off offset:1124
	scratch_load_b64 v[36:37], off, off offset:1132
	scratch_load_b32 v59, off, off
	s_waitcnt vmcnt(3)
	v_add_co_u32 v32, vcc_lo, s0, v32
	v_add_co_ci_u32_e32 v33, vcc_lo, s1, v33, vcc_lo
	s_waitcnt vmcnt(2)
	v_add_co_u32 v34, vcc_lo, s0, v34
	v_add_co_ci_u32_e32 v35, vcc_lo, s1, v35, vcc_lo
	;; [unrolled: 3-line block ×3, first 2 shown]
	v_add_co_u32 v38, vcc_lo, s0, v36
	v_add_co_ci_u32_e32 v39, vcc_lo, s1, v37, vcc_lo
	v_add_co_u32 v36, vcc_lo, v34, v59
	v_add_co_ci_u32_e32 v37, vcc_lo, 0, v35, vcc_lo
	s_delay_alu instid0(VALU_DEP_4) | instskip(NEXT) | instid1(VALU_DEP_4)
	v_add_co_u32 v40, vcc_lo, v38, v59
	v_add_co_ci_u32_e32 v41, vcc_lo, 0, v39, vcc_lo
	s_clause 0x2
	global_load_b128 v[32:35], v[32:33], off
	global_load_b128 v[36:39], v[36:37], off
	;; [unrolled: 1-line block ×3, first 2 shown]
	s_clause 0x3
	scratch_load_b32 v48, off, off offset:512
	scratch_load_b32 v49, off, off offset:636
	scratch_load_b64 v[50:51], off, off offset:1140
	scratch_load_b64 v[52:53], off, off offset:1148
	s_waitcnt vmcnt(2)
	v_add_nc_u32_e32 v48, v48, v49
	s_delay_alu instid0(VALU_DEP_1)
	v_add_nc_u32_e32 v49, 0x4400, v48
	v_add_nc_u32_e32 v48, 0x4800, v48
	ds_store_2addr_b32 v49, v44, v45 offset1:144
	scratch_load_b64 v[44:45], off, off offset:1156 ; 8-byte Folded Reload
	s_waitcnt vmcnt(2)
	v_add_co_u32 v50, vcc_lo, s0, v50
	v_add_co_ci_u32_e32 v51, vcc_lo, s1, v51, vcc_lo
	s_waitcnt vmcnt(1)
	v_add_co_u32 v52, vcc_lo, s0, v52
	v_add_co_ci_u32_e32 v53, vcc_lo, s1, v53, vcc_lo
	ds_store_2addr_b32 v48, v46, v47 offset0:32 offset1:176
	ds_store_b128 v137, v[32:35]
	ds_store_b128 v139, v[36:39]
	s_waitcnt vmcnt(0)
	v_add_co_u32 v49, vcc_lo, s0, v44
	v_add_co_ci_u32_e32 v54, vcc_lo, s1, v45, vcc_lo
	scratch_load_b64 v[44:45], off, off offset:1164 ; 8-byte Folded Reload
	s_waitcnt vmcnt(0)
	v_add_co_u32 v55, vcc_lo, s0, v44
	v_add_co_ci_u32_e32 v56, vcc_lo, s1, v45, vcc_lo
	scratch_load_b64 v[44:45], off, off offset:1172 ; 8-byte Folded Reload
	s_waitcnt vmcnt(0)
	v_add_co_u32 v57, vcc_lo, s0, v44
	v_add_co_ci_u32_e32 v58, vcc_lo, s1, v45, vcc_lo
	v_add_co_u32 v44, vcc_lo, v50, v59
	v_add_co_ci_u32_e32 v45, vcc_lo, 0, v51, vcc_lo
	;; [unrolled: 2-line block ×6, first 2 shown]
	s_clause 0x2
	global_load_b128 v[32:35], v[44:45], off
	global_load_b128 v[36:39], v[46:47], off
	;; [unrolled: 1-line block ×3, first 2 shown]
	ds_store_b128 v140, v[40:43]
	s_clause 0x1
	global_load_b128 v[40:43], v[50:51], off
	global_load_b128 v[48:51], v[52:53], off
	s_waitcnt vmcnt(4)
	ds_store_b128 v141, v[32:35]
	s_waitcnt vmcnt(3)
	ds_store_b128 v142, v[36:39]
	;; [unrolled: 2-line block ×5, first 2 shown]
	s_waitcnt lgkmcnt(0)
	s_waitcnt_vscnt null, 0x0
	s_barrier
	buffer_gl0_inv
	ds_load_b128 v[32:35], v254
	ds_load_b128 v[36:39], v254 offset:16
	s_clause 0x1
	scratch_store_b128 off, v[240:243], off offset:32
	scratch_store_b128 off, v[244:247], off offset:48
	v_dual_mov_b32 v47, s43 :: v_dual_mov_b32 v46, s42
	v_dual_mov_b32 v45, s41 :: v_dual_mov_b32 v44, s40
	v_mov_b32_e32 v41, s37
	v_dual_mov_b32 v43, s39 :: v_dual_mov_b32 v42, s38
	v_mov_b32_e32 v40, s36
	v_dual_mov_b32 v136, v224 :: v_dual_mov_b32 v141, v229
	v_dual_mov_b32 v144, v216 :: v_dual_mov_b32 v149, v221
	v_dual_mov_b32 v137, v225 :: v_dual_mov_b32 v138, v226
	v_mov_b32_e32 v143, v231
	v_dual_mov_b32 v139, v227 :: v_dual_mov_b32 v140, v228
	v_dual_mov_b32 v145, v217 :: v_dual_mov_b32 v142, v230
	;; [unrolled: 1-line block ×4, first 2 shown]
	v_mov_b32_e32 v150, v222
	s_waitcnt lgkmcnt(0)
	v_wmma_f32_16x16x16_f16 v[96:103], v[32:39], v[240:247], v[40:47]
	ds_load_b128 v[32:35], v254 offset:32
	ds_load_b128 v[36:39], v254 offset:48
	s_waitcnt lgkmcnt(0)
	v_wmma_f32_16x16x16_f16 v[96:103], v[32:39], v[232:239], v[96:103]
	ds_load_b128 v[32:35], v254 offset:64
	ds_load_b128 v[36:39], v254 offset:80
	;; [unrolled: 4-line block ×6, first 2 shown]
	s_clause 0x1
	scratch_store_b128 off, v[184:187], off offset:64
	scratch_store_b128 off, v[188:191], off offset:80
	s_waitcnt lgkmcnt(0)
	v_wmma_f32_16x16x16_f16 v[96:103], v[32:39], v[184:191], v[96:103]
	ds_load_b128 v[32:35], v254 offset:224
	ds_load_b128 v[36:39], v254 offset:240
	s_clause 0x1
	scratch_store_b128 off, v[176:179], off offset:96
	scratch_store_b128 off, v[180:183], off offset:112
	s_waitcnt lgkmcnt(0)
	v_wmma_f32_16x16x16_f16 v[96:103], v[32:39], v[176:183], v[96:103]
	ds_load_b128 v[72:75], v254 offset:4352
	ds_load_b128 v[76:79], v254 offset:4368
	;; [unrolled: 1-line block ×34, first 2 shown]
	s_waitcnt lgkmcnt(0)
	s_clause 0x1
	scratch_store_b128 off, v[82:85], off offset:288
	scratch_store_b128 off, v[86:89], off offset:304
	ds_load_b128 v[168:171], v254 offset:13088
	ds_load_b128 v[172:175], v254 offset:13104
	;; [unrolled: 1-line block ×4, first 2 shown]
	s_waitcnt lgkmcnt(0)
	s_clause 0x1
	scratch_store_b128 off, v[82:85], off offset:320
	scratch_store_b128 off, v[86:89], off offset:336
	ds_load_b128 v[82:85], v254 offset:13152
	ds_load_b128 v[86:89], v254 offset:13168
	s_waitcnt lgkmcnt(0)
	s_clause 0x1
	scratch_store_b128 off, v[82:85], off offset:256
	scratch_store_b128 off, v[86:89], off offset:272
	ds_load_b128 v[82:85], v254 offset:13184
	ds_load_b128 v[86:89], v254 offset:13200
	;; [unrolled: 6-line block ×5, first 2 shown]
	v_cmp_ngt_f32_e64 s0, 0x3f200000, |v96|
	s_waitcnt lgkmcnt(0)
	s_clause 0x1
	scratch_store_b128 off, v[82:85], off offset:128
	scratch_store_b128 off, v[86:89], off offset:144
	s_waitcnt_vscnt null, 0x0
	s_barrier
	buffer_gl0_inv
	s_and_saveexec_b32 s1, s0
	s_delay_alu instid0(SALU_CYCLE_1)
	s_xor_b32 s0, exec_lo, s1
	s_cbranch_execz .LBB25_219
; %bb.218:                              ;   in Loop: Header=BB25_14 Depth=1
	v_add_f32_e64 v80, |v96|, |v96|
	s_delay_alu instid0(VALU_DEP_1) | instskip(SKIP_1) | instid1(VALU_DEP_2)
	v_mul_f32_e32 v82, 0x3fb8aa3b, v80
	v_cmp_ngt_f32_e32 vcc_lo, 0xc2ce8ed0, v80
	v_rndne_f32_e32 v83, v82
	v_fma_f32 v84, 0x3fb8aa3b, v80, -v82
	s_delay_alu instid0(VALU_DEP_2) | instskip(NEXT) | instid1(VALU_DEP_2)
	v_sub_f32_e32 v82, v82, v83
	v_fmac_f32_e32 v84, 0x32a5705f, v80
	v_cvt_i32_f32_e32 v83, v83
	s_delay_alu instid0(VALU_DEP_2) | instskip(NEXT) | instid1(VALU_DEP_1)
	v_add_f32_e32 v82, v82, v84
	v_exp_f32_e32 v82, v82
	s_waitcnt_depctr 0xfff
	v_ldexp_f32 v82, v82, v83
	s_delay_alu instid0(VALU_DEP_1) | instskip(SKIP_1) | instid1(VALU_DEP_2)
	v_cndmask_b32_e32 v82, 0, v82, vcc_lo
	v_cmp_nlt_f32_e32 vcc_lo, 0x42b17218, v80
	v_cndmask_b32_e32 v80, 0x7f800000, v82, vcc_lo
	s_delay_alu instid0(VALU_DEP_1) | instskip(NEXT) | instid1(VALU_DEP_1)
	v_add_f32_e32 v80, 1.0, v80
	v_rcp_f32_e32 v80, v80
	s_waitcnt_depctr 0xfff
	v_fma_f32 v80, v80, -2.0, 1.0
.LBB25_219:                             ;   in Loop: Header=BB25_14 Depth=1
	s_and_not1_saveexec_b32 s0, s0
; %bb.220:                              ;   in Loop: Header=BB25_14 Depth=1
	v_mul_f32_e32 v80, v96, v96
	s_delay_alu instid0(VALU_DEP_1) | instskip(NEXT) | instid1(VALU_DEP_1)
	v_fmaak_f32 v82, s51, v80, 0x3ca908c9
	v_fmaak_f32 v82, v80, v82, 0xbd5c1c4e
	s_delay_alu instid0(VALU_DEP_1) | instskip(NEXT) | instid1(VALU_DEP_1)
	v_fmaak_f32 v82, v80, v82, 0x3e088382
	v_fmaak_f32 v82, v80, v82, 0xbeaaaa99
	s_delay_alu instid0(VALU_DEP_1) | instskip(NEXT) | instid1(VALU_DEP_1)
	v_mul_f32_e64 v82, |v96|, v82
	v_fma_f32 v80, v80, v82, |v96|
; %bb.221:                              ;   in Loop: Header=BB25_14 Depth=1
	s_or_b32 exec_lo, exec_lo, s0
	v_cmp_ngt_f32_e64 s0, 0x3f200000, |v97|
                                        ; implicit-def: $vgpr90
	s_delay_alu instid0(VALU_DEP_1) | instskip(NEXT) | instid1(SALU_CYCLE_1)
	s_and_saveexec_b32 s1, s0
	s_xor_b32 s0, exec_lo, s1
	s_cbranch_execz .LBB25_223
; %bb.222:                              ;   in Loop: Header=BB25_14 Depth=1
	v_add_f32_e64 v82, |v97|, |v97|
	s_delay_alu instid0(VALU_DEP_1) | instskip(SKIP_1) | instid1(VALU_DEP_2)
	v_mul_f32_e32 v83, 0x3fb8aa3b, v82
	v_cmp_ngt_f32_e32 vcc_lo, 0xc2ce8ed0, v82
	v_rndne_f32_e32 v84, v83
	v_fma_f32 v85, 0x3fb8aa3b, v82, -v83
	s_delay_alu instid0(VALU_DEP_2) | instskip(NEXT) | instid1(VALU_DEP_2)
	v_sub_f32_e32 v83, v83, v84
	v_fmac_f32_e32 v85, 0x32a5705f, v82
	v_cvt_i32_f32_e32 v84, v84
	s_delay_alu instid0(VALU_DEP_2) | instskip(NEXT) | instid1(VALU_DEP_1)
	v_add_f32_e32 v83, v83, v85
	v_exp_f32_e32 v83, v83
	s_waitcnt_depctr 0xfff
	v_ldexp_f32 v83, v83, v84
	s_delay_alu instid0(VALU_DEP_1) | instskip(SKIP_1) | instid1(VALU_DEP_2)
	v_cndmask_b32_e32 v83, 0, v83, vcc_lo
	v_cmp_nlt_f32_e32 vcc_lo, 0x42b17218, v82
	v_cndmask_b32_e32 v82, 0x7f800000, v83, vcc_lo
	s_delay_alu instid0(VALU_DEP_1) | instskip(NEXT) | instid1(VALU_DEP_1)
	v_add_f32_e32 v82, 1.0, v82
	v_rcp_f32_e32 v82, v82
	s_waitcnt_depctr 0xfff
	v_fma_f32 v90, v82, -2.0, 1.0
.LBB25_223:                             ;   in Loop: Header=BB25_14 Depth=1
	s_and_not1_saveexec_b32 s0, s0
; %bb.224:                              ;   in Loop: Header=BB25_14 Depth=1
	v_mul_f32_e32 v82, v97, v97
	s_delay_alu instid0(VALU_DEP_1) | instskip(NEXT) | instid1(VALU_DEP_1)
	v_fmaak_f32 v83, s51, v82, 0x3ca908c9
	v_fmaak_f32 v83, v82, v83, 0xbd5c1c4e
	s_delay_alu instid0(VALU_DEP_1) | instskip(NEXT) | instid1(VALU_DEP_1)
	v_fmaak_f32 v83, v82, v83, 0x3e088382
	v_fmaak_f32 v83, v82, v83, 0xbeaaaa99
	s_delay_alu instid0(VALU_DEP_1) | instskip(NEXT) | instid1(VALU_DEP_1)
	v_mul_f32_e64 v83, |v97|, v83
	v_fma_f32 v90, v82, v83, |v97|
; %bb.225:                              ;   in Loop: Header=BB25_14 Depth=1
	s_or_b32 exec_lo, exec_lo, s0
	v_cmp_ngt_f32_e64 s0, 0x3f200000, |v98|
                                        ; implicit-def: $vgpr91
	s_delay_alu instid0(VALU_DEP_1) | instskip(NEXT) | instid1(SALU_CYCLE_1)
	s_and_saveexec_b32 s1, s0
	s_xor_b32 s0, exec_lo, s1
	s_cbranch_execz .LBB25_227
; %bb.226:                              ;   in Loop: Header=BB25_14 Depth=1
	v_add_f32_e64 v82, |v98|, |v98|
	s_delay_alu instid0(VALU_DEP_1) | instskip(SKIP_1) | instid1(VALU_DEP_2)
	v_mul_f32_e32 v83, 0x3fb8aa3b, v82
	v_cmp_ngt_f32_e32 vcc_lo, 0xc2ce8ed0, v82
	v_rndne_f32_e32 v84, v83
	v_fma_f32 v85, 0x3fb8aa3b, v82, -v83
	s_delay_alu instid0(VALU_DEP_2) | instskip(NEXT) | instid1(VALU_DEP_2)
	v_sub_f32_e32 v83, v83, v84
	v_fmac_f32_e32 v85, 0x32a5705f, v82
	v_cvt_i32_f32_e32 v84, v84
	s_delay_alu instid0(VALU_DEP_2) | instskip(NEXT) | instid1(VALU_DEP_1)
	v_add_f32_e32 v83, v83, v85
	v_exp_f32_e32 v83, v83
	s_waitcnt_depctr 0xfff
	v_ldexp_f32 v83, v83, v84
	s_delay_alu instid0(VALU_DEP_1) | instskip(SKIP_1) | instid1(VALU_DEP_2)
	v_cndmask_b32_e32 v83, 0, v83, vcc_lo
	v_cmp_nlt_f32_e32 vcc_lo, 0x42b17218, v82
	v_cndmask_b32_e32 v82, 0x7f800000, v83, vcc_lo
	s_delay_alu instid0(VALU_DEP_1) | instskip(NEXT) | instid1(VALU_DEP_1)
	v_add_f32_e32 v82, 1.0, v82
	v_rcp_f32_e32 v82, v82
	s_waitcnt_depctr 0xfff
	v_fma_f32 v91, v82, -2.0, 1.0
.LBB25_227:                             ;   in Loop: Header=BB25_14 Depth=1
	s_and_not1_saveexec_b32 s0, s0
; %bb.228:                              ;   in Loop: Header=BB25_14 Depth=1
	v_mul_f32_e32 v82, v98, v98
	s_delay_alu instid0(VALU_DEP_1) | instskip(NEXT) | instid1(VALU_DEP_1)
	v_fmaak_f32 v83, s51, v82, 0x3ca908c9
	v_fmaak_f32 v83, v82, v83, 0xbd5c1c4e
	s_delay_alu instid0(VALU_DEP_1) | instskip(NEXT) | instid1(VALU_DEP_1)
	v_fmaak_f32 v83, v82, v83, 0x3e088382
	v_fmaak_f32 v83, v82, v83, 0xbeaaaa99
	s_delay_alu instid0(VALU_DEP_1) | instskip(NEXT) | instid1(VALU_DEP_1)
	v_mul_f32_e64 v83, |v98|, v83
	v_fma_f32 v91, v82, v83, |v98|
; %bb.229:                              ;   in Loop: Header=BB25_14 Depth=1
	s_or_b32 exec_lo, exec_lo, s0
	v_cmp_ngt_f32_e64 s0, 0x3f200000, |v99|
                                        ; implicit-def: $vgpr92
	s_delay_alu instid0(VALU_DEP_1) | instskip(NEXT) | instid1(SALU_CYCLE_1)
	s_and_saveexec_b32 s1, s0
	s_xor_b32 s0, exec_lo, s1
	s_cbranch_execz .LBB25_231
; %bb.230:                              ;   in Loop: Header=BB25_14 Depth=1
	v_add_f32_e64 v82, |v99|, |v99|
	s_delay_alu instid0(VALU_DEP_1) | instskip(SKIP_1) | instid1(VALU_DEP_2)
	v_mul_f32_e32 v83, 0x3fb8aa3b, v82
	v_cmp_ngt_f32_e32 vcc_lo, 0xc2ce8ed0, v82
	v_rndne_f32_e32 v84, v83
	v_fma_f32 v85, 0x3fb8aa3b, v82, -v83
	s_delay_alu instid0(VALU_DEP_2) | instskip(NEXT) | instid1(VALU_DEP_2)
	v_sub_f32_e32 v83, v83, v84
	v_fmac_f32_e32 v85, 0x32a5705f, v82
	v_cvt_i32_f32_e32 v84, v84
	s_delay_alu instid0(VALU_DEP_2) | instskip(NEXT) | instid1(VALU_DEP_1)
	v_add_f32_e32 v83, v83, v85
	v_exp_f32_e32 v83, v83
	s_waitcnt_depctr 0xfff
	v_ldexp_f32 v83, v83, v84
	s_delay_alu instid0(VALU_DEP_1) | instskip(SKIP_1) | instid1(VALU_DEP_2)
	v_cndmask_b32_e32 v83, 0, v83, vcc_lo
	v_cmp_nlt_f32_e32 vcc_lo, 0x42b17218, v82
	v_cndmask_b32_e32 v82, 0x7f800000, v83, vcc_lo
	s_delay_alu instid0(VALU_DEP_1) | instskip(NEXT) | instid1(VALU_DEP_1)
	v_add_f32_e32 v82, 1.0, v82
	v_rcp_f32_e32 v82, v82
	s_waitcnt_depctr 0xfff
	v_fma_f32 v92, v82, -2.0, 1.0
.LBB25_231:                             ;   in Loop: Header=BB25_14 Depth=1
	s_and_not1_saveexec_b32 s0, s0
; %bb.232:                              ;   in Loop: Header=BB25_14 Depth=1
	v_mul_f32_e32 v82, v99, v99
	s_delay_alu instid0(VALU_DEP_1) | instskip(NEXT) | instid1(VALU_DEP_1)
	v_fmaak_f32 v83, s51, v82, 0x3ca908c9
	v_fmaak_f32 v83, v82, v83, 0xbd5c1c4e
	s_delay_alu instid0(VALU_DEP_1) | instskip(NEXT) | instid1(VALU_DEP_1)
	v_fmaak_f32 v83, v82, v83, 0x3e088382
	v_fmaak_f32 v83, v82, v83, 0xbeaaaa99
	s_delay_alu instid0(VALU_DEP_1) | instskip(NEXT) | instid1(VALU_DEP_1)
	v_mul_f32_e64 v83, |v99|, v83
	v_fma_f32 v92, v82, v83, |v99|
; %bb.233:                              ;   in Loop: Header=BB25_14 Depth=1
	s_or_b32 exec_lo, exec_lo, s0
	v_cmp_ngt_f32_e64 s0, 0x3f200000, |v100|
                                        ; implicit-def: $vgpr94
	s_delay_alu instid0(VALU_DEP_1) | instskip(NEXT) | instid1(SALU_CYCLE_1)
	s_and_saveexec_b32 s1, s0
	s_xor_b32 s0, exec_lo, s1
	s_cbranch_execz .LBB25_235
; %bb.234:                              ;   in Loop: Header=BB25_14 Depth=1
	v_add_f32_e64 v82, |v100|, |v100|
	s_delay_alu instid0(VALU_DEP_1) | instskip(SKIP_1) | instid1(VALU_DEP_2)
	v_mul_f32_e32 v83, 0x3fb8aa3b, v82
	v_cmp_ngt_f32_e32 vcc_lo, 0xc2ce8ed0, v82
	v_rndne_f32_e32 v84, v83
	v_fma_f32 v85, 0x3fb8aa3b, v82, -v83
	s_delay_alu instid0(VALU_DEP_2) | instskip(NEXT) | instid1(VALU_DEP_2)
	v_sub_f32_e32 v83, v83, v84
	v_fmac_f32_e32 v85, 0x32a5705f, v82
	v_cvt_i32_f32_e32 v84, v84
	s_delay_alu instid0(VALU_DEP_2) | instskip(NEXT) | instid1(VALU_DEP_1)
	v_add_f32_e32 v83, v83, v85
	v_exp_f32_e32 v83, v83
	s_waitcnt_depctr 0xfff
	v_ldexp_f32 v83, v83, v84
	s_delay_alu instid0(VALU_DEP_1) | instskip(SKIP_1) | instid1(VALU_DEP_2)
	v_cndmask_b32_e32 v83, 0, v83, vcc_lo
	v_cmp_nlt_f32_e32 vcc_lo, 0x42b17218, v82
	v_cndmask_b32_e32 v82, 0x7f800000, v83, vcc_lo
	s_delay_alu instid0(VALU_DEP_1) | instskip(NEXT) | instid1(VALU_DEP_1)
	v_add_f32_e32 v82, 1.0, v82
	v_rcp_f32_e32 v82, v82
	s_waitcnt_depctr 0xfff
	v_fma_f32 v94, v82, -2.0, 1.0
.LBB25_235:                             ;   in Loop: Header=BB25_14 Depth=1
	s_and_not1_saveexec_b32 s0, s0
; %bb.236:                              ;   in Loop: Header=BB25_14 Depth=1
	v_mul_f32_e32 v82, v100, v100
	s_delay_alu instid0(VALU_DEP_1) | instskip(NEXT) | instid1(VALU_DEP_1)
	v_fmaak_f32 v83, s51, v82, 0x3ca908c9
	v_fmaak_f32 v83, v82, v83, 0xbd5c1c4e
	s_delay_alu instid0(VALU_DEP_1) | instskip(NEXT) | instid1(VALU_DEP_1)
	v_fmaak_f32 v83, v82, v83, 0x3e088382
	v_fmaak_f32 v83, v82, v83, 0xbeaaaa99
	s_delay_alu instid0(VALU_DEP_1) | instskip(NEXT) | instid1(VALU_DEP_1)
	v_mul_f32_e64 v83, |v100|, v83
	v_fma_f32 v94, v82, v83, |v100|
; %bb.237:                              ;   in Loop: Header=BB25_14 Depth=1
	s_or_b32 exec_lo, exec_lo, s0
	v_cmp_ngt_f32_e64 s0, 0x3f200000, |v101|
                                        ; implicit-def: $vgpr95
	s_delay_alu instid0(VALU_DEP_1) | instskip(NEXT) | instid1(SALU_CYCLE_1)
	s_and_saveexec_b32 s1, s0
	s_xor_b32 s0, exec_lo, s1
	s_cbranch_execz .LBB25_239
; %bb.238:                              ;   in Loop: Header=BB25_14 Depth=1
	v_add_f32_e64 v82, |v101|, |v101|
	s_delay_alu instid0(VALU_DEP_1) | instskip(SKIP_1) | instid1(VALU_DEP_2)
	v_mul_f32_e32 v83, 0x3fb8aa3b, v82
	v_cmp_ngt_f32_e32 vcc_lo, 0xc2ce8ed0, v82
	v_rndne_f32_e32 v84, v83
	v_fma_f32 v85, 0x3fb8aa3b, v82, -v83
	s_delay_alu instid0(VALU_DEP_2) | instskip(NEXT) | instid1(VALU_DEP_2)
	v_sub_f32_e32 v83, v83, v84
	v_fmac_f32_e32 v85, 0x32a5705f, v82
	v_cvt_i32_f32_e32 v84, v84
	s_delay_alu instid0(VALU_DEP_2) | instskip(NEXT) | instid1(VALU_DEP_1)
	v_add_f32_e32 v83, v83, v85
	v_exp_f32_e32 v83, v83
	s_waitcnt_depctr 0xfff
	v_ldexp_f32 v83, v83, v84
	s_delay_alu instid0(VALU_DEP_1) | instskip(SKIP_1) | instid1(VALU_DEP_2)
	v_cndmask_b32_e32 v83, 0, v83, vcc_lo
	v_cmp_nlt_f32_e32 vcc_lo, 0x42b17218, v82
	v_cndmask_b32_e32 v82, 0x7f800000, v83, vcc_lo
	s_delay_alu instid0(VALU_DEP_1) | instskip(NEXT) | instid1(VALU_DEP_1)
	v_add_f32_e32 v82, 1.0, v82
	v_rcp_f32_e32 v82, v82
	s_waitcnt_depctr 0xfff
	v_fma_f32 v95, v82, -2.0, 1.0
.LBB25_239:                             ;   in Loop: Header=BB25_14 Depth=1
	s_and_not1_saveexec_b32 s0, s0
; %bb.240:                              ;   in Loop: Header=BB25_14 Depth=1
	v_mul_f32_e32 v82, v101, v101
	s_delay_alu instid0(VALU_DEP_1) | instskip(NEXT) | instid1(VALU_DEP_1)
	v_fmaak_f32 v83, s51, v82, 0x3ca908c9
	v_fmaak_f32 v83, v82, v83, 0xbd5c1c4e
	s_delay_alu instid0(VALU_DEP_1) | instskip(NEXT) | instid1(VALU_DEP_1)
	v_fmaak_f32 v83, v82, v83, 0x3e088382
	v_fmaak_f32 v83, v82, v83, 0xbeaaaa99
	s_delay_alu instid0(VALU_DEP_1) | instskip(NEXT) | instid1(VALU_DEP_1)
	v_mul_f32_e64 v83, |v101|, v83
	v_fma_f32 v95, v82, v83, |v101|
; %bb.241:                              ;   in Loop: Header=BB25_14 Depth=1
	s_or_b32 exec_lo, exec_lo, s0
	v_cmp_ngt_f32_e64 s0, 0x3f200000, |v102|
                                        ; implicit-def: $vgpr248
	s_delay_alu instid0(VALU_DEP_1) | instskip(NEXT) | instid1(SALU_CYCLE_1)
	s_and_saveexec_b32 s1, s0
	s_xor_b32 s0, exec_lo, s1
	s_cbranch_execz .LBB25_243
; %bb.242:                              ;   in Loop: Header=BB25_14 Depth=1
	v_add_f32_e64 v82, |v102|, |v102|
	s_delay_alu instid0(VALU_DEP_1) | instskip(SKIP_1) | instid1(VALU_DEP_2)
	v_mul_f32_e32 v83, 0x3fb8aa3b, v82
	v_cmp_ngt_f32_e32 vcc_lo, 0xc2ce8ed0, v82
	v_rndne_f32_e32 v84, v83
	v_fma_f32 v85, 0x3fb8aa3b, v82, -v83
	s_delay_alu instid0(VALU_DEP_2) | instskip(NEXT) | instid1(VALU_DEP_2)
	v_sub_f32_e32 v83, v83, v84
	v_fmac_f32_e32 v85, 0x32a5705f, v82
	v_cvt_i32_f32_e32 v84, v84
	s_delay_alu instid0(VALU_DEP_2) | instskip(NEXT) | instid1(VALU_DEP_1)
	v_add_f32_e32 v83, v83, v85
	v_exp_f32_e32 v83, v83
	s_waitcnt_depctr 0xfff
	v_ldexp_f32 v83, v83, v84
	s_delay_alu instid0(VALU_DEP_1) | instskip(SKIP_1) | instid1(VALU_DEP_2)
	v_cndmask_b32_e32 v83, 0, v83, vcc_lo
	v_cmp_nlt_f32_e32 vcc_lo, 0x42b17218, v82
	v_cndmask_b32_e32 v82, 0x7f800000, v83, vcc_lo
	s_delay_alu instid0(VALU_DEP_1) | instskip(NEXT) | instid1(VALU_DEP_1)
	v_add_f32_e32 v82, 1.0, v82
	v_rcp_f32_e32 v82, v82
	s_waitcnt_depctr 0xfff
	v_fma_f32 v248, v82, -2.0, 1.0
.LBB25_243:                             ;   in Loop: Header=BB25_14 Depth=1
	s_and_not1_saveexec_b32 s0, s0
; %bb.244:                              ;   in Loop: Header=BB25_14 Depth=1
	v_mul_f32_e32 v82, v102, v102
	s_delay_alu instid0(VALU_DEP_1) | instskip(NEXT) | instid1(VALU_DEP_1)
	v_fmaak_f32 v83, s51, v82, 0x3ca908c9
	v_fmaak_f32 v83, v82, v83, 0xbd5c1c4e
	s_delay_alu instid0(VALU_DEP_1) | instskip(NEXT) | instid1(VALU_DEP_1)
	v_fmaak_f32 v83, v82, v83, 0x3e088382
	v_fmaak_f32 v83, v82, v83, 0xbeaaaa99
	s_delay_alu instid0(VALU_DEP_1) | instskip(NEXT) | instid1(VALU_DEP_1)
	v_mul_f32_e64 v83, |v102|, v83
	v_fma_f32 v248, v82, v83, |v102|
; %bb.245:                              ;   in Loop: Header=BB25_14 Depth=1
	s_or_b32 exec_lo, exec_lo, s0
	v_cmp_ngt_f32_e64 s0, 0x3f200000, |v103|
                                        ; implicit-def: $vgpr249
	s_delay_alu instid0(VALU_DEP_1) | instskip(NEXT) | instid1(SALU_CYCLE_1)
	s_and_saveexec_b32 s1, s0
	s_xor_b32 s0, exec_lo, s1
	s_cbranch_execz .LBB25_247
; %bb.246:                              ;   in Loop: Header=BB25_14 Depth=1
	v_add_f32_e64 v82, |v103|, |v103|
	s_delay_alu instid0(VALU_DEP_1) | instskip(SKIP_1) | instid1(VALU_DEP_2)
	v_mul_f32_e32 v83, 0x3fb8aa3b, v82
	v_cmp_ngt_f32_e32 vcc_lo, 0xc2ce8ed0, v82
	v_rndne_f32_e32 v84, v83
	v_fma_f32 v85, 0x3fb8aa3b, v82, -v83
	s_delay_alu instid0(VALU_DEP_2) | instskip(NEXT) | instid1(VALU_DEP_2)
	v_sub_f32_e32 v83, v83, v84
	v_fmac_f32_e32 v85, 0x32a5705f, v82
	v_cvt_i32_f32_e32 v84, v84
	s_delay_alu instid0(VALU_DEP_2) | instskip(NEXT) | instid1(VALU_DEP_1)
	v_add_f32_e32 v83, v83, v85
	v_exp_f32_e32 v83, v83
	s_waitcnt_depctr 0xfff
	v_ldexp_f32 v83, v83, v84
	s_delay_alu instid0(VALU_DEP_1) | instskip(SKIP_1) | instid1(VALU_DEP_2)
	v_cndmask_b32_e32 v83, 0, v83, vcc_lo
	v_cmp_nlt_f32_e32 vcc_lo, 0x42b17218, v82
	v_cndmask_b32_e32 v82, 0x7f800000, v83, vcc_lo
	s_delay_alu instid0(VALU_DEP_1) | instskip(NEXT) | instid1(VALU_DEP_1)
	v_add_f32_e32 v82, 1.0, v82
	v_rcp_f32_e32 v82, v82
	s_waitcnt_depctr 0xfff
	v_fma_f32 v249, v82, -2.0, 1.0
.LBB25_247:                             ;   in Loop: Header=BB25_14 Depth=1
	s_and_not1_saveexec_b32 s0, s0
; %bb.248:                              ;   in Loop: Header=BB25_14 Depth=1
	v_mul_f32_e32 v82, v103, v103
	s_delay_alu instid0(VALU_DEP_1) | instskip(NEXT) | instid1(VALU_DEP_1)
	v_fmaak_f32 v83, s51, v82, 0x3ca908c9
	v_fmaak_f32 v83, v82, v83, 0xbd5c1c4e
	s_delay_alu instid0(VALU_DEP_1) | instskip(NEXT) | instid1(VALU_DEP_1)
	v_fmaak_f32 v83, v82, v83, 0x3e088382
	v_fmaak_f32 v83, v82, v83, 0xbeaaaa99
	s_delay_alu instid0(VALU_DEP_1) | instskip(NEXT) | instid1(VALU_DEP_1)
	v_mul_f32_e64 v83, |v103|, v83
	v_fma_f32 v249, v82, v83, |v103|
; %bb.249:                              ;   in Loop: Header=BB25_14 Depth=1
	s_or_b32 exec_lo, exec_lo, s0
	s_clause 0x1
	scratch_load_b128 v[128:131], off, off offset:32
	scratch_load_b128 v[132:135], off, off offset:48
	v_dual_mov_b32 v89, s43 :: v_dual_mov_b32 v88, s42
	v_dual_mov_b32 v87, s41 :: v_dual_mov_b32 v86, s40
	;; [unrolled: 1-line block ×4, first 2 shown]
	s_waitcnt vmcnt(0)
	s_delay_alu instid0(VALU_DEP_1) | instskip(NEXT) | instid1(VALU_DEP_1)
	v_wmma_f32_16x16x16_f16 v[104:111], v[72:79], v[128:135], v[82:89]
	v_wmma_f32_16x16x16_f16 v[104:111], v[64:71], v[120:127], v[104:111]
	s_delay_alu instid0(VALU_DEP_1) | instskip(NEXT) | instid1(VALU_DEP_1)
	v_wmma_f32_16x16x16_f16 v[104:111], v[56:63], v[136:143], v[104:111]
	v_wmma_f32_16x16x16_f16 v[104:111], v[48:55], v[144:151], v[104:111]
	s_delay_alu instid0(VALU_DEP_1) | instskip(NEXT) | instid1(VALU_DEP_1)
	v_wmma_f32_16x16x16_f16 v[104:111], v[40:47], v[152:159], v[104:111]
                                        ; implicit-def: $vgpr40
	v_wmma_f32_16x16x16_f16 v[104:111], v[32:39], v[160:167], v[104:111]
	s_clause 0x1
	scratch_load_b128 v[32:35], off, off offset:64
	scratch_load_b128 v[36:39], off, off offset:80
	s_waitcnt vmcnt(0)
	v_wmma_f32_16x16x16_f16 v[104:111], v[112:119], v[32:39], v[104:111]
	s_clause 0x1
	scratch_load_b128 v[32:35], off, off offset:96
	scratch_load_b128 v[36:39], off, off offset:112
	s_waitcnt vmcnt(0)
	v_wmma_f32_16x16x16_f16 v[104:111], v[208:215], v[32:39], v[104:111]
	s_delay_alu instid0(VALU_DEP_1) | instskip(NEXT) | instid1(VALU_DEP_1)
	v_cmp_ngt_f32_e64 s0, 0x3f200000, |v104|
	s_and_saveexec_b32 s1, s0
	s_delay_alu instid0(SALU_CYCLE_1)
	s_xor_b32 s0, exec_lo, s1
	s_cbranch_execz .LBB25_251
; %bb.250:                              ;   in Loop: Header=BB25_14 Depth=1
	v_add_f32_e64 v32, |v104|, |v104|
	s_delay_alu instid0(VALU_DEP_1) | instskip(SKIP_1) | instid1(VALU_DEP_2)
	v_mul_f32_e32 v33, 0x3fb8aa3b, v32
	v_cmp_ngt_f32_e32 vcc_lo, 0xc2ce8ed0, v32
	v_rndne_f32_e32 v34, v33
	v_fma_f32 v35, 0x3fb8aa3b, v32, -v33
	s_delay_alu instid0(VALU_DEP_2) | instskip(NEXT) | instid1(VALU_DEP_2)
	v_sub_f32_e32 v33, v33, v34
	v_fmac_f32_e32 v35, 0x32a5705f, v32
	v_cvt_i32_f32_e32 v34, v34
	s_delay_alu instid0(VALU_DEP_2) | instskip(NEXT) | instid1(VALU_DEP_1)
	v_add_f32_e32 v33, v33, v35
	v_exp_f32_e32 v33, v33
	s_waitcnt_depctr 0xfff
	v_ldexp_f32 v33, v33, v34
	s_delay_alu instid0(VALU_DEP_1) | instskip(SKIP_1) | instid1(VALU_DEP_2)
	v_cndmask_b32_e32 v33, 0, v33, vcc_lo
	v_cmp_nlt_f32_e32 vcc_lo, 0x42b17218, v32
	v_cndmask_b32_e32 v32, 0x7f800000, v33, vcc_lo
	s_delay_alu instid0(VALU_DEP_1) | instskip(NEXT) | instid1(VALU_DEP_1)
	v_add_f32_e32 v32, 1.0, v32
	v_rcp_f32_e32 v32, v32
	s_waitcnt_depctr 0xfff
	v_fma_f32 v40, v32, -2.0, 1.0
.LBB25_251:                             ;   in Loop: Header=BB25_14 Depth=1
	s_and_not1_saveexec_b32 s0, s0
; %bb.252:                              ;   in Loop: Header=BB25_14 Depth=1
	v_mul_f32_e32 v32, v104, v104
	s_delay_alu instid0(VALU_DEP_1) | instskip(NEXT) | instid1(VALU_DEP_1)
	v_fmaak_f32 v33, s51, v32, 0x3ca908c9
	v_fmaak_f32 v33, v32, v33, 0xbd5c1c4e
	s_delay_alu instid0(VALU_DEP_1) | instskip(NEXT) | instid1(VALU_DEP_1)
	v_fmaak_f32 v33, v32, v33, 0x3e088382
	v_fmaak_f32 v33, v32, v33, 0xbeaaaa99
	s_delay_alu instid0(VALU_DEP_1) | instskip(NEXT) | instid1(VALU_DEP_1)
	v_mul_f32_e64 v33, |v104|, v33
	v_fma_f32 v40, v32, v33, |v104|
; %bb.253:                              ;   in Loop: Header=BB25_14 Depth=1
	s_or_b32 exec_lo, exec_lo, s0
	v_cmp_ngt_f32_e64 s0, 0x3f200000, |v105|
                                        ; implicit-def: $vgpr41
	s_delay_alu instid0(VALU_DEP_1) | instskip(NEXT) | instid1(SALU_CYCLE_1)
	s_and_saveexec_b32 s1, s0
	s_xor_b32 s0, exec_lo, s1
	s_cbranch_execz .LBB25_255
; %bb.254:                              ;   in Loop: Header=BB25_14 Depth=1
	v_add_f32_e64 v32, |v105|, |v105|
	s_delay_alu instid0(VALU_DEP_1) | instskip(SKIP_1) | instid1(VALU_DEP_2)
	v_mul_f32_e32 v33, 0x3fb8aa3b, v32
	v_cmp_ngt_f32_e32 vcc_lo, 0xc2ce8ed0, v32
	v_rndne_f32_e32 v34, v33
	v_fma_f32 v35, 0x3fb8aa3b, v32, -v33
	s_delay_alu instid0(VALU_DEP_2) | instskip(NEXT) | instid1(VALU_DEP_2)
	v_sub_f32_e32 v33, v33, v34
	v_fmac_f32_e32 v35, 0x32a5705f, v32
	v_cvt_i32_f32_e32 v34, v34
	s_delay_alu instid0(VALU_DEP_2) | instskip(NEXT) | instid1(VALU_DEP_1)
	v_add_f32_e32 v33, v33, v35
	v_exp_f32_e32 v33, v33
	s_waitcnt_depctr 0xfff
	v_ldexp_f32 v33, v33, v34
	s_delay_alu instid0(VALU_DEP_1) | instskip(SKIP_1) | instid1(VALU_DEP_2)
	v_cndmask_b32_e32 v33, 0, v33, vcc_lo
	v_cmp_nlt_f32_e32 vcc_lo, 0x42b17218, v32
	v_cndmask_b32_e32 v32, 0x7f800000, v33, vcc_lo
	s_delay_alu instid0(VALU_DEP_1) | instskip(NEXT) | instid1(VALU_DEP_1)
	v_add_f32_e32 v32, 1.0, v32
	v_rcp_f32_e32 v32, v32
	s_waitcnt_depctr 0xfff
	v_fma_f32 v41, v32, -2.0, 1.0
.LBB25_255:                             ;   in Loop: Header=BB25_14 Depth=1
	s_and_not1_saveexec_b32 s0, s0
; %bb.256:                              ;   in Loop: Header=BB25_14 Depth=1
	v_mul_f32_e32 v32, v105, v105
	s_delay_alu instid0(VALU_DEP_1) | instskip(NEXT) | instid1(VALU_DEP_1)
	v_fmaak_f32 v33, s51, v32, 0x3ca908c9
	v_fmaak_f32 v33, v32, v33, 0xbd5c1c4e
	s_delay_alu instid0(VALU_DEP_1) | instskip(NEXT) | instid1(VALU_DEP_1)
	v_fmaak_f32 v33, v32, v33, 0x3e088382
	v_fmaak_f32 v33, v32, v33, 0xbeaaaa99
	s_delay_alu instid0(VALU_DEP_1) | instskip(NEXT) | instid1(VALU_DEP_1)
	v_mul_f32_e64 v33, |v105|, v33
	v_fma_f32 v41, v32, v33, |v105|
; %bb.257:                              ;   in Loop: Header=BB25_14 Depth=1
	s_or_b32 exec_lo, exec_lo, s0
	v_cmp_ngt_f32_e64 s0, 0x3f200000, |v106|
                                        ; implicit-def: $vgpr42
	s_delay_alu instid0(VALU_DEP_1) | instskip(NEXT) | instid1(SALU_CYCLE_1)
	s_and_saveexec_b32 s1, s0
	s_xor_b32 s0, exec_lo, s1
	s_cbranch_execz .LBB25_259
; %bb.258:                              ;   in Loop: Header=BB25_14 Depth=1
	v_add_f32_e64 v32, |v106|, |v106|
	s_delay_alu instid0(VALU_DEP_1) | instskip(SKIP_1) | instid1(VALU_DEP_2)
	v_mul_f32_e32 v33, 0x3fb8aa3b, v32
	v_cmp_ngt_f32_e32 vcc_lo, 0xc2ce8ed0, v32
	v_rndne_f32_e32 v34, v33
	v_fma_f32 v35, 0x3fb8aa3b, v32, -v33
	s_delay_alu instid0(VALU_DEP_2) | instskip(NEXT) | instid1(VALU_DEP_2)
	v_sub_f32_e32 v33, v33, v34
	v_fmac_f32_e32 v35, 0x32a5705f, v32
	v_cvt_i32_f32_e32 v34, v34
	s_delay_alu instid0(VALU_DEP_2) | instskip(NEXT) | instid1(VALU_DEP_1)
	v_add_f32_e32 v33, v33, v35
	v_exp_f32_e32 v33, v33
	s_waitcnt_depctr 0xfff
	v_ldexp_f32 v33, v33, v34
	s_delay_alu instid0(VALU_DEP_1) | instskip(SKIP_1) | instid1(VALU_DEP_2)
	v_cndmask_b32_e32 v33, 0, v33, vcc_lo
	v_cmp_nlt_f32_e32 vcc_lo, 0x42b17218, v32
	v_cndmask_b32_e32 v32, 0x7f800000, v33, vcc_lo
	s_delay_alu instid0(VALU_DEP_1) | instskip(NEXT) | instid1(VALU_DEP_1)
	v_add_f32_e32 v32, 1.0, v32
	v_rcp_f32_e32 v32, v32
	s_waitcnt_depctr 0xfff
	v_fma_f32 v42, v32, -2.0, 1.0
.LBB25_259:                             ;   in Loop: Header=BB25_14 Depth=1
	s_and_not1_saveexec_b32 s0, s0
; %bb.260:                              ;   in Loop: Header=BB25_14 Depth=1
	v_mul_f32_e32 v32, v106, v106
	s_delay_alu instid0(VALU_DEP_1) | instskip(NEXT) | instid1(VALU_DEP_1)
	v_fmaak_f32 v33, s51, v32, 0x3ca908c9
	v_fmaak_f32 v33, v32, v33, 0xbd5c1c4e
	s_delay_alu instid0(VALU_DEP_1) | instskip(NEXT) | instid1(VALU_DEP_1)
	v_fmaak_f32 v33, v32, v33, 0x3e088382
	v_fmaak_f32 v33, v32, v33, 0xbeaaaa99
	s_delay_alu instid0(VALU_DEP_1) | instskip(NEXT) | instid1(VALU_DEP_1)
	v_mul_f32_e64 v33, |v106|, v33
	v_fma_f32 v42, v32, v33, |v106|
; %bb.261:                              ;   in Loop: Header=BB25_14 Depth=1
	s_or_b32 exec_lo, exec_lo, s0
	v_cmp_ngt_f32_e64 s0, 0x3f200000, |v107|
                                        ; implicit-def: $vgpr43
	s_delay_alu instid0(VALU_DEP_1) | instskip(NEXT) | instid1(SALU_CYCLE_1)
	s_and_saveexec_b32 s1, s0
	s_xor_b32 s0, exec_lo, s1
	s_cbranch_execz .LBB25_263
; %bb.262:                              ;   in Loop: Header=BB25_14 Depth=1
	v_add_f32_e64 v32, |v107|, |v107|
	s_delay_alu instid0(VALU_DEP_1) | instskip(SKIP_1) | instid1(VALU_DEP_2)
	v_mul_f32_e32 v33, 0x3fb8aa3b, v32
	v_cmp_ngt_f32_e32 vcc_lo, 0xc2ce8ed0, v32
	v_rndne_f32_e32 v34, v33
	v_fma_f32 v35, 0x3fb8aa3b, v32, -v33
	s_delay_alu instid0(VALU_DEP_2) | instskip(NEXT) | instid1(VALU_DEP_2)
	v_sub_f32_e32 v33, v33, v34
	v_fmac_f32_e32 v35, 0x32a5705f, v32
	v_cvt_i32_f32_e32 v34, v34
	s_delay_alu instid0(VALU_DEP_2) | instskip(NEXT) | instid1(VALU_DEP_1)
	v_add_f32_e32 v33, v33, v35
	v_exp_f32_e32 v33, v33
	s_waitcnt_depctr 0xfff
	v_ldexp_f32 v33, v33, v34
	s_delay_alu instid0(VALU_DEP_1) | instskip(SKIP_1) | instid1(VALU_DEP_2)
	v_cndmask_b32_e32 v33, 0, v33, vcc_lo
	v_cmp_nlt_f32_e32 vcc_lo, 0x42b17218, v32
	v_cndmask_b32_e32 v32, 0x7f800000, v33, vcc_lo
	s_delay_alu instid0(VALU_DEP_1) | instskip(NEXT) | instid1(VALU_DEP_1)
	v_add_f32_e32 v32, 1.0, v32
	v_rcp_f32_e32 v32, v32
	s_waitcnt_depctr 0xfff
	v_fma_f32 v43, v32, -2.0, 1.0
.LBB25_263:                             ;   in Loop: Header=BB25_14 Depth=1
	s_and_not1_saveexec_b32 s0, s0
; %bb.264:                              ;   in Loop: Header=BB25_14 Depth=1
	v_mul_f32_e32 v32, v107, v107
	s_delay_alu instid0(VALU_DEP_1) | instskip(NEXT) | instid1(VALU_DEP_1)
	v_fmaak_f32 v33, s51, v32, 0x3ca908c9
	v_fmaak_f32 v33, v32, v33, 0xbd5c1c4e
	s_delay_alu instid0(VALU_DEP_1) | instskip(NEXT) | instid1(VALU_DEP_1)
	v_fmaak_f32 v33, v32, v33, 0x3e088382
	v_fmaak_f32 v33, v32, v33, 0xbeaaaa99
	s_delay_alu instid0(VALU_DEP_1) | instskip(NEXT) | instid1(VALU_DEP_1)
	v_mul_f32_e64 v33, |v107|, v33
	v_fma_f32 v43, v32, v33, |v107|
; %bb.265:                              ;   in Loop: Header=BB25_14 Depth=1
	s_or_b32 exec_lo, exec_lo, s0
	v_cmp_ngt_f32_e64 s0, 0x3f200000, |v108|
                                        ; implicit-def: $vgpr44
	s_delay_alu instid0(VALU_DEP_1) | instskip(NEXT) | instid1(SALU_CYCLE_1)
	s_and_saveexec_b32 s1, s0
	s_xor_b32 s0, exec_lo, s1
	s_cbranch_execz .LBB25_267
; %bb.266:                              ;   in Loop: Header=BB25_14 Depth=1
	v_add_f32_e64 v32, |v108|, |v108|
	s_delay_alu instid0(VALU_DEP_1) | instskip(SKIP_1) | instid1(VALU_DEP_2)
	v_mul_f32_e32 v33, 0x3fb8aa3b, v32
	v_cmp_ngt_f32_e32 vcc_lo, 0xc2ce8ed0, v32
	v_rndne_f32_e32 v34, v33
	v_fma_f32 v35, 0x3fb8aa3b, v32, -v33
	s_delay_alu instid0(VALU_DEP_2) | instskip(NEXT) | instid1(VALU_DEP_2)
	v_sub_f32_e32 v33, v33, v34
	v_fmac_f32_e32 v35, 0x32a5705f, v32
	v_cvt_i32_f32_e32 v34, v34
	s_delay_alu instid0(VALU_DEP_2) | instskip(NEXT) | instid1(VALU_DEP_1)
	v_add_f32_e32 v33, v33, v35
	v_exp_f32_e32 v33, v33
	s_waitcnt_depctr 0xfff
	v_ldexp_f32 v33, v33, v34
	s_delay_alu instid0(VALU_DEP_1) | instskip(SKIP_1) | instid1(VALU_DEP_2)
	v_cndmask_b32_e32 v33, 0, v33, vcc_lo
	v_cmp_nlt_f32_e32 vcc_lo, 0x42b17218, v32
	v_cndmask_b32_e32 v32, 0x7f800000, v33, vcc_lo
	s_delay_alu instid0(VALU_DEP_1) | instskip(NEXT) | instid1(VALU_DEP_1)
	v_add_f32_e32 v32, 1.0, v32
	v_rcp_f32_e32 v32, v32
	s_waitcnt_depctr 0xfff
	v_fma_f32 v44, v32, -2.0, 1.0
.LBB25_267:                             ;   in Loop: Header=BB25_14 Depth=1
	s_and_not1_saveexec_b32 s0, s0
; %bb.268:                              ;   in Loop: Header=BB25_14 Depth=1
	v_mul_f32_e32 v32, v108, v108
	s_delay_alu instid0(VALU_DEP_1) | instskip(NEXT) | instid1(VALU_DEP_1)
	v_fmaak_f32 v33, s51, v32, 0x3ca908c9
	v_fmaak_f32 v33, v32, v33, 0xbd5c1c4e
	s_delay_alu instid0(VALU_DEP_1) | instskip(NEXT) | instid1(VALU_DEP_1)
	v_fmaak_f32 v33, v32, v33, 0x3e088382
	v_fmaak_f32 v33, v32, v33, 0xbeaaaa99
	s_delay_alu instid0(VALU_DEP_1) | instskip(NEXT) | instid1(VALU_DEP_1)
	v_mul_f32_e64 v33, |v108|, v33
	v_fma_f32 v44, v32, v33, |v108|
; %bb.269:                              ;   in Loop: Header=BB25_14 Depth=1
	s_or_b32 exec_lo, exec_lo, s0
	v_cmp_ngt_f32_e64 s0, 0x3f200000, |v109|
                                        ; implicit-def: $vgpr45
	s_delay_alu instid0(VALU_DEP_1) | instskip(NEXT) | instid1(SALU_CYCLE_1)
	s_and_saveexec_b32 s1, s0
	s_xor_b32 s0, exec_lo, s1
	s_cbranch_execz .LBB25_271
; %bb.270:                              ;   in Loop: Header=BB25_14 Depth=1
	v_add_f32_e64 v32, |v109|, |v109|
	s_delay_alu instid0(VALU_DEP_1) | instskip(SKIP_1) | instid1(VALU_DEP_2)
	v_mul_f32_e32 v33, 0x3fb8aa3b, v32
	v_cmp_ngt_f32_e32 vcc_lo, 0xc2ce8ed0, v32
	v_rndne_f32_e32 v34, v33
	v_fma_f32 v35, 0x3fb8aa3b, v32, -v33
	s_delay_alu instid0(VALU_DEP_2) | instskip(NEXT) | instid1(VALU_DEP_2)
	v_sub_f32_e32 v33, v33, v34
	v_fmac_f32_e32 v35, 0x32a5705f, v32
	v_cvt_i32_f32_e32 v34, v34
	s_delay_alu instid0(VALU_DEP_2) | instskip(NEXT) | instid1(VALU_DEP_1)
	v_add_f32_e32 v33, v33, v35
	v_exp_f32_e32 v33, v33
	s_waitcnt_depctr 0xfff
	v_ldexp_f32 v33, v33, v34
	s_delay_alu instid0(VALU_DEP_1) | instskip(SKIP_1) | instid1(VALU_DEP_2)
	v_cndmask_b32_e32 v33, 0, v33, vcc_lo
	v_cmp_nlt_f32_e32 vcc_lo, 0x42b17218, v32
	v_cndmask_b32_e32 v32, 0x7f800000, v33, vcc_lo
	s_delay_alu instid0(VALU_DEP_1) | instskip(NEXT) | instid1(VALU_DEP_1)
	v_add_f32_e32 v32, 1.0, v32
	v_rcp_f32_e32 v32, v32
	s_waitcnt_depctr 0xfff
	v_fma_f32 v45, v32, -2.0, 1.0
.LBB25_271:                             ;   in Loop: Header=BB25_14 Depth=1
	s_and_not1_saveexec_b32 s0, s0
; %bb.272:                              ;   in Loop: Header=BB25_14 Depth=1
	v_mul_f32_e32 v32, v109, v109
	s_delay_alu instid0(VALU_DEP_1) | instskip(NEXT) | instid1(VALU_DEP_1)
	v_fmaak_f32 v33, s51, v32, 0x3ca908c9
	v_fmaak_f32 v33, v32, v33, 0xbd5c1c4e
	s_delay_alu instid0(VALU_DEP_1) | instskip(NEXT) | instid1(VALU_DEP_1)
	v_fmaak_f32 v33, v32, v33, 0x3e088382
	v_fmaak_f32 v33, v32, v33, 0xbeaaaa99
	s_delay_alu instid0(VALU_DEP_1) | instskip(NEXT) | instid1(VALU_DEP_1)
	v_mul_f32_e64 v33, |v109|, v33
	v_fma_f32 v45, v32, v33, |v109|
; %bb.273:                              ;   in Loop: Header=BB25_14 Depth=1
	s_or_b32 exec_lo, exec_lo, s0
	v_cmp_ngt_f32_e64 s0, 0x3f200000, |v110|
                                        ; implicit-def: $vgpr46
	s_delay_alu instid0(VALU_DEP_1) | instskip(NEXT) | instid1(SALU_CYCLE_1)
	s_and_saveexec_b32 s1, s0
	s_xor_b32 s0, exec_lo, s1
	s_cbranch_execz .LBB25_275
; %bb.274:                              ;   in Loop: Header=BB25_14 Depth=1
	v_add_f32_e64 v32, |v110|, |v110|
	s_delay_alu instid0(VALU_DEP_1) | instskip(SKIP_1) | instid1(VALU_DEP_2)
	v_mul_f32_e32 v33, 0x3fb8aa3b, v32
	v_cmp_ngt_f32_e32 vcc_lo, 0xc2ce8ed0, v32
	v_rndne_f32_e32 v34, v33
	v_fma_f32 v35, 0x3fb8aa3b, v32, -v33
	s_delay_alu instid0(VALU_DEP_2) | instskip(NEXT) | instid1(VALU_DEP_2)
	v_sub_f32_e32 v33, v33, v34
	v_fmac_f32_e32 v35, 0x32a5705f, v32
	v_cvt_i32_f32_e32 v34, v34
	s_delay_alu instid0(VALU_DEP_2) | instskip(NEXT) | instid1(VALU_DEP_1)
	v_add_f32_e32 v33, v33, v35
	v_exp_f32_e32 v33, v33
	s_waitcnt_depctr 0xfff
	v_ldexp_f32 v33, v33, v34
	s_delay_alu instid0(VALU_DEP_1) | instskip(SKIP_1) | instid1(VALU_DEP_2)
	v_cndmask_b32_e32 v33, 0, v33, vcc_lo
	v_cmp_nlt_f32_e32 vcc_lo, 0x42b17218, v32
	v_cndmask_b32_e32 v32, 0x7f800000, v33, vcc_lo
	s_delay_alu instid0(VALU_DEP_1) | instskip(NEXT) | instid1(VALU_DEP_1)
	v_add_f32_e32 v32, 1.0, v32
	v_rcp_f32_e32 v32, v32
	s_waitcnt_depctr 0xfff
	v_fma_f32 v46, v32, -2.0, 1.0
.LBB25_275:                             ;   in Loop: Header=BB25_14 Depth=1
	s_and_not1_saveexec_b32 s0, s0
; %bb.276:                              ;   in Loop: Header=BB25_14 Depth=1
	v_mul_f32_e32 v32, v110, v110
	s_delay_alu instid0(VALU_DEP_1) | instskip(NEXT) | instid1(VALU_DEP_1)
	v_fmaak_f32 v33, s51, v32, 0x3ca908c9
	v_fmaak_f32 v33, v32, v33, 0xbd5c1c4e
	s_delay_alu instid0(VALU_DEP_1) | instskip(NEXT) | instid1(VALU_DEP_1)
	v_fmaak_f32 v33, v32, v33, 0x3e088382
	v_fmaak_f32 v33, v32, v33, 0xbeaaaa99
	s_delay_alu instid0(VALU_DEP_1) | instskip(NEXT) | instid1(VALU_DEP_1)
	v_mul_f32_e64 v33, |v110|, v33
	v_fma_f32 v46, v32, v33, |v110|
; %bb.277:                              ;   in Loop: Header=BB25_14 Depth=1
	s_or_b32 exec_lo, exec_lo, s0
	v_cmp_ngt_f32_e64 s0, 0x3f200000, |v111|
                                        ; implicit-def: $vgpr47
	s_delay_alu instid0(VALU_DEP_1) | instskip(NEXT) | instid1(SALU_CYCLE_1)
	s_and_saveexec_b32 s1, s0
	s_xor_b32 s0, exec_lo, s1
	s_cbranch_execz .LBB25_279
; %bb.278:                              ;   in Loop: Header=BB25_14 Depth=1
	v_add_f32_e64 v32, |v111|, |v111|
	s_delay_alu instid0(VALU_DEP_1) | instskip(SKIP_1) | instid1(VALU_DEP_2)
	v_mul_f32_e32 v33, 0x3fb8aa3b, v32
	v_cmp_ngt_f32_e32 vcc_lo, 0xc2ce8ed0, v32
	v_rndne_f32_e32 v34, v33
	v_fma_f32 v35, 0x3fb8aa3b, v32, -v33
	s_delay_alu instid0(VALU_DEP_2) | instskip(NEXT) | instid1(VALU_DEP_2)
	v_sub_f32_e32 v33, v33, v34
	v_fmac_f32_e32 v35, 0x32a5705f, v32
	v_cvt_i32_f32_e32 v34, v34
	s_delay_alu instid0(VALU_DEP_2) | instskip(NEXT) | instid1(VALU_DEP_1)
	v_add_f32_e32 v33, v33, v35
	v_exp_f32_e32 v33, v33
	s_waitcnt_depctr 0xfff
	v_ldexp_f32 v33, v33, v34
	s_delay_alu instid0(VALU_DEP_1) | instskip(SKIP_1) | instid1(VALU_DEP_2)
	v_cndmask_b32_e32 v33, 0, v33, vcc_lo
	v_cmp_nlt_f32_e32 vcc_lo, 0x42b17218, v32
	v_cndmask_b32_e32 v32, 0x7f800000, v33, vcc_lo
	s_delay_alu instid0(VALU_DEP_1) | instskip(NEXT) | instid1(VALU_DEP_1)
	v_add_f32_e32 v32, 1.0, v32
	v_rcp_f32_e32 v32, v32
	s_waitcnt_depctr 0xfff
	v_fma_f32 v47, v32, -2.0, 1.0
.LBB25_279:                             ;   in Loop: Header=BB25_14 Depth=1
	s_and_not1_saveexec_b32 s0, s0
; %bb.280:                              ;   in Loop: Header=BB25_14 Depth=1
	v_mul_f32_e32 v32, v111, v111
	s_delay_alu instid0(VALU_DEP_1) | instskip(NEXT) | instid1(VALU_DEP_1)
	v_fmaak_f32 v33, s51, v32, 0x3ca908c9
	v_fmaak_f32 v33, v32, v33, 0xbd5c1c4e
	s_delay_alu instid0(VALU_DEP_1) | instskip(NEXT) | instid1(VALU_DEP_1)
	v_fmaak_f32 v33, v32, v33, 0x3e088382
	v_fmaak_f32 v33, v32, v33, 0xbeaaaa99
	s_delay_alu instid0(VALU_DEP_1) | instskip(NEXT) | instid1(VALU_DEP_1)
	v_mul_f32_e64 v33, |v111|, v33
	v_fma_f32 v47, v32, v33, |v111|
; %bb.281:                              ;   in Loop: Header=BB25_14 Depth=1
	s_or_b32 exec_lo, exec_lo, s0
	s_clause 0x1
	scratch_load_b128 v[72:75], off, off offset:32
	scratch_load_b128 v[76:79], off, off offset:48
	v_dual_mov_b32 v32, s36 :: v_dual_mov_b32 v33, s37
	v_dual_mov_b32 v34, s38 :: v_dual_mov_b32 v35, s39
	;; [unrolled: 1-line block ×16, first 2 shown]
                                        ; implicit-def: $vgpr48
	s_waitcnt vmcnt(0)
	v_wmma_f32_16x16x16_f16 v[208:215], v[240:247], v[72:79], v[32:39]
	s_delay_alu instid0(VALU_DEP_1) | instskip(SKIP_2) | instid1(VALU_DEP_3)
	v_wmma_f32_16x16x16_f16 v[208:215], v[232:239], v[120:127], v[208:215]
	v_dual_mov_b32 v120, v152 :: v_dual_mov_b32 v121, v153
	v_dual_mov_b32 v122, v154 :: v_dual_mov_b32 v123, v155
	v_wmma_f32_16x16x16_f16 v[208:215], v[224:231], v[136:143], v[208:215]
	s_clause 0x1
	scratch_load_b128 v[136:139], off, off offset:64
	scratch_load_b128 v[140:143], off, off offset:80
	v_dual_mov_b32 v124, v156 :: v_dual_mov_b32 v125, v157
	v_dual_mov_b32 v126, v158 :: v_dual_mov_b32 v127, v159
	v_wmma_f32_16x16x16_f16 v[208:215], v[216:223], v[144:151], v[208:215]
	s_clause 0x1
	scratch_load_b128 v[144:147], off, off offset:96
	scratch_load_b128 v[148:151], off, off offset:112
	v_wmma_f32_16x16x16_f16 v[208:215], v[200:207], v[152:159], v[208:215]
	s_delay_alu instid0(VALU_DEP_1) | instskip(SKIP_1) | instid1(VALU_DEP_1)
	v_wmma_f32_16x16x16_f16 v[208:215], v[192:199], v[160:167], v[208:215]
	s_waitcnt vmcnt(2)
	v_wmma_f32_16x16x16_f16 v[208:215], v[184:191], v[136:143], v[208:215]
	s_waitcnt vmcnt(0)
	s_delay_alu instid0(VALU_DEP_1) | instskip(NEXT) | instid1(VALU_DEP_1)
	v_wmma_f32_16x16x16_f16 v[208:215], v[176:183], v[144:151], v[208:215]
	v_cmp_ngt_f32_e64 s0, 0x3f200000, |v208|
	s_delay_alu instid0(VALU_DEP_1) | instskip(NEXT) | instid1(SALU_CYCLE_1)
	s_and_saveexec_b32 s1, s0
	s_xor_b32 s0, exec_lo, s1
	s_cbranch_execz .LBB25_283
; %bb.282:                              ;   in Loop: Header=BB25_14 Depth=1
	v_add_f32_e64 v32, |v208|, |v208|
	s_delay_alu instid0(VALU_DEP_1) | instskip(SKIP_1) | instid1(VALU_DEP_2)
	v_mul_f32_e32 v33, 0x3fb8aa3b, v32
	v_cmp_ngt_f32_e32 vcc_lo, 0xc2ce8ed0, v32
	v_rndne_f32_e32 v34, v33
	v_fma_f32 v35, 0x3fb8aa3b, v32, -v33
	s_delay_alu instid0(VALU_DEP_2) | instskip(NEXT) | instid1(VALU_DEP_2)
	v_sub_f32_e32 v33, v33, v34
	v_fmac_f32_e32 v35, 0x32a5705f, v32
	v_cvt_i32_f32_e32 v34, v34
	s_delay_alu instid0(VALU_DEP_2) | instskip(NEXT) | instid1(VALU_DEP_1)
	v_add_f32_e32 v33, v33, v35
	v_exp_f32_e32 v33, v33
	s_waitcnt_depctr 0xfff
	v_ldexp_f32 v33, v33, v34
	s_delay_alu instid0(VALU_DEP_1) | instskip(SKIP_1) | instid1(VALU_DEP_2)
	v_cndmask_b32_e32 v33, 0, v33, vcc_lo
	v_cmp_nlt_f32_e32 vcc_lo, 0x42b17218, v32
	v_cndmask_b32_e32 v32, 0x7f800000, v33, vcc_lo
	s_delay_alu instid0(VALU_DEP_1) | instskip(NEXT) | instid1(VALU_DEP_1)
	v_add_f32_e32 v32, 1.0, v32
	v_rcp_f32_e32 v32, v32
	s_waitcnt_depctr 0xfff
	v_fma_f32 v48, v32, -2.0, 1.0
.LBB25_283:                             ;   in Loop: Header=BB25_14 Depth=1
	s_and_not1_saveexec_b32 s0, s0
; %bb.284:                              ;   in Loop: Header=BB25_14 Depth=1
	v_mul_f32_e32 v32, v208, v208
	s_delay_alu instid0(VALU_DEP_1) | instskip(NEXT) | instid1(VALU_DEP_1)
	v_fmaak_f32 v33, s51, v32, 0x3ca908c9
	v_fmaak_f32 v33, v32, v33, 0xbd5c1c4e
	s_delay_alu instid0(VALU_DEP_1) | instskip(NEXT) | instid1(VALU_DEP_1)
	v_fmaak_f32 v33, v32, v33, 0x3e088382
	v_fmaak_f32 v33, v32, v33, 0xbeaaaa99
	s_delay_alu instid0(VALU_DEP_1) | instskip(NEXT) | instid1(VALU_DEP_1)
	v_mul_f32_e64 v33, |v208|, v33
	v_fma_f32 v48, v32, v33, |v208|
; %bb.285:                              ;   in Loop: Header=BB25_14 Depth=1
	s_or_b32 exec_lo, exec_lo, s0
	v_cmp_ngt_f32_e64 s0, 0x3f200000, |v209|
                                        ; implicit-def: $vgpr49
	s_delay_alu instid0(VALU_DEP_1) | instskip(NEXT) | instid1(SALU_CYCLE_1)
	s_and_saveexec_b32 s1, s0
	s_xor_b32 s0, exec_lo, s1
	s_cbranch_execz .LBB25_287
; %bb.286:                              ;   in Loop: Header=BB25_14 Depth=1
	v_add_f32_e64 v32, |v209|, |v209|
	s_delay_alu instid0(VALU_DEP_1) | instskip(SKIP_1) | instid1(VALU_DEP_2)
	v_mul_f32_e32 v33, 0x3fb8aa3b, v32
	v_cmp_ngt_f32_e32 vcc_lo, 0xc2ce8ed0, v32
	v_rndne_f32_e32 v34, v33
	v_fma_f32 v35, 0x3fb8aa3b, v32, -v33
	s_delay_alu instid0(VALU_DEP_2) | instskip(NEXT) | instid1(VALU_DEP_2)
	v_sub_f32_e32 v33, v33, v34
	v_fmac_f32_e32 v35, 0x32a5705f, v32
	v_cvt_i32_f32_e32 v34, v34
	s_delay_alu instid0(VALU_DEP_2) | instskip(NEXT) | instid1(VALU_DEP_1)
	v_add_f32_e32 v33, v33, v35
	v_exp_f32_e32 v33, v33
	s_waitcnt_depctr 0xfff
	v_ldexp_f32 v33, v33, v34
	s_delay_alu instid0(VALU_DEP_1) | instskip(SKIP_1) | instid1(VALU_DEP_2)
	v_cndmask_b32_e32 v33, 0, v33, vcc_lo
	v_cmp_nlt_f32_e32 vcc_lo, 0x42b17218, v32
	v_cndmask_b32_e32 v32, 0x7f800000, v33, vcc_lo
	s_delay_alu instid0(VALU_DEP_1) | instskip(NEXT) | instid1(VALU_DEP_1)
	v_add_f32_e32 v32, 1.0, v32
	v_rcp_f32_e32 v32, v32
	s_waitcnt_depctr 0xfff
	v_fma_f32 v49, v32, -2.0, 1.0
.LBB25_287:                             ;   in Loop: Header=BB25_14 Depth=1
	s_and_not1_saveexec_b32 s0, s0
; %bb.288:                              ;   in Loop: Header=BB25_14 Depth=1
	v_mul_f32_e32 v32, v209, v209
	s_delay_alu instid0(VALU_DEP_1) | instskip(NEXT) | instid1(VALU_DEP_1)
	v_fmaak_f32 v33, s51, v32, 0x3ca908c9
	v_fmaak_f32 v33, v32, v33, 0xbd5c1c4e
	s_delay_alu instid0(VALU_DEP_1) | instskip(NEXT) | instid1(VALU_DEP_1)
	v_fmaak_f32 v33, v32, v33, 0x3e088382
	v_fmaak_f32 v33, v32, v33, 0xbeaaaa99
	s_delay_alu instid0(VALU_DEP_1) | instskip(NEXT) | instid1(VALU_DEP_1)
	v_mul_f32_e64 v33, |v209|, v33
	v_fma_f32 v49, v32, v33, |v209|
; %bb.289:                              ;   in Loop: Header=BB25_14 Depth=1
	s_or_b32 exec_lo, exec_lo, s0
	v_cmp_ngt_f32_e64 s0, 0x3f200000, |v210|
                                        ; implicit-def: $vgpr50
	s_delay_alu instid0(VALU_DEP_1) | instskip(NEXT) | instid1(SALU_CYCLE_1)
	s_and_saveexec_b32 s1, s0
	s_xor_b32 s0, exec_lo, s1
	s_cbranch_execz .LBB25_291
; %bb.290:                              ;   in Loop: Header=BB25_14 Depth=1
	v_add_f32_e64 v32, |v210|, |v210|
	s_delay_alu instid0(VALU_DEP_1) | instskip(SKIP_1) | instid1(VALU_DEP_2)
	v_mul_f32_e32 v33, 0x3fb8aa3b, v32
	v_cmp_ngt_f32_e32 vcc_lo, 0xc2ce8ed0, v32
	v_rndne_f32_e32 v34, v33
	v_fma_f32 v35, 0x3fb8aa3b, v32, -v33
	s_delay_alu instid0(VALU_DEP_2) | instskip(NEXT) | instid1(VALU_DEP_2)
	v_sub_f32_e32 v33, v33, v34
	v_fmac_f32_e32 v35, 0x32a5705f, v32
	v_cvt_i32_f32_e32 v34, v34
	s_delay_alu instid0(VALU_DEP_2) | instskip(NEXT) | instid1(VALU_DEP_1)
	v_add_f32_e32 v33, v33, v35
	v_exp_f32_e32 v33, v33
	s_waitcnt_depctr 0xfff
	v_ldexp_f32 v33, v33, v34
	s_delay_alu instid0(VALU_DEP_1) | instskip(SKIP_1) | instid1(VALU_DEP_2)
	v_cndmask_b32_e32 v33, 0, v33, vcc_lo
	v_cmp_nlt_f32_e32 vcc_lo, 0x42b17218, v32
	v_cndmask_b32_e32 v32, 0x7f800000, v33, vcc_lo
	s_delay_alu instid0(VALU_DEP_1) | instskip(NEXT) | instid1(VALU_DEP_1)
	v_add_f32_e32 v32, 1.0, v32
	v_rcp_f32_e32 v32, v32
	s_waitcnt_depctr 0xfff
	v_fma_f32 v50, v32, -2.0, 1.0
.LBB25_291:                             ;   in Loop: Header=BB25_14 Depth=1
	s_and_not1_saveexec_b32 s0, s0
; %bb.292:                              ;   in Loop: Header=BB25_14 Depth=1
	v_mul_f32_e32 v32, v210, v210
	s_delay_alu instid0(VALU_DEP_1) | instskip(NEXT) | instid1(VALU_DEP_1)
	v_fmaak_f32 v33, s51, v32, 0x3ca908c9
	v_fmaak_f32 v33, v32, v33, 0xbd5c1c4e
	s_delay_alu instid0(VALU_DEP_1) | instskip(NEXT) | instid1(VALU_DEP_1)
	v_fmaak_f32 v33, v32, v33, 0x3e088382
	v_fmaak_f32 v33, v32, v33, 0xbeaaaa99
	s_delay_alu instid0(VALU_DEP_1) | instskip(NEXT) | instid1(VALU_DEP_1)
	v_mul_f32_e64 v33, |v210|, v33
	v_fma_f32 v50, v32, v33, |v210|
; %bb.293:                              ;   in Loop: Header=BB25_14 Depth=1
	s_or_b32 exec_lo, exec_lo, s0
	v_cmp_ngt_f32_e64 s0, 0x3f200000, |v211|
                                        ; implicit-def: $vgpr51
	s_delay_alu instid0(VALU_DEP_1) | instskip(NEXT) | instid1(SALU_CYCLE_1)
	s_and_saveexec_b32 s1, s0
	s_xor_b32 s0, exec_lo, s1
	s_cbranch_execz .LBB25_295
; %bb.294:                              ;   in Loop: Header=BB25_14 Depth=1
	v_add_f32_e64 v32, |v211|, |v211|
	s_delay_alu instid0(VALU_DEP_1) | instskip(SKIP_1) | instid1(VALU_DEP_2)
	v_mul_f32_e32 v33, 0x3fb8aa3b, v32
	v_cmp_ngt_f32_e32 vcc_lo, 0xc2ce8ed0, v32
	v_rndne_f32_e32 v34, v33
	v_fma_f32 v35, 0x3fb8aa3b, v32, -v33
	s_delay_alu instid0(VALU_DEP_2) | instskip(NEXT) | instid1(VALU_DEP_2)
	v_sub_f32_e32 v33, v33, v34
	v_fmac_f32_e32 v35, 0x32a5705f, v32
	v_cvt_i32_f32_e32 v34, v34
	s_delay_alu instid0(VALU_DEP_2) | instskip(NEXT) | instid1(VALU_DEP_1)
	v_add_f32_e32 v33, v33, v35
	v_exp_f32_e32 v33, v33
	s_waitcnt_depctr 0xfff
	v_ldexp_f32 v33, v33, v34
	s_delay_alu instid0(VALU_DEP_1) | instskip(SKIP_1) | instid1(VALU_DEP_2)
	v_cndmask_b32_e32 v33, 0, v33, vcc_lo
	v_cmp_nlt_f32_e32 vcc_lo, 0x42b17218, v32
	v_cndmask_b32_e32 v32, 0x7f800000, v33, vcc_lo
	s_delay_alu instid0(VALU_DEP_1) | instskip(NEXT) | instid1(VALU_DEP_1)
	v_add_f32_e32 v32, 1.0, v32
	v_rcp_f32_e32 v32, v32
	s_waitcnt_depctr 0xfff
	v_fma_f32 v51, v32, -2.0, 1.0
.LBB25_295:                             ;   in Loop: Header=BB25_14 Depth=1
	s_and_not1_saveexec_b32 s0, s0
; %bb.296:                              ;   in Loop: Header=BB25_14 Depth=1
	v_mul_f32_e32 v32, v211, v211
	s_delay_alu instid0(VALU_DEP_1) | instskip(NEXT) | instid1(VALU_DEP_1)
	v_fmaak_f32 v33, s51, v32, 0x3ca908c9
	v_fmaak_f32 v33, v32, v33, 0xbd5c1c4e
	s_delay_alu instid0(VALU_DEP_1) | instskip(NEXT) | instid1(VALU_DEP_1)
	v_fmaak_f32 v33, v32, v33, 0x3e088382
	v_fmaak_f32 v33, v32, v33, 0xbeaaaa99
	s_delay_alu instid0(VALU_DEP_1) | instskip(NEXT) | instid1(VALU_DEP_1)
	v_mul_f32_e64 v33, |v211|, v33
	v_fma_f32 v51, v32, v33, |v211|
; %bb.297:                              ;   in Loop: Header=BB25_14 Depth=1
	s_or_b32 exec_lo, exec_lo, s0
	v_cmp_ngt_f32_e64 s0, 0x3f200000, |v212|
                                        ; implicit-def: $vgpr52
	s_delay_alu instid0(VALU_DEP_1) | instskip(NEXT) | instid1(SALU_CYCLE_1)
	s_and_saveexec_b32 s1, s0
	s_xor_b32 s0, exec_lo, s1
	s_cbranch_execz .LBB25_299
; %bb.298:                              ;   in Loop: Header=BB25_14 Depth=1
	v_add_f32_e64 v32, |v212|, |v212|
	s_delay_alu instid0(VALU_DEP_1) | instskip(SKIP_1) | instid1(VALU_DEP_2)
	v_mul_f32_e32 v33, 0x3fb8aa3b, v32
	v_cmp_ngt_f32_e32 vcc_lo, 0xc2ce8ed0, v32
	v_rndne_f32_e32 v34, v33
	v_fma_f32 v35, 0x3fb8aa3b, v32, -v33
	s_delay_alu instid0(VALU_DEP_2) | instskip(NEXT) | instid1(VALU_DEP_2)
	v_sub_f32_e32 v33, v33, v34
	v_fmac_f32_e32 v35, 0x32a5705f, v32
	v_cvt_i32_f32_e32 v34, v34
	s_delay_alu instid0(VALU_DEP_2) | instskip(NEXT) | instid1(VALU_DEP_1)
	v_add_f32_e32 v33, v33, v35
	v_exp_f32_e32 v33, v33
	s_waitcnt_depctr 0xfff
	v_ldexp_f32 v33, v33, v34
	s_delay_alu instid0(VALU_DEP_1) | instskip(SKIP_1) | instid1(VALU_DEP_2)
	v_cndmask_b32_e32 v33, 0, v33, vcc_lo
	v_cmp_nlt_f32_e32 vcc_lo, 0x42b17218, v32
	v_cndmask_b32_e32 v32, 0x7f800000, v33, vcc_lo
	s_delay_alu instid0(VALU_DEP_1) | instskip(NEXT) | instid1(VALU_DEP_1)
	v_add_f32_e32 v32, 1.0, v32
	v_rcp_f32_e32 v32, v32
	s_waitcnt_depctr 0xfff
	v_fma_f32 v52, v32, -2.0, 1.0
.LBB25_299:                             ;   in Loop: Header=BB25_14 Depth=1
	s_and_not1_saveexec_b32 s0, s0
; %bb.300:                              ;   in Loop: Header=BB25_14 Depth=1
	v_mul_f32_e32 v32, v212, v212
	s_delay_alu instid0(VALU_DEP_1) | instskip(NEXT) | instid1(VALU_DEP_1)
	v_fmaak_f32 v33, s51, v32, 0x3ca908c9
	v_fmaak_f32 v33, v32, v33, 0xbd5c1c4e
	s_delay_alu instid0(VALU_DEP_1) | instskip(NEXT) | instid1(VALU_DEP_1)
	v_fmaak_f32 v33, v32, v33, 0x3e088382
	v_fmaak_f32 v33, v32, v33, 0xbeaaaa99
	s_delay_alu instid0(VALU_DEP_1) | instskip(NEXT) | instid1(VALU_DEP_1)
	v_mul_f32_e64 v33, |v212|, v33
	v_fma_f32 v52, v32, v33, |v212|
; %bb.301:                              ;   in Loop: Header=BB25_14 Depth=1
	s_or_b32 exec_lo, exec_lo, s0
	v_cmp_ngt_f32_e64 s0, 0x3f200000, |v213|
                                        ; implicit-def: $vgpr53
	s_delay_alu instid0(VALU_DEP_1) | instskip(NEXT) | instid1(SALU_CYCLE_1)
	s_and_saveexec_b32 s1, s0
	s_xor_b32 s0, exec_lo, s1
	s_cbranch_execz .LBB25_303
; %bb.302:                              ;   in Loop: Header=BB25_14 Depth=1
	v_add_f32_e64 v32, |v213|, |v213|
	s_delay_alu instid0(VALU_DEP_1) | instskip(SKIP_1) | instid1(VALU_DEP_2)
	v_mul_f32_e32 v33, 0x3fb8aa3b, v32
	v_cmp_ngt_f32_e32 vcc_lo, 0xc2ce8ed0, v32
	v_rndne_f32_e32 v34, v33
	v_fma_f32 v35, 0x3fb8aa3b, v32, -v33
	s_delay_alu instid0(VALU_DEP_2) | instskip(NEXT) | instid1(VALU_DEP_2)
	v_sub_f32_e32 v33, v33, v34
	v_fmac_f32_e32 v35, 0x32a5705f, v32
	v_cvt_i32_f32_e32 v34, v34
	s_delay_alu instid0(VALU_DEP_2) | instskip(NEXT) | instid1(VALU_DEP_1)
	v_add_f32_e32 v33, v33, v35
	v_exp_f32_e32 v33, v33
	s_waitcnt_depctr 0xfff
	v_ldexp_f32 v33, v33, v34
	s_delay_alu instid0(VALU_DEP_1) | instskip(SKIP_1) | instid1(VALU_DEP_2)
	v_cndmask_b32_e32 v33, 0, v33, vcc_lo
	v_cmp_nlt_f32_e32 vcc_lo, 0x42b17218, v32
	v_cndmask_b32_e32 v32, 0x7f800000, v33, vcc_lo
	s_delay_alu instid0(VALU_DEP_1) | instskip(NEXT) | instid1(VALU_DEP_1)
	v_add_f32_e32 v32, 1.0, v32
	v_rcp_f32_e32 v32, v32
	s_waitcnt_depctr 0xfff
	v_fma_f32 v53, v32, -2.0, 1.0
.LBB25_303:                             ;   in Loop: Header=BB25_14 Depth=1
	s_and_not1_saveexec_b32 s0, s0
; %bb.304:                              ;   in Loop: Header=BB25_14 Depth=1
	v_mul_f32_e32 v32, v213, v213
	s_delay_alu instid0(VALU_DEP_1) | instskip(NEXT) | instid1(VALU_DEP_1)
	v_fmaak_f32 v33, s51, v32, 0x3ca908c9
	v_fmaak_f32 v33, v32, v33, 0xbd5c1c4e
	s_delay_alu instid0(VALU_DEP_1) | instskip(NEXT) | instid1(VALU_DEP_1)
	v_fmaak_f32 v33, v32, v33, 0x3e088382
	v_fmaak_f32 v33, v32, v33, 0xbeaaaa99
	s_delay_alu instid0(VALU_DEP_1) | instskip(NEXT) | instid1(VALU_DEP_1)
	v_mul_f32_e64 v33, |v213|, v33
	v_fma_f32 v53, v32, v33, |v213|
; %bb.305:                              ;   in Loop: Header=BB25_14 Depth=1
	s_or_b32 exec_lo, exec_lo, s0
	v_cmp_ngt_f32_e64 s0, 0x3f200000, |v214|
                                        ; implicit-def: $vgpr54
	s_delay_alu instid0(VALU_DEP_1) | instskip(NEXT) | instid1(SALU_CYCLE_1)
	s_and_saveexec_b32 s1, s0
	s_xor_b32 s0, exec_lo, s1
	s_cbranch_execz .LBB25_307
; %bb.306:                              ;   in Loop: Header=BB25_14 Depth=1
	v_add_f32_e64 v32, |v214|, |v214|
	s_delay_alu instid0(VALU_DEP_1) | instskip(SKIP_1) | instid1(VALU_DEP_2)
	v_mul_f32_e32 v33, 0x3fb8aa3b, v32
	v_cmp_ngt_f32_e32 vcc_lo, 0xc2ce8ed0, v32
	v_rndne_f32_e32 v34, v33
	v_fma_f32 v35, 0x3fb8aa3b, v32, -v33
	s_delay_alu instid0(VALU_DEP_2) | instskip(NEXT) | instid1(VALU_DEP_2)
	v_sub_f32_e32 v33, v33, v34
	v_fmac_f32_e32 v35, 0x32a5705f, v32
	v_cvt_i32_f32_e32 v34, v34
	s_delay_alu instid0(VALU_DEP_2) | instskip(NEXT) | instid1(VALU_DEP_1)
	v_add_f32_e32 v33, v33, v35
	v_exp_f32_e32 v33, v33
	s_waitcnt_depctr 0xfff
	v_ldexp_f32 v33, v33, v34
	s_delay_alu instid0(VALU_DEP_1) | instskip(SKIP_1) | instid1(VALU_DEP_2)
	v_cndmask_b32_e32 v33, 0, v33, vcc_lo
	v_cmp_nlt_f32_e32 vcc_lo, 0x42b17218, v32
	v_cndmask_b32_e32 v32, 0x7f800000, v33, vcc_lo
	s_delay_alu instid0(VALU_DEP_1) | instskip(NEXT) | instid1(VALU_DEP_1)
	v_add_f32_e32 v32, 1.0, v32
	v_rcp_f32_e32 v32, v32
	s_waitcnt_depctr 0xfff
	v_fma_f32 v54, v32, -2.0, 1.0
.LBB25_307:                             ;   in Loop: Header=BB25_14 Depth=1
	s_and_not1_saveexec_b32 s0, s0
; %bb.308:                              ;   in Loop: Header=BB25_14 Depth=1
	v_mul_f32_e32 v32, v214, v214
	s_delay_alu instid0(VALU_DEP_1) | instskip(NEXT) | instid1(VALU_DEP_1)
	v_fmaak_f32 v33, s51, v32, 0x3ca908c9
	v_fmaak_f32 v33, v32, v33, 0xbd5c1c4e
	s_delay_alu instid0(VALU_DEP_1) | instskip(NEXT) | instid1(VALU_DEP_1)
	v_fmaak_f32 v33, v32, v33, 0x3e088382
	v_fmaak_f32 v33, v32, v33, 0xbeaaaa99
	s_delay_alu instid0(VALU_DEP_1) | instskip(NEXT) | instid1(VALU_DEP_1)
	v_mul_f32_e64 v33, |v214|, v33
	v_fma_f32 v54, v32, v33, |v214|
; %bb.309:                              ;   in Loop: Header=BB25_14 Depth=1
	s_or_b32 exec_lo, exec_lo, s0
	v_cmp_ngt_f32_e64 s0, 0x3f200000, |v215|
                                        ; implicit-def: $vgpr55
	s_delay_alu instid0(VALU_DEP_1) | instskip(NEXT) | instid1(SALU_CYCLE_1)
	s_and_saveexec_b32 s1, s0
	s_xor_b32 s0, exec_lo, s1
	s_cbranch_execz .LBB25_311
; %bb.310:                              ;   in Loop: Header=BB25_14 Depth=1
	v_add_f32_e64 v32, |v215|, |v215|
	s_delay_alu instid0(VALU_DEP_1) | instskip(SKIP_1) | instid1(VALU_DEP_2)
	v_mul_f32_e32 v33, 0x3fb8aa3b, v32
	v_cmp_ngt_f32_e32 vcc_lo, 0xc2ce8ed0, v32
	v_rndne_f32_e32 v34, v33
	v_fma_f32 v35, 0x3fb8aa3b, v32, -v33
	s_delay_alu instid0(VALU_DEP_2) | instskip(NEXT) | instid1(VALU_DEP_2)
	v_sub_f32_e32 v33, v33, v34
	v_fmac_f32_e32 v35, 0x32a5705f, v32
	v_cvt_i32_f32_e32 v34, v34
	s_delay_alu instid0(VALU_DEP_2) | instskip(NEXT) | instid1(VALU_DEP_1)
	v_add_f32_e32 v33, v33, v35
	v_exp_f32_e32 v33, v33
	s_waitcnt_depctr 0xfff
	v_ldexp_f32 v33, v33, v34
	s_delay_alu instid0(VALU_DEP_1) | instskip(SKIP_1) | instid1(VALU_DEP_2)
	v_cndmask_b32_e32 v33, 0, v33, vcc_lo
	v_cmp_nlt_f32_e32 vcc_lo, 0x42b17218, v32
	v_cndmask_b32_e32 v32, 0x7f800000, v33, vcc_lo
	s_delay_alu instid0(VALU_DEP_1) | instskip(NEXT) | instid1(VALU_DEP_1)
	v_add_f32_e32 v32, 1.0, v32
	v_rcp_f32_e32 v32, v32
	s_waitcnt_depctr 0xfff
	v_fma_f32 v55, v32, -2.0, 1.0
.LBB25_311:                             ;   in Loop: Header=BB25_14 Depth=1
	s_and_not1_saveexec_b32 s0, s0
; %bb.312:                              ;   in Loop: Header=BB25_14 Depth=1
	v_mul_f32_e32 v32, v215, v215
	s_delay_alu instid0(VALU_DEP_1) | instskip(NEXT) | instid1(VALU_DEP_1)
	v_fmaak_f32 v33, s51, v32, 0x3ca908c9
	v_fmaak_f32 v33, v32, v33, 0xbd5c1c4e
	s_delay_alu instid0(VALU_DEP_1) | instskip(NEXT) | instid1(VALU_DEP_1)
	v_fmaak_f32 v33, v32, v33, 0x3e088382
	v_fmaak_f32 v33, v32, v33, 0xbeaaaa99
	s_delay_alu instid0(VALU_DEP_1) | instskip(NEXT) | instid1(VALU_DEP_1)
	v_mul_f32_e64 v33, |v215|, v33
	v_fma_f32 v55, v32, v33, |v215|
; %bb.313:                              ;   in Loop: Header=BB25_14 Depth=1
	s_or_b32 exec_lo, exec_lo, s0
	s_clause 0x1
	scratch_load_b128 v[152:155], off, off offset:288
	scratch_load_b128 v[156:159], off, off offset:304
	v_dual_mov_b32 v63, s43 :: v_dual_mov_b32 v62, s42
	v_dual_mov_b32 v61, s41 :: v_dual_mov_b32 v60, s40
	;; [unrolled: 1-line block ×4, first 2 shown]
	s_waitcnt vmcnt(0)
	s_delay_alu instid0(VALU_DEP_1)
	v_wmma_f32_16x16x16_f16 v[32:39], v[152:159], v[72:79], v[56:63]
	s_clause 0x1
	scratch_load_b128 v[56:59], off, off offset:320
	scratch_load_b128 v[60:63], off, off offset:336
	v_wmma_f32_16x16x16_f16 v[32:39], v[168:175], v[64:71], v[32:39]
	s_waitcnt vmcnt(0)
	s_delay_alu instid0(VALU_DEP_1)
	v_wmma_f32_16x16x16_f16 v[32:39], v[56:63], v[82:89], v[32:39]
	s_clause 0x1
	scratch_load_b128 v[56:59], off, off offset:256
	scratch_load_b128 v[60:63], off, off offset:272
	s_waitcnt vmcnt(0)
	v_wmma_f32_16x16x16_f16 v[32:39], v[56:63], v[112:119], v[32:39]
	s_clause 0x1
	scratch_load_b128 v[56:59], off, off offset:224
	scratch_load_b128 v[60:63], off, off offset:240
	s_waitcnt vmcnt(0)
	;; [unrolled: 5-line block ×5, first 2 shown]
	v_wmma_f32_16x16x16_f16 v[32:39], v[56:63], v[144:151], v[32:39]
                                        ; implicit-def: $vgpr56
	s_delay_alu instid0(VALU_DEP_1) | instskip(NEXT) | instid1(VALU_DEP_1)
	v_cmp_ngt_f32_e64 s0, 0x3f200000, |v32|
	s_and_saveexec_b32 s1, s0
	s_delay_alu instid0(SALU_CYCLE_1)
	s_xor_b32 s0, exec_lo, s1
	s_cbranch_execz .LBB25_315
; %bb.314:                              ;   in Loop: Header=BB25_14 Depth=1
	v_add_f32_e64 v56, |v32|, |v32|
	s_delay_alu instid0(VALU_DEP_1) | instskip(SKIP_1) | instid1(VALU_DEP_2)
	v_mul_f32_e32 v57, 0x3fb8aa3b, v56
	v_cmp_ngt_f32_e32 vcc_lo, 0xc2ce8ed0, v56
	v_rndne_f32_e32 v58, v57
	v_fma_f32 v59, 0x3fb8aa3b, v56, -v57
	s_delay_alu instid0(VALU_DEP_2) | instskip(NEXT) | instid1(VALU_DEP_2)
	v_sub_f32_e32 v57, v57, v58
	v_fmac_f32_e32 v59, 0x32a5705f, v56
	v_cvt_i32_f32_e32 v58, v58
	s_delay_alu instid0(VALU_DEP_2) | instskip(NEXT) | instid1(VALU_DEP_1)
	v_add_f32_e32 v57, v57, v59
	v_exp_f32_e32 v57, v57
	s_waitcnt_depctr 0xfff
	v_ldexp_f32 v57, v57, v58
	s_delay_alu instid0(VALU_DEP_1) | instskip(SKIP_1) | instid1(VALU_DEP_2)
	v_cndmask_b32_e32 v57, 0, v57, vcc_lo
	v_cmp_nlt_f32_e32 vcc_lo, 0x42b17218, v56
	v_cndmask_b32_e32 v56, 0x7f800000, v57, vcc_lo
	s_delay_alu instid0(VALU_DEP_1) | instskip(NEXT) | instid1(VALU_DEP_1)
	v_add_f32_e32 v56, 1.0, v56
	v_rcp_f32_e32 v56, v56
	s_waitcnt_depctr 0xfff
	v_fma_f32 v56, v56, -2.0, 1.0
.LBB25_315:                             ;   in Loop: Header=BB25_14 Depth=1
	s_and_not1_saveexec_b32 s0, s0
; %bb.316:                              ;   in Loop: Header=BB25_14 Depth=1
	v_mul_f32_e32 v56, v32, v32
	s_delay_alu instid0(VALU_DEP_1) | instskip(NEXT) | instid1(VALU_DEP_1)
	v_fmaak_f32 v57, s51, v56, 0x3ca908c9
	v_fmaak_f32 v57, v56, v57, 0xbd5c1c4e
	s_delay_alu instid0(VALU_DEP_1) | instskip(NEXT) | instid1(VALU_DEP_1)
	v_fmaak_f32 v57, v56, v57, 0x3e088382
	v_fmaak_f32 v57, v56, v57, 0xbeaaaa99
	s_delay_alu instid0(VALU_DEP_1) | instskip(NEXT) | instid1(VALU_DEP_1)
	v_mul_f32_e64 v57, |v32|, v57
	v_fma_f32 v56, v56, v57, |v32|
; %bb.317:                              ;   in Loop: Header=BB25_14 Depth=1
	s_or_b32 exec_lo, exec_lo, s0
	v_cmp_ngt_f32_e64 s0, 0x3f200000, |v33|
                                        ; implicit-def: $vgpr57
	s_delay_alu instid0(VALU_DEP_1) | instskip(NEXT) | instid1(SALU_CYCLE_1)
	s_and_saveexec_b32 s1, s0
	s_xor_b32 s0, exec_lo, s1
	s_cbranch_execz .LBB25_319
; %bb.318:                              ;   in Loop: Header=BB25_14 Depth=1
	v_add_f32_e64 v57, |v33|, |v33|
	s_delay_alu instid0(VALU_DEP_1) | instskip(SKIP_1) | instid1(VALU_DEP_2)
	v_mul_f32_e32 v58, 0x3fb8aa3b, v57
	v_cmp_ngt_f32_e32 vcc_lo, 0xc2ce8ed0, v57
	v_rndne_f32_e32 v59, v58
	v_fma_f32 v60, 0x3fb8aa3b, v57, -v58
	s_delay_alu instid0(VALU_DEP_2) | instskip(NEXT) | instid1(VALU_DEP_2)
	v_sub_f32_e32 v58, v58, v59
	v_fmac_f32_e32 v60, 0x32a5705f, v57
	v_cvt_i32_f32_e32 v59, v59
	s_delay_alu instid0(VALU_DEP_2) | instskip(NEXT) | instid1(VALU_DEP_1)
	v_add_f32_e32 v58, v58, v60
	v_exp_f32_e32 v58, v58
	s_waitcnt_depctr 0xfff
	v_ldexp_f32 v58, v58, v59
	s_delay_alu instid0(VALU_DEP_1) | instskip(SKIP_1) | instid1(VALU_DEP_2)
	v_cndmask_b32_e32 v58, 0, v58, vcc_lo
	v_cmp_nlt_f32_e32 vcc_lo, 0x42b17218, v57
	v_cndmask_b32_e32 v57, 0x7f800000, v58, vcc_lo
	s_delay_alu instid0(VALU_DEP_1) | instskip(NEXT) | instid1(VALU_DEP_1)
	v_add_f32_e32 v57, 1.0, v57
	v_rcp_f32_e32 v57, v57
	s_waitcnt_depctr 0xfff
	v_fma_f32 v57, v57, -2.0, 1.0
.LBB25_319:                             ;   in Loop: Header=BB25_14 Depth=1
	s_and_not1_saveexec_b32 s0, s0
; %bb.320:                              ;   in Loop: Header=BB25_14 Depth=1
	v_mul_f32_e32 v57, v33, v33
	s_delay_alu instid0(VALU_DEP_1) | instskip(NEXT) | instid1(VALU_DEP_1)
	v_fmaak_f32 v58, s51, v57, 0x3ca908c9
	v_fmaak_f32 v58, v57, v58, 0xbd5c1c4e
	s_delay_alu instid0(VALU_DEP_1) | instskip(NEXT) | instid1(VALU_DEP_1)
	v_fmaak_f32 v58, v57, v58, 0x3e088382
	v_fmaak_f32 v58, v57, v58, 0xbeaaaa99
	s_delay_alu instid0(VALU_DEP_1) | instskip(NEXT) | instid1(VALU_DEP_1)
	v_mul_f32_e64 v58, |v33|, v58
	v_fma_f32 v57, v57, v58, |v33|
; %bb.321:                              ;   in Loop: Header=BB25_14 Depth=1
	s_or_b32 exec_lo, exec_lo, s0
	v_cmp_ngt_f32_e64 s0, 0x3f200000, |v34|
                                        ; implicit-def: $vgpr58
	s_delay_alu instid0(VALU_DEP_1) | instskip(NEXT) | instid1(SALU_CYCLE_1)
	s_and_saveexec_b32 s1, s0
	s_xor_b32 s0, exec_lo, s1
	s_cbranch_execz .LBB25_323
; %bb.322:                              ;   in Loop: Header=BB25_14 Depth=1
	v_add_f32_e64 v58, |v34|, |v34|
	s_delay_alu instid0(VALU_DEP_1) | instskip(SKIP_1) | instid1(VALU_DEP_2)
	v_mul_f32_e32 v59, 0x3fb8aa3b, v58
	v_cmp_ngt_f32_e32 vcc_lo, 0xc2ce8ed0, v58
	v_rndne_f32_e32 v60, v59
	v_fma_f32 v61, 0x3fb8aa3b, v58, -v59
	s_delay_alu instid0(VALU_DEP_2) | instskip(NEXT) | instid1(VALU_DEP_2)
	v_sub_f32_e32 v59, v59, v60
	v_fmac_f32_e32 v61, 0x32a5705f, v58
	v_cvt_i32_f32_e32 v60, v60
	s_delay_alu instid0(VALU_DEP_2) | instskip(NEXT) | instid1(VALU_DEP_1)
	v_add_f32_e32 v59, v59, v61
	v_exp_f32_e32 v59, v59
	s_waitcnt_depctr 0xfff
	v_ldexp_f32 v59, v59, v60
	s_delay_alu instid0(VALU_DEP_1) | instskip(SKIP_1) | instid1(VALU_DEP_2)
	v_cndmask_b32_e32 v59, 0, v59, vcc_lo
	v_cmp_nlt_f32_e32 vcc_lo, 0x42b17218, v58
	v_cndmask_b32_e32 v58, 0x7f800000, v59, vcc_lo
	s_delay_alu instid0(VALU_DEP_1) | instskip(NEXT) | instid1(VALU_DEP_1)
	v_add_f32_e32 v58, 1.0, v58
	v_rcp_f32_e32 v58, v58
	s_waitcnt_depctr 0xfff
	v_fma_f32 v58, v58, -2.0, 1.0
.LBB25_323:                             ;   in Loop: Header=BB25_14 Depth=1
	s_and_not1_saveexec_b32 s0, s0
; %bb.324:                              ;   in Loop: Header=BB25_14 Depth=1
	v_mul_f32_e32 v58, v34, v34
	s_delay_alu instid0(VALU_DEP_1) | instskip(NEXT) | instid1(VALU_DEP_1)
	v_fmaak_f32 v59, s51, v58, 0x3ca908c9
	v_fmaak_f32 v59, v58, v59, 0xbd5c1c4e
	s_delay_alu instid0(VALU_DEP_1) | instskip(NEXT) | instid1(VALU_DEP_1)
	v_fmaak_f32 v59, v58, v59, 0x3e088382
	v_fmaak_f32 v59, v58, v59, 0xbeaaaa99
	s_delay_alu instid0(VALU_DEP_1) | instskip(NEXT) | instid1(VALU_DEP_1)
	v_mul_f32_e64 v59, |v34|, v59
	v_fma_f32 v58, v58, v59, |v34|
; %bb.325:                              ;   in Loop: Header=BB25_14 Depth=1
	s_or_b32 exec_lo, exec_lo, s0
	v_cmp_ngt_f32_e64 s0, 0x3f200000, |v35|
                                        ; implicit-def: $vgpr59
	s_delay_alu instid0(VALU_DEP_1) | instskip(NEXT) | instid1(SALU_CYCLE_1)
	s_and_saveexec_b32 s1, s0
	s_xor_b32 s0, exec_lo, s1
	s_cbranch_execz .LBB25_327
; %bb.326:                              ;   in Loop: Header=BB25_14 Depth=1
	v_add_f32_e64 v59, |v35|, |v35|
	s_delay_alu instid0(VALU_DEP_1) | instskip(SKIP_1) | instid1(VALU_DEP_2)
	v_mul_f32_e32 v60, 0x3fb8aa3b, v59
	v_cmp_ngt_f32_e32 vcc_lo, 0xc2ce8ed0, v59
	v_rndne_f32_e32 v61, v60
	v_fma_f32 v62, 0x3fb8aa3b, v59, -v60
	s_delay_alu instid0(VALU_DEP_2) | instskip(NEXT) | instid1(VALU_DEP_2)
	v_sub_f32_e32 v60, v60, v61
	v_fmac_f32_e32 v62, 0x32a5705f, v59
	v_cvt_i32_f32_e32 v61, v61
	s_delay_alu instid0(VALU_DEP_2) | instskip(NEXT) | instid1(VALU_DEP_1)
	v_add_f32_e32 v60, v60, v62
	v_exp_f32_e32 v60, v60
	s_waitcnt_depctr 0xfff
	v_ldexp_f32 v60, v60, v61
	s_delay_alu instid0(VALU_DEP_1) | instskip(SKIP_1) | instid1(VALU_DEP_2)
	v_cndmask_b32_e32 v60, 0, v60, vcc_lo
	v_cmp_nlt_f32_e32 vcc_lo, 0x42b17218, v59
	v_cndmask_b32_e32 v59, 0x7f800000, v60, vcc_lo
	s_delay_alu instid0(VALU_DEP_1) | instskip(NEXT) | instid1(VALU_DEP_1)
	v_add_f32_e32 v59, 1.0, v59
	v_rcp_f32_e32 v59, v59
	s_waitcnt_depctr 0xfff
	v_fma_f32 v59, v59, -2.0, 1.0
.LBB25_327:                             ;   in Loop: Header=BB25_14 Depth=1
	s_and_not1_saveexec_b32 s0, s0
; %bb.328:                              ;   in Loop: Header=BB25_14 Depth=1
	v_mul_f32_e32 v59, v35, v35
	s_delay_alu instid0(VALU_DEP_1) | instskip(NEXT) | instid1(VALU_DEP_1)
	v_fmaak_f32 v60, s51, v59, 0x3ca908c9
	v_fmaak_f32 v60, v59, v60, 0xbd5c1c4e
	s_delay_alu instid0(VALU_DEP_1) | instskip(NEXT) | instid1(VALU_DEP_1)
	v_fmaak_f32 v60, v59, v60, 0x3e088382
	v_fmaak_f32 v60, v59, v60, 0xbeaaaa99
	s_delay_alu instid0(VALU_DEP_1) | instskip(NEXT) | instid1(VALU_DEP_1)
	v_mul_f32_e64 v60, |v35|, v60
	v_fma_f32 v59, v59, v60, |v35|
; %bb.329:                              ;   in Loop: Header=BB25_14 Depth=1
	s_or_b32 exec_lo, exec_lo, s0
	v_cmp_ngt_f32_e64 s0, 0x3f200000, |v36|
                                        ; implicit-def: $vgpr60
	s_delay_alu instid0(VALU_DEP_1) | instskip(NEXT) | instid1(SALU_CYCLE_1)
	s_and_saveexec_b32 s1, s0
	s_xor_b32 s0, exec_lo, s1
	s_cbranch_execz .LBB25_331
; %bb.330:                              ;   in Loop: Header=BB25_14 Depth=1
	v_add_f32_e64 v60, |v36|, |v36|
	s_delay_alu instid0(VALU_DEP_1) | instskip(SKIP_1) | instid1(VALU_DEP_2)
	v_mul_f32_e32 v61, 0x3fb8aa3b, v60
	v_cmp_ngt_f32_e32 vcc_lo, 0xc2ce8ed0, v60
	v_rndne_f32_e32 v62, v61
	v_fma_f32 v63, 0x3fb8aa3b, v60, -v61
	s_delay_alu instid0(VALU_DEP_2) | instskip(NEXT) | instid1(VALU_DEP_2)
	v_sub_f32_e32 v61, v61, v62
	v_fmac_f32_e32 v63, 0x32a5705f, v60
	v_cvt_i32_f32_e32 v62, v62
	s_delay_alu instid0(VALU_DEP_2) | instskip(NEXT) | instid1(VALU_DEP_1)
	v_add_f32_e32 v61, v61, v63
	v_exp_f32_e32 v61, v61
	s_waitcnt_depctr 0xfff
	v_ldexp_f32 v61, v61, v62
	s_delay_alu instid0(VALU_DEP_1) | instskip(SKIP_1) | instid1(VALU_DEP_2)
	v_cndmask_b32_e32 v61, 0, v61, vcc_lo
	v_cmp_nlt_f32_e32 vcc_lo, 0x42b17218, v60
	v_cndmask_b32_e32 v60, 0x7f800000, v61, vcc_lo
	s_delay_alu instid0(VALU_DEP_1) | instskip(NEXT) | instid1(VALU_DEP_1)
	v_add_f32_e32 v60, 1.0, v60
	v_rcp_f32_e32 v60, v60
	s_waitcnt_depctr 0xfff
	v_fma_f32 v60, v60, -2.0, 1.0
.LBB25_331:                             ;   in Loop: Header=BB25_14 Depth=1
	s_and_not1_saveexec_b32 s0, s0
; %bb.332:                              ;   in Loop: Header=BB25_14 Depth=1
	v_mul_f32_e32 v60, v36, v36
	s_delay_alu instid0(VALU_DEP_1) | instskip(NEXT) | instid1(VALU_DEP_1)
	v_fmaak_f32 v61, s51, v60, 0x3ca908c9
	v_fmaak_f32 v61, v60, v61, 0xbd5c1c4e
	s_delay_alu instid0(VALU_DEP_1) | instskip(NEXT) | instid1(VALU_DEP_1)
	v_fmaak_f32 v61, v60, v61, 0x3e088382
	v_fmaak_f32 v61, v60, v61, 0xbeaaaa99
	s_delay_alu instid0(VALU_DEP_1) | instskip(NEXT) | instid1(VALU_DEP_1)
	v_mul_f32_e64 v61, |v36|, v61
	v_fma_f32 v60, v60, v61, |v36|
; %bb.333:                              ;   in Loop: Header=BB25_14 Depth=1
	s_or_b32 exec_lo, exec_lo, s0
	v_cmp_ngt_f32_e64 s0, 0x3f200000, |v37|
                                        ; implicit-def: $vgpr61
	s_delay_alu instid0(VALU_DEP_1) | instskip(NEXT) | instid1(SALU_CYCLE_1)
	s_and_saveexec_b32 s1, s0
	s_xor_b32 s0, exec_lo, s1
	s_cbranch_execz .LBB25_335
; %bb.334:                              ;   in Loop: Header=BB25_14 Depth=1
	v_add_f32_e64 v61, |v37|, |v37|
	s_delay_alu instid0(VALU_DEP_1) | instskip(SKIP_1) | instid1(VALU_DEP_2)
	v_mul_f32_e32 v62, 0x3fb8aa3b, v61
	v_cmp_ngt_f32_e32 vcc_lo, 0xc2ce8ed0, v61
	v_rndne_f32_e32 v63, v62
	v_fma_f32 v64, 0x3fb8aa3b, v61, -v62
	s_delay_alu instid0(VALU_DEP_2) | instskip(NEXT) | instid1(VALU_DEP_2)
	v_sub_f32_e32 v62, v62, v63
	v_fmac_f32_e32 v64, 0x32a5705f, v61
	v_cvt_i32_f32_e32 v63, v63
	s_delay_alu instid0(VALU_DEP_2) | instskip(NEXT) | instid1(VALU_DEP_1)
	v_add_f32_e32 v62, v62, v64
	v_exp_f32_e32 v62, v62
	s_waitcnt_depctr 0xfff
	v_ldexp_f32 v62, v62, v63
	s_delay_alu instid0(VALU_DEP_1) | instskip(SKIP_1) | instid1(VALU_DEP_2)
	v_cndmask_b32_e32 v62, 0, v62, vcc_lo
	v_cmp_nlt_f32_e32 vcc_lo, 0x42b17218, v61
	v_cndmask_b32_e32 v61, 0x7f800000, v62, vcc_lo
	s_delay_alu instid0(VALU_DEP_1) | instskip(NEXT) | instid1(VALU_DEP_1)
	v_add_f32_e32 v61, 1.0, v61
	v_rcp_f32_e32 v61, v61
	s_waitcnt_depctr 0xfff
	v_fma_f32 v61, v61, -2.0, 1.0
.LBB25_335:                             ;   in Loop: Header=BB25_14 Depth=1
	s_and_not1_saveexec_b32 s0, s0
; %bb.336:                              ;   in Loop: Header=BB25_14 Depth=1
	v_mul_f32_e32 v61, v37, v37
	s_delay_alu instid0(VALU_DEP_1) | instskip(NEXT) | instid1(VALU_DEP_1)
	v_fmaak_f32 v62, s51, v61, 0x3ca908c9
	v_fmaak_f32 v62, v61, v62, 0xbd5c1c4e
	s_delay_alu instid0(VALU_DEP_1) | instskip(NEXT) | instid1(VALU_DEP_1)
	v_fmaak_f32 v62, v61, v62, 0x3e088382
	v_fmaak_f32 v62, v61, v62, 0xbeaaaa99
	s_delay_alu instid0(VALU_DEP_1) | instskip(NEXT) | instid1(VALU_DEP_1)
	v_mul_f32_e64 v62, |v37|, v62
	v_fma_f32 v61, v61, v62, |v37|
; %bb.337:                              ;   in Loop: Header=BB25_14 Depth=1
	s_or_b32 exec_lo, exec_lo, s0
	v_cmp_ngt_f32_e64 s0, 0x3f200000, |v38|
                                        ; implicit-def: $vgpr62
	s_delay_alu instid0(VALU_DEP_1) | instskip(NEXT) | instid1(SALU_CYCLE_1)
	s_and_saveexec_b32 s1, s0
	s_xor_b32 s0, exec_lo, s1
	s_cbranch_execz .LBB25_339
; %bb.338:                              ;   in Loop: Header=BB25_14 Depth=1
	v_add_f32_e64 v62, |v38|, |v38|
	s_delay_alu instid0(VALU_DEP_1) | instskip(SKIP_1) | instid1(VALU_DEP_2)
	v_mul_f32_e32 v63, 0x3fb8aa3b, v62
	v_cmp_ngt_f32_e32 vcc_lo, 0xc2ce8ed0, v62
	v_rndne_f32_e32 v64, v63
	v_fma_f32 v65, 0x3fb8aa3b, v62, -v63
	s_delay_alu instid0(VALU_DEP_2) | instskip(NEXT) | instid1(VALU_DEP_2)
	v_sub_f32_e32 v63, v63, v64
	v_fmac_f32_e32 v65, 0x32a5705f, v62
	v_cvt_i32_f32_e32 v64, v64
	s_delay_alu instid0(VALU_DEP_2) | instskip(NEXT) | instid1(VALU_DEP_1)
	v_add_f32_e32 v63, v63, v65
	v_exp_f32_e32 v63, v63
	s_waitcnt_depctr 0xfff
	v_ldexp_f32 v63, v63, v64
	s_delay_alu instid0(VALU_DEP_1) | instskip(SKIP_1) | instid1(VALU_DEP_2)
	v_cndmask_b32_e32 v63, 0, v63, vcc_lo
	v_cmp_nlt_f32_e32 vcc_lo, 0x42b17218, v62
	v_cndmask_b32_e32 v62, 0x7f800000, v63, vcc_lo
	s_delay_alu instid0(VALU_DEP_1) | instskip(NEXT) | instid1(VALU_DEP_1)
	v_add_f32_e32 v62, 1.0, v62
	v_rcp_f32_e32 v62, v62
	s_waitcnt_depctr 0xfff
	v_fma_f32 v62, v62, -2.0, 1.0
.LBB25_339:                             ;   in Loop: Header=BB25_14 Depth=1
	s_and_not1_saveexec_b32 s0, s0
; %bb.340:                              ;   in Loop: Header=BB25_14 Depth=1
	v_mul_f32_e32 v62, v38, v38
	s_delay_alu instid0(VALU_DEP_1) | instskip(NEXT) | instid1(VALU_DEP_1)
	v_fmaak_f32 v63, s51, v62, 0x3ca908c9
	v_fmaak_f32 v63, v62, v63, 0xbd5c1c4e
	s_delay_alu instid0(VALU_DEP_1) | instskip(NEXT) | instid1(VALU_DEP_1)
	v_fmaak_f32 v63, v62, v63, 0x3e088382
	v_fmaak_f32 v63, v62, v63, 0xbeaaaa99
	s_delay_alu instid0(VALU_DEP_1) | instskip(NEXT) | instid1(VALU_DEP_1)
	v_mul_f32_e64 v63, |v38|, v63
	v_fma_f32 v62, v62, v63, |v38|
; %bb.341:                              ;   in Loop: Header=BB25_14 Depth=1
	s_or_b32 exec_lo, exec_lo, s0
	v_cmp_ngt_f32_e64 s0, 0x3f200000, |v39|
                                        ; implicit-def: $vgpr63
	s_delay_alu instid0(VALU_DEP_1) | instskip(NEXT) | instid1(SALU_CYCLE_1)
	s_and_saveexec_b32 s1, s0
	s_xor_b32 s0, exec_lo, s1
	s_cbranch_execz .LBB25_343
; %bb.342:                              ;   in Loop: Header=BB25_14 Depth=1
	v_add_f32_e64 v63, |v39|, |v39|
	s_delay_alu instid0(VALU_DEP_1) | instskip(SKIP_1) | instid1(VALU_DEP_2)
	v_mul_f32_e32 v64, 0x3fb8aa3b, v63
	v_cmp_ngt_f32_e32 vcc_lo, 0xc2ce8ed0, v63
	v_rndne_f32_e32 v65, v64
	v_fma_f32 v66, 0x3fb8aa3b, v63, -v64
	s_delay_alu instid0(VALU_DEP_2) | instskip(NEXT) | instid1(VALU_DEP_2)
	v_sub_f32_e32 v64, v64, v65
	v_fmac_f32_e32 v66, 0x32a5705f, v63
	v_cvt_i32_f32_e32 v65, v65
	s_delay_alu instid0(VALU_DEP_2) | instskip(NEXT) | instid1(VALU_DEP_1)
	v_add_f32_e32 v64, v64, v66
	v_exp_f32_e32 v64, v64
	s_waitcnt_depctr 0xfff
	v_ldexp_f32 v64, v64, v65
	s_delay_alu instid0(VALU_DEP_1) | instskip(SKIP_1) | instid1(VALU_DEP_2)
	v_cndmask_b32_e32 v64, 0, v64, vcc_lo
	v_cmp_nlt_f32_e32 vcc_lo, 0x42b17218, v63
	v_cndmask_b32_e32 v63, 0x7f800000, v64, vcc_lo
	s_delay_alu instid0(VALU_DEP_1) | instskip(NEXT) | instid1(VALU_DEP_1)
	v_add_f32_e32 v63, 1.0, v63
	v_rcp_f32_e32 v63, v63
	s_waitcnt_depctr 0xfff
	v_fma_f32 v63, v63, -2.0, 1.0
.LBB25_343:                             ;   in Loop: Header=BB25_14 Depth=1
	s_and_not1_saveexec_b32 s0, s0
; %bb.344:                              ;   in Loop: Header=BB25_14 Depth=1
	v_mul_f32_e32 v63, v39, v39
	s_delay_alu instid0(VALU_DEP_1) | instskip(NEXT) | instid1(VALU_DEP_1)
	v_fmaak_f32 v64, s51, v63, 0x3ca908c9
	v_fmaak_f32 v64, v63, v64, 0xbd5c1c4e
	s_delay_alu instid0(VALU_DEP_1) | instskip(NEXT) | instid1(VALU_DEP_1)
	v_fmaak_f32 v64, v63, v64, 0x3e088382
	v_fmaak_f32 v64, v63, v64, 0xbeaaaa99
	s_delay_alu instid0(VALU_DEP_1) | instskip(NEXT) | instid1(VALU_DEP_1)
	v_mul_f32_e64 v64, |v39|, v64
	v_fma_f32 v63, v63, v64, |v39|
; %bb.345:                              ;   in Loop: Header=BB25_14 Depth=1
	s_or_b32 exec_lo, exec_lo, s0
	scratch_load_b32 v72, off, off offset:524 ; 4-byte Folded Reload
	v_bfi_b32 v56, 0x7fffffff, v56, v32
	v_bfi_b32 v57, 0x7fffffff, v57, v33
	;; [unrolled: 1-line block ×32, first 2 shown]
	s_mul_i32 s0, s4, s10
	s_waitcnt vmcnt(0)
	ds_load_u16 v32, v72
	ds_load_u16 v33, v72 offset:4
	ds_load_u16 v34, v72 offset:8
	;; [unrolled: 1-line block ×3, first 2 shown]
	s_waitcnt lgkmcnt(3)
	v_fma_mix_f32 v32, v45, s33, v32 op_sel_hi:[0,0,1]
	s_waitcnt lgkmcnt(2)
	v_fma_mix_f32 v33, v46, s33, v33 op_sel_hi:[0,0,1]
	;; [unrolled: 2-line block ×4, first 2 shown]
	v_dual_add_f32 v36, 0x40051340, v32 :: v_dual_add_f32 v37, 0x40051340, v33
	s_delay_alu instid0(VALU_DEP_2) | instskip(NEXT) | instid1(VALU_DEP_2)
	v_add_f32_e32 v38, 0x40051340, v35
	v_max3_f32 v36, v81, v36, v37
	v_add_f32_e32 v37, 0x40051340, v34
	s_delay_alu instid0(VALU_DEP_1)
	v_max3_f32 v38, v36, v37, v38
	ds_load_u16 v36, v72 offset:16
	ds_load_u16 v37, v72 offset:20
	s_waitcnt lgkmcnt(1)
	v_fma_mix_f32 v36, v69, s33, v36 op_sel_hi:[0,0,1]
	s_waitcnt lgkmcnt(0)
	v_fma_mix_f32 v37, v70, s33, v37 op_sel_hi:[0,0,1]
	s_delay_alu instid0(VALU_DEP_2) | instskip(NEXT) | instid1(VALU_DEP_2)
	v_add_f32_e32 v39, 0x40051340, v36
	v_add_f32_e32 v45, 0x40051340, v37
	s_delay_alu instid0(VALU_DEP_1)
	v_max3_f32 v45, v38, v39, v45
	ds_load_u16 v38, v72 offset:24
	ds_load_u16 v39, v72 offset:28
	s_waitcnt lgkmcnt(1)
	v_fma_mix_f32 v38, v71, s33, v38 op_sel_hi:[0,0,1]
	s_waitcnt lgkmcnt(0)
	v_fma_mix_f32 v39, v44, s33, v39 op_sel_hi:[0,0,1]
	s_delay_alu instid0(VALU_DEP_2) | instskip(NEXT) | instid1(VALU_DEP_2)
	v_add_f32_e32 v44, 0x40051340, v38
	v_add_f32_e32 v46, 0x40051340, v39
	s_delay_alu instid0(VALU_DEP_1)
	v_max3_f32 v44, v45, v44, v46
	ds_load_u16 v45, v72 offset:32
	s_waitcnt lgkmcnt(0)
	v_fma_mix_f32 v47, v40, s33, v45 op_sel_hi:[0,0,1]
	ds_load_u16 v40, v72 offset:36
	s_waitcnt lgkmcnt(0)
	v_fma_mix_f32 v46, v41, s33, v40 op_sel_hi:[0,0,1]
	s_delay_alu instid0(VALU_DEP_1) | instskip(NEXT) | instid1(VALU_DEP_1)
	v_dual_add_f32 v40, 0x40051340, v47 :: v_dual_add_f32 v41, 0x40051340, v46
	v_max3_f32 v40, v44, v40, v41
	ds_load_u16 v41, v72 offset:40
	s_waitcnt lgkmcnt(0)
	v_fma_mix_f32 v45, v42, s33, v41 op_sel_hi:[0,0,1]
	ds_load_u16 v41, v72 offset:44
	s_waitcnt lgkmcnt(0)
	v_fma_mix_f32 v44, v43, s33, v41 op_sel_hi:[0,0,1]
	s_delay_alu instid0(VALU_DEP_1) | instskip(NEXT) | instid1(VALU_DEP_1)
	v_dual_add_f32 v41, 0x40051340, v45 :: v_dual_add_f32 v42, 0x40051340, v44
	v_max3_f32 v40, v40, v41, v42
	ds_load_u16 v41, v72 offset:48
	s_waitcnt lgkmcnt(0)
	v_fma_mix_f32 v43, v65, s33, v41 op_sel_hi:[0,0,1]
	ds_load_u16 v41, v72 offset:52
	s_waitcnt lgkmcnt(0)
	v_fma_mix_f32 v42, v66, s33, v41 op_sel_hi:[0,0,1]
	v_add_f32_e32 v41, 0x40051340, v43
	s_delay_alu instid0(VALU_DEP_2) | instskip(NEXT) | instid1(VALU_DEP_1)
	v_add_f32_e32 v65, 0x40051340, v42
	v_max3_f32 v65, v40, v41, v65
	ds_load_u16 v40, v72 offset:56
	s_waitcnt lgkmcnt(0)
	v_fma_mix_f32 v41, v67, s33, v40 op_sel_hi:[0,0,1]
	ds_load_u16 v40, v72 offset:60
	s_waitcnt lgkmcnt(0)
	v_fma_mix_f32 v40, v64, s33, v40 op_sel_hi:[0,0,1]
	v_add_f32_e32 v64, 0x40051340, v41
	s_delay_alu instid0(VALU_DEP_2) | instskip(NEXT) | instid1(VALU_DEP_1)
	v_add_f32_e32 v66, 0x40051340, v40
	v_max3_f32 v64, v65, v64, v66
	ds_load_u16 v65, v72 offset:64
	s_waitcnt lgkmcnt(0)
	v_fma_mix_f32 v100, v48, s33, v65 op_sel_hi:[0,0,1]
	ds_load_u16 v48, v72 offset:68
	s_waitcnt lgkmcnt(0)
	v_fma_mix_f32 v99, v49, s33, v48 op_sel_hi:[0,0,1]
	s_delay_alu instid0(VALU_DEP_1) | instskip(NEXT) | instid1(VALU_DEP_1)
	v_dual_add_f32 v48, 0x40051340, v100 :: v_dual_add_f32 v49, 0x40051340, v99
	v_max3_f32 v48, v64, v48, v49
	ds_load_u16 v49, v72 offset:72
	s_waitcnt lgkmcnt(0)
	v_fma_mix_f32 v98, v50, s33, v49 op_sel_hi:[0,0,1]
	ds_load_u16 v49, v72 offset:76
	s_waitcnt lgkmcnt(0)
	v_fma_mix_f32 v97, v51, s33, v49 op_sel_hi:[0,0,1]
	s_delay_alu instid0(VALU_DEP_1) | instskip(NEXT) | instid1(VALU_DEP_1)
	v_dual_add_f32 v49, 0x40051340, v98 :: v_dual_add_f32 v50, 0x40051340, v97
	v_max3_f32 v48, v48, v49, v50
	ds_load_u16 v49, v72 offset:80
	s_waitcnt lgkmcnt(0)
	v_fma_mix_f32 v96, v52, s33, v49 op_sel_hi:[0,0,1]
	ds_load_u16 v49, v72 offset:84
	scratch_load_b32 v52, off, off          ; 4-byte Folded Reload
	s_waitcnt lgkmcnt(0)
	v_fma_mix_f32 v95, v53, s33, v49 op_sel_hi:[0,0,1]
	s_delay_alu instid0(VALU_DEP_1) | instskip(NEXT) | instid1(VALU_DEP_1)
	v_dual_add_f32 v49, 0x40051340, v96 :: v_dual_add_f32 v50, 0x40051340, v95
	v_max3_f32 v48, v48, v49, v50
	ds_load_u16 v49, v72 offset:88
	s_waitcnt lgkmcnt(0)
	v_fma_mix_f32 v94, v54, s33, v49 op_sel_hi:[0,0,1]
	ds_load_u16 v49, v72 offset:92
	s_waitcnt lgkmcnt(0)
	v_fma_mix_f32 v89, v55, s33, v49 op_sel_hi:[0,0,1]
	s_delay_alu instid0(VALU_DEP_1) | instskip(NEXT) | instid1(VALU_DEP_1)
	v_dual_add_f32 v49, 0x40051340, v94 :: v_dual_add_f32 v50, 0x40051340, v89
	v_max3_f32 v48, v48, v49, v50
	ds_load_u16 v49, v72 offset:96
	s_waitcnt lgkmcnt(0)
	v_fma_mix_f32 v88, v56, s33, v49 op_sel_hi:[0,0,1]
	ds_load_u16 v49, v72 offset:100
	;; [unrolled: 9-line block ×5, first 2 shown]
	s_waitcnt lgkmcnt(0)
	v_fma_mix_f32 v80, v63, s33, v49 op_sel_hi:[0,0,1]
	s_delay_alu instid0(VALU_DEP_1) | instskip(NEXT) | instid1(VALU_DEP_1)
	v_dual_add_f32 v49, 0x40051340, v82 :: v_dual_add_f32 v50, 0x40051340, v80
	v_max3_f32 v48, v48, v49, v50
	v_mbcnt_lo_u32_b32 v50, -1, 0
	s_delay_alu instid0(VALU_DEP_1) | instskip(NEXT) | instid1(VALU_DEP_1)
	v_xor_b32_e32 v49, 16, v50
	v_cmp_gt_i32_e32 vcc_lo, 32, v49
	v_cndmask_b32_e32 v49, v50, v49, vcc_lo
	s_delay_alu instid0(VALU_DEP_1) | instskip(SKIP_3) | instid1(VALU_DEP_1)
	v_lshlrev_b32_e32 v92, 2, v49
	ds_bpermute_b32 v49, v92, v48
	s_waitcnt lgkmcnt(0)
	v_max_f32_e32 v49, v49, v49
	v_max_f32_e32 v56, v48, v49
	s_delay_alu instid0(VALU_DEP_1) | instskip(NEXT) | instid1(VALU_DEP_1)
	v_sub_f32_e32 v48, v81, v56
	v_mul_f32_e32 v49, 0x3fb8aa3b, v48
	v_cmp_ngt_f32_e32 vcc_lo, 0xc2ce8ed0, v48
	v_cmp_nlt_f32_e64 s1, 0x42b17218, v48
	v_cmp_le_f32_e64 s2, 0xc1a00000, v48
	s_delay_alu instid0(VALU_DEP_4) | instskip(SKIP_1) | instid1(VALU_DEP_1)
	v_fma_f32 v50, 0x3fb8aa3b, v48, -v49
	v_rndne_f32_e32 v51, v49
	v_dual_fmac_f32 v50, 0x32a5705f, v48 :: v_dual_sub_f32 v49, v49, v51
	v_sub_f32_e32 v32, v32, v56
	v_sub_f32_e32 v34, v34, v56
	;; [unrolled: 1-line block ×3, first 2 shown]
	s_delay_alu instid0(VALU_DEP_4) | instskip(SKIP_1) | instid1(VALU_DEP_4)
	v_dual_sub_f32 v38, v38, v56 :: v_dual_add_f32 v49, v49, v50
	v_cvt_i32_f32_e32 v50, v51
	v_cmp_nlt_f32_e64 s5, 0x42b17218, v34
	v_sub_f32_e32 v40, v40, v56
	s_delay_alu instid0(VALU_DEP_4) | instskip(SKIP_2) | instid1(VALU_DEP_1)
	v_exp_f32_e32 v49, v49
	s_waitcnt_depctr 0xfff
	v_ldexp_f32 v49, v49, v50
	v_cndmask_b32_e32 v48, 0, v49, vcc_lo
	s_delay_alu instid0(VALU_DEP_1) | instskip(SKIP_1) | instid1(SALU_CYCLE_1)
	v_cndmask_b32_e64 v48, 0x7f800000, v48, s1
	s_mul_hi_i32 s1, s4, s10
	s_lshl_b64 s[0:1], s[0:1], 2
	s_delay_alu instid0(VALU_DEP_1) | instskip(SKIP_3) | instid1(VALU_DEP_1)
	v_cndmask_b32_e64 v102, 0, v48, s2
	s_add_u32 s0, s99, s0
	s_addc_u32 s1, s100, s1
	s_cmp_eq_u64 s[74:75], 0
	v_cvt_f16_f32_e32 v48, v102
	s_delay_alu instid0(VALU_DEP_1)
	v_pk_mul_f16 v24, v48, v24 op_sel_hi:[0,1]
	v_pk_mul_f16 v25, v48, v25 op_sel_hi:[0,1]
	;; [unrolled: 1-line block ×32, first 2 shown]
	scratch_load_b64 v[48:49], off, off offset:1052 ; 8-byte Folded Reload
	s_waitcnt vmcnt(0)
	v_add_co_u32 v48, vcc_lo, s0, v48
	v_add_co_ci_u32_e32 v49, vcc_lo, s1, v49, vcc_lo
	s_delay_alu instid0(VALU_DEP_2) | instskip(NEXT) | instid1(VALU_DEP_2)
	v_add_co_u32 v48, vcc_lo, v48, v52
	v_add_co_ci_u32_e32 v49, vcc_lo, 0, v49, vcc_lo
	global_load_b128 v[48:51], v[48:49], off
	scratch_load_b32 v137, off, off offset:516 ; 4-byte Folded Reload
	s_waitcnt vmcnt(0)
	ds_store_b128 v137, v[48:51]
	scratch_load_b64 v[48:49], off, off offset:1060 ; 8-byte Folded Reload
	s_waitcnt vmcnt(0)
	v_add_co_u32 v48, vcc_lo, s0, v48
	v_add_co_ci_u32_e32 v49, vcc_lo, s1, v49, vcc_lo
	s_delay_alu instid0(VALU_DEP_2) | instskip(NEXT) | instid1(VALU_DEP_2)
	v_add_co_u32 v48, vcc_lo, v48, v52
	v_add_co_ci_u32_e32 v49, vcc_lo, 0, v49, vcc_lo
	global_load_b128 v[48:51], v[48:49], off
	scratch_load_b32 v139, off, off offset:640 ; 4-byte Folded Reload
	s_waitcnt vmcnt(0)
	ds_store_b128 v139, v[48:51]
	;; [unrolled: 11-line block ×7, first 2 shown]
	scratch_load_b64 v[48:49], off, off offset:1108 ; 8-byte Folded Reload
	s_waitcnt vmcnt(0)
	v_add_co_u32 v48, vcc_lo, s0, v48
	v_add_co_ci_u32_e32 v49, vcc_lo, s1, v49, vcc_lo
	v_cmp_nlt_f32_e64 s1, 0x42b17218, v32
	s_delay_alu instid0(VALU_DEP_3) | instskip(NEXT) | instid1(VALU_DEP_3)
	v_add_co_u32 v48, vcc_lo, v48, v52
	v_add_co_ci_u32_e32 v49, vcc_lo, 0, v49, vcc_lo
	global_load_b128 v[48:51], v[48:49], off
	scratch_load_b32 v145, off, off offset:664 ; 4-byte Folded Reload
	v_cmp_ngt_f32_e32 vcc_lo, 0xc2ce8ed0, v32
	s_waitcnt vmcnt(0)
	ds_store_b128 v145, v[48:51]
	v_mul_f32_e32 v48, 0x3fb8aa3b, v32
	s_delay_alu instid0(VALU_DEP_1) | instskip(NEXT) | instid1(VALU_DEP_1)
	v_fma_f32 v49, 0x3fb8aa3b, v32, -v48
	v_fmac_f32_e32 v49, 0x32a5705f, v32
	v_sub_f32_e32 v32, v33, v56
	s_delay_alu instid0(VALU_DEP_1) | instskip(SKIP_2) | instid1(VALU_DEP_3)
	v_mul_f32_e32 v33, 0x3fb8aa3b, v32
	v_cmp_ngt_f32_e64 s2, 0xc2ce8ed0, v32
	v_cmp_nlt_f32_e64 s4, 0x42b17218, v32
	v_fma_f32 v50, 0x3fb8aa3b, v32, -v33
	s_delay_alu instid0(VALU_DEP_1) | instskip(SKIP_1) | instid1(VALU_DEP_1)
	v_fmac_f32_e32 v50, 0x32a5705f, v32
	v_rndne_f32_e32 v32, v48
	v_sub_f32_e32 v48, v48, v32
	v_cvt_i32_f32_e32 v32, v32
	s_delay_alu instid0(VALU_DEP_2) | instskip(SKIP_1) | instid1(VALU_DEP_2)
	v_add_f32_e32 v48, v48, v49
	v_rndne_f32_e32 v49, v33
	v_exp_f32_e32 v48, v48
	s_delay_alu instid0(VALU_DEP_1) | instskip(NEXT) | instid1(VALU_DEP_1)
	v_sub_f32_e32 v33, v33, v49
	v_add_f32_e32 v33, v33, v50
	s_waitcnt_depctr 0xfff
	v_ldexp_f32 v32, v48, v32
	v_exp_f32_e32 v33, v33
	v_cvt_i32_f32_e32 v48, v49
	s_delay_alu instid0(VALU_DEP_2) | instskip(NEXT) | instid1(VALU_DEP_1)
	v_cndmask_b32_e32 v32, 0, v32, vcc_lo
	v_cndmask_b32_e64 v103, 0x7f800000, v32, s1
	s_waitcnt_depctr 0xfff
	v_ldexp_f32 v33, v33, v48
	s_clause 0x1
	scratch_load_b32 v48, off, off offset:668
	scratch_load_b32 v32, off, off offset:480
	s_waitcnt vmcnt(0) lgkmcnt(0)
	s_barrier
	v_cndmask_b32_e64 v33, 0, v33, s2
	buffer_gl0_inv
	scratch_load_b32 v138, off, off offset:532 ; 4-byte Folded Reload
	s_waitcnt vmcnt(0)
	ds_load_2addr_b32 v[57:58], v138 offset1:16
	ds_load_2addr_b32 v[59:60], v138 offset0:68 offset1:84
	ds_load_2addr_b32 v[61:62], v138 offset0:136 offset1:152
	;; [unrolled: 1-line block ×3, first 2 shown]
	v_cmp_eq_u32_e64 s2, 0, v32
	v_cmp_eq_u32_e64 s3, 1, v32
	ds_bpermute_b32 v32, v92, v103
	v_cndmask_b32_e64 v104, 0x7f800000, v33, s4
	v_cmp_eq_u32_e32 vcc_lo, 1, v48
	v_cmp_eq_u32_e64 s1, 0, v48
	v_sub_f32_e32 v37, v37, v56
	v_cmp_ngt_f32_e64 s4, 0xc2ce8ed0, v34
	ds_bpermute_b32 v48, v92, v104
	v_sub_f32_e32 v36, v36, v56
	v_sub_f32_e32 v39, v39, v56
	v_add_nc_u32_e32 v79, 0x400, v138
	v_add_nc_u32_e32 v81, 0x800, v138
	;; [unrolled: 1-line block ×4, first 2 shown]
	ds_load_2addr_b32 v[65:66], v79 offset0:16 offset1:84
	ds_load_2addr_b32 v[67:68], v79 offset0:132 offset1:152
	;; [unrolled: 1-line block ×10, first 2 shown]
	s_waitcnt lgkmcnt(11)
	v_cndmask_b32_e32 v33, v103, v32, vcc_lo
	v_cndmask_b32_e64 v32, v103, v32, s1
	s_delay_alu instid0(VALU_DEP_2) | instskip(NEXT) | instid1(VALU_DEP_2)
	v_cndmask_b32_e64 v50, v33, v104, s3
	v_cndmask_b32_e64 v49, v32, v104, s2
	v_cvt_f16_f32_e32 v32, v32
	v_cvt_f16_f32_e32 v33, v33
	s_waitcnt lgkmcnt(10)
	s_delay_alu instid0(VALU_DEP_3) | instskip(SKIP_1) | instid1(VALU_DEP_3)
	v_cndmask_b32_e64 v49, v49, v48, s1
	v_cndmask_b32_e32 v48, v50, v48, vcc_lo
	v_pack_b32_f16 v32, v32, v33
	s_delay_alu instid0(VALU_DEP_3) | instskip(NEXT) | instid1(VALU_DEP_3)
	v_cvt_f16_f32_e32 v50, v49
	v_cvt_f16_f32_e32 v51, v48
	s_waitcnt lgkmcnt(3)
	v_perm_b32 v53, v77, v75, 0x5040100
	s_waitcnt lgkmcnt(2)
	v_perm_b32 v54, v91, v90, 0x5040100
	;; [unrolled: 2-line block ×3, first 2 shown]
	v_pack_b32_f16 v33, v50, v51
	v_mul_f32_e32 v50, 0x3fb8aa3b, v34
	s_delay_alu instid0(VALU_DEP_1) | instskip(SKIP_1) | instid1(VALU_DEP_1)
	v_fma_f32 v51, 0x3fb8aa3b, v34, -v50
	v_rndne_f32_e32 v52, v50
	v_dual_fmac_f32 v51, 0x32a5705f, v34 :: v_dual_sub_f32 v50, v50, v52
	s_delay_alu instid0(VALU_DEP_1) | instskip(SKIP_1) | instid1(VALU_DEP_2)
	v_add_f32_e32 v50, v50, v51
	v_cvt_i32_f32_e32 v51, v52
	v_exp_f32_e32 v50, v50
	s_waitcnt_depctr 0xfff
	v_ldexp_f32 v50, v50, v51
	s_delay_alu instid0(VALU_DEP_1) | instskip(SKIP_1) | instid1(VALU_DEP_2)
	v_cndmask_b32_e64 v34, 0, v50, s4
	v_cmp_ngt_f32_e64 s4, 0xc2ce8ed0, v35
	v_cndmask_b32_e64 v105, 0x7f800000, v34, s5
	v_cmp_nlt_f32_e64 s5, 0x42b17218, v35
	s_delay_alu instid0(VALU_DEP_2) | instskip(SKIP_4) | instid1(VALU_DEP_2)
	v_cndmask_b32_e64 v34, v49, v105, s2
	ds_bpermute_b32 v49, v92, v105
	v_cndmask_b32_e64 v48, v48, v105, s3
	s_waitcnt lgkmcnt(0)
	v_cndmask_b32_e64 v50, v34, v49, s1
	v_cndmask_b32_e32 v48, v48, v49, vcc_lo
	s_delay_alu instid0(VALU_DEP_2) | instskip(NEXT) | instid1(VALU_DEP_2)
	v_cvt_f16_f32_e32 v34, v50
	v_cvt_f16_f32_e32 v49, v48
	s_delay_alu instid0(VALU_DEP_1) | instskip(SKIP_1) | instid1(VALU_DEP_1)
	v_pack_b32_f16 v34, v34, v49
	v_mul_f32_e32 v49, 0x3fb8aa3b, v35
	v_fma_f32 v51, 0x3fb8aa3b, v35, -v49
	v_rndne_f32_e32 v52, v49
	s_delay_alu instid0(VALU_DEP_2) | instskip(NEXT) | instid1(VALU_DEP_2)
	v_fmac_f32_e32 v51, 0x32a5705f, v35
	v_sub_f32_e32 v49, v49, v52
	s_delay_alu instid0(VALU_DEP_1) | instskip(SKIP_1) | instid1(VALU_DEP_2)
	v_add_f32_e32 v49, v49, v51
	v_cvt_i32_f32_e32 v51, v52
	v_exp_f32_e32 v49, v49
	s_waitcnt_depctr 0xfff
	v_ldexp_f32 v49, v49, v51
	s_delay_alu instid0(VALU_DEP_1) | instskip(SKIP_1) | instid1(VALU_DEP_2)
	v_cndmask_b32_e64 v35, 0, v49, s4
	v_cmp_ngt_f32_e64 s4, 0xc2ce8ed0, v36
	v_cndmask_b32_e64 v106, 0x7f800000, v35, s5
	v_cmp_nlt_f32_e64 s5, 0x42b17218, v36
	ds_bpermute_b32 v49, v92, v106
	v_cndmask_b32_e64 v35, v50, v106, s2
	v_cndmask_b32_e64 v48, v48, v106, s3
	s_waitcnt lgkmcnt(0)
	s_delay_alu instid0(VALU_DEP_2) | instskip(NEXT) | instid1(VALU_DEP_2)
	v_cndmask_b32_e64 v50, v35, v49, s1
	v_cndmask_b32_e32 v48, v48, v49, vcc_lo
	s_delay_alu instid0(VALU_DEP_2) | instskip(NEXT) | instid1(VALU_DEP_2)
	v_cvt_f16_f32_e32 v35, v50
	v_cvt_f16_f32_e32 v49, v48
	s_delay_alu instid0(VALU_DEP_1) | instskip(SKIP_1) | instid1(VALU_DEP_1)
	v_pack_b32_f16 v35, v35, v49
	v_mul_f32_e32 v49, 0x3fb8aa3b, v36
	v_fma_f32 v51, 0x3fb8aa3b, v36, -v49
	v_rndne_f32_e32 v52, v49
	s_delay_alu instid0(VALU_DEP_2) | instskip(NEXT) | instid1(VALU_DEP_2)
	v_fmac_f32_e32 v51, 0x32a5705f, v36
	v_sub_f32_e32 v49, v49, v52
	s_delay_alu instid0(VALU_DEP_1) | instskip(SKIP_1) | instid1(VALU_DEP_2)
	v_add_f32_e32 v49, v49, v51
	v_cvt_i32_f32_e32 v51, v52
	v_exp_f32_e32 v49, v49
	s_waitcnt_depctr 0xfff
	v_ldexp_f32 v49, v49, v51
	s_delay_alu instid0(VALU_DEP_1) | instskip(SKIP_1) | instid1(VALU_DEP_2)
	v_cndmask_b32_e64 v36, 0, v49, s4
	v_cmp_ngt_f32_e64 s4, 0xc2ce8ed0, v37
	v_cndmask_b32_e64 v107, 0x7f800000, v36, s5
	v_cmp_nlt_f32_e64 s5, 0x42b17218, v37
	ds_bpermute_b32 v49, v92, v107
	v_cndmask_b32_e64 v36, v50, v107, s2
	v_cndmask_b32_e64 v48, v48, v107, s3
	s_waitcnt lgkmcnt(0)
	s_delay_alu instid0(VALU_DEP_2) | instskip(NEXT) | instid1(VALU_DEP_2)
	;; [unrolled: 29-line block ×4, first 2 shown]
	v_cndmask_b32_e64 v50, v38, v49, s1
	v_cndmask_b32_e32 v48, v48, v49, vcc_lo
	s_delay_alu instid0(VALU_DEP_2) | instskip(NEXT) | instid1(VALU_DEP_2)
	v_cvt_f16_f32_e32 v38, v50
	v_cvt_f16_f32_e32 v49, v48
	s_delay_alu instid0(VALU_DEP_1) | instskip(SKIP_1) | instid1(VALU_DEP_1)
	v_pack_b32_f16 v38, v38, v49
	v_mul_f32_e32 v49, 0x3fb8aa3b, v39
	v_fma_f32 v51, 0x3fb8aa3b, v39, -v49
	v_rndne_f32_e32 v52, v49
	s_delay_alu instid0(VALU_DEP_2) | instskip(NEXT) | instid1(VALU_DEP_2)
	v_fmac_f32_e32 v51, 0x32a5705f, v39
	v_sub_f32_e32 v49, v49, v52
	s_delay_alu instid0(VALU_DEP_1) | instskip(SKIP_2) | instid1(VALU_DEP_3)
	v_add_f32_e32 v49, v49, v51
	v_cvt_i32_f32_e32 v51, v52
	v_perm_b32 v52, v73, v72, 0x5040100
	v_exp_f32_e32 v49, v49
	s_waitcnt_depctr 0xfff
	v_ldexp_f32 v49, v49, v51
	v_perm_b32 v51, v70, v68, 0x5040100
	s_delay_alu instid0(VALU_DEP_2) | instskip(NEXT) | instid1(VALU_DEP_1)
	v_cndmask_b32_e64 v39, 0, v49, s4
	v_cndmask_b32_e64 v110, 0x7f800000, v39, s5
	ds_bpermute_b32 v49, v92, v110
	v_cndmask_b32_e64 v39, v50, v110, s2
	v_cndmask_b32_e64 v48, v48, v110, s3
	v_perm_b32 v50, v66, v65, 0x5040100
	s_waitcnt lgkmcnt(0)
	s_delay_alu instid0(VALU_DEP_3) | instskip(NEXT) | instid1(VALU_DEP_3)
	v_cndmask_b32_e64 v39, v39, v49, s1
	v_cndmask_b32_e32 v48, v48, v49, vcc_lo
	v_perm_b32 v49, v63, v61, 0x5040100
	s_delay_alu instid0(VALU_DEP_3) | instskip(NEXT) | instid1(VALU_DEP_3)
	v_cvt_f16_f32_e32 v39, v39
	v_cvt_f16_f32_e32 v48, v48
	s_delay_alu instid0(VALU_DEP_1) | instskip(SKIP_1) | instid1(VALU_DEP_1)
	v_pack_b32_f16 v39, v39, v48
	v_perm_b32 v48, v59, v57, 0x5040100
	v_wmma_f16_16x16x16_f16 v[24:31], v[48:55], v[32:39], v[24:31]
	v_perm_b32 v50, v66, v65, 0x7060302
	v_perm_b32 v54, v91, v90, 0x7060302
	;; [unrolled: 1-line block ×8, first 2 shown]
	s_delay_alu instid0(VALU_DEP_1)
	v_wmma_f16_16x16x16_f16 v[24:31], v[48:55], v[32:39], v[24:31] op_sel:[0,0,1]
	scratch_load_b32 v54, off, off offset:564 ; 4-byte Folded Reload
	s_waitcnt vmcnt(0)
	ds_load_b32 v57, v54 offset:1088
	ds_load_2addr_b32 v[65:66], v79 offset0:100 offset1:116
	ds_load_2addr_b32 v[72:73], v79 offset0:168 offset1:184
	;; [unrolled: 1-line block ×3, first 2 shown]
	ds_load_b32 v59, v54 offset:2176
	ds_load_b32 v61, v54 offset:3264
	ds_load_2addr_b32 v[114:115], v101 offset0:132 offset1:148
	ds_load_2addr_b32 v[116:117], v101 offset0:200 offset1:216
	;; [unrolled: 1-line block ×3, first 2 shown]
	v_perm_b32 v48, v60, v58, 0x5040100
	v_perm_b32 v49, v64, v62, 0x5040100
	;; [unrolled: 1-line block ×3, first 2 shown]
	s_waitcnt lgkmcnt(7)
	v_perm_b32 v50, v65, v57, 0x5040100
	s_waitcnt lgkmcnt(5)
	v_perm_b32 v51, v90, v72, 0x5040100
	s_waitcnt lgkmcnt(4)
	v_perm_b32 v52, v74, v59, 0x5040100
	s_waitcnt lgkmcnt(2)
	v_perm_b32 v54, v114, v61, 0x5040100
	s_waitcnt lgkmcnt(0)
	v_perm_b32 v55, v118, v116, 0x5040100
	s_delay_alu instid0(VALU_DEP_1)
	v_wmma_f16_16x16x16_f16 v[16:23], v[48:55], v[32:39], v[16:23]
	v_perm_b32 v48, v60, v58, 0x7060302
	v_perm_b32 v49, v64, v62, 0x7060302
	;; [unrolled: 1-line block ×8, first 2 shown]
	ds_load_2addr_b32 v[57:58], v138 offset0:32 offset1:48
	ds_load_2addr_b32 v[59:60], v138 offset0:100 offset1:116
	;; [unrolled: 1-line block ×4, first 2 shown]
	v_wmma_f16_16x16x16_f16 v[16:23], v[48:55], v[32:39], v[16:23] op_sel:[0,0,1]
	scratch_load_b32 v54, off, off offset:596 ; 4-byte Folded Reload
	v_perm_b32 v51, v91, v73, 0x5040100
	v_perm_b32 v55, v119, v117, 0x5040100
	s_waitcnt lgkmcnt(2)
	v_perm_b32 v48, v59, v57, 0x5040100
	s_waitcnt lgkmcnt(0)
	v_perm_b32 v49, v63, v61, 0x5040100
	s_waitcnt vmcnt(0)
	ds_load_b32 v65, v54 offset:1088
	ds_load_b32 v68, v54 offset:2176
	ds_load_2addr_b32 v[74:75], v81 offset0:132 offset1:148
	ds_load_2addr_b32 v[76:77], v81 offset0:200 offset1:216
	;; [unrolled: 1-line block ×3, first 2 shown]
	ds_load_b32 v70, v54 offset:3264
	v_add_nc_u32_e32 v81, 0x2000, v138
	s_waitcnt lgkmcnt(5)
	v_perm_b32 v50, v66, v65, 0x5040100
	s_waitcnt lgkmcnt(3)
	v_perm_b32 v52, v74, v68, 0x5040100
	;; [unrolled: 2-line block ×4, first 2 shown]
	s_delay_alu instid0(VALU_DEP_1)
	v_wmma_f16_16x16x16_f16 v[8:15], v[48:55], v[32:39], v[8:15]
	v_perm_b32 v51, v91, v73, 0x7060302
	v_perm_b32 v55, v119, v117, 0x7060302
	v_perm_b32 v50, v66, v65, 0x7060302
	v_perm_b32 v54, v115, v70, 0x7060302
	v_perm_b32 v52, v74, v68, 0x7060302
	v_perm_b32 v48, v59, v57, 0x7060302
	v_perm_b32 v49, v63, v61, 0x7060302
	v_perm_b32 v53, v78, v76, 0x7060302
	ds_load_2addr_b32 v[72:73], v127 offset0:44 offset1:64
	v_wmma_f16_16x16x16_f16 v[8:15], v[48:55], v[32:39], v[8:15] op_sel:[0,0,1]
	scratch_load_b32 v54, off, off offset:620 ; 4-byte Folded Reload
	v_perm_b32 v48, v60, v58, 0x5040100
	v_perm_b32 v49, v64, v62, 0x5040100
	;; [unrolled: 1-line block ×4, first 2 shown]
	s_waitcnt lgkmcnt(0)
	v_perm_b32 v55, v72, v113, 0x5040100
	s_waitcnt vmcnt(0)
	ds_load_b32 v57, v54 offset:1088
	ds_load_b32 v59, v54 offset:2176
	;; [unrolled: 1-line block ×3, first 2 shown]
	s_waitcnt lgkmcnt(2)
	v_perm_b32 v50, v67, v57, 0x5040100
	s_waitcnt lgkmcnt(1)
	v_perm_b32 v52, v75, v59, 0x5040100
	;; [unrolled: 2-line block ×3, first 2 shown]
	s_delay_alu instid0(VALU_DEP_1)
	v_wmma_f16_16x16x16_f16 v[0:7], v[48:55], v[32:39], v[0:7]
	v_perm_b32 v48, v60, v58, 0x7060302
	v_perm_b32 v49, v64, v62, 0x7060302
	;; [unrolled: 1-line block ×8, first 2 shown]
	s_delay_alu instid0(VALU_DEP_1) | instskip(SKIP_1) | instid1(VALU_DEP_1)
	v_wmma_f16_16x16x16_f16 v[0:7], v[48:55], v[32:39], v[0:7] op_sel:[0,0,1]
	v_sub_f32_e32 v32, v47, v56
	v_mul_f32_e32 v33, 0x3fb8aa3b, v32
	v_cmp_ngt_f32_e64 s4, 0xc2ce8ed0, v32
	v_cmp_nlt_f32_e64 s5, 0x42b17218, v32
	s_delay_alu instid0(VALU_DEP_3) | instskip(SKIP_1) | instid1(VALU_DEP_1)
	v_fma_f32 v34, 0x3fb8aa3b, v32, -v33
	v_rndne_f32_e32 v35, v33
	v_dual_fmac_f32 v34, 0x32a5705f, v32 :: v_dual_sub_f32 v33, v33, v35
	v_cvt_i32_f32_e32 v35, v35
	s_delay_alu instid0(VALU_DEP_2) | instskip(SKIP_1) | instid1(VALU_DEP_2)
	v_dual_add_f32 v33, v33, v34 :: v_dual_sub_f32 v34, v46, v56
	v_add_nc_u32_e32 v46, 0x1c00, v138
	v_exp_f32_e32 v33, v33
	s_delay_alu instid0(VALU_DEP_2) | instskip(SKIP_2) | instid1(VALU_DEP_3)
	v_mul_f32_e32 v36, 0x3fb8aa3b, v34
	v_cmp_ngt_f32_e64 s6, 0xc2ce8ed0, v34
	v_cmp_nlt_f32_e64 s7, 0x42b17218, v34
	v_fma_f32 v37, 0x3fb8aa3b, v34, -v36
	v_rndne_f32_e32 v38, v36
	s_waitcnt_depctr 0xfff
	v_ldexp_f32 v33, v33, v35
	v_fmac_f32_e32 v37, 0x32a5705f, v34
	v_sub_f32_e32 v36, v36, v38
	v_cvt_i32_f32_e32 v35, v38
	s_delay_alu instid0(VALU_DEP_4) | instskip(NEXT) | instid1(VALU_DEP_3)
	v_cndmask_b32_e64 v33, 0, v33, s4
	v_add_f32_e32 v36, v36, v37
	s_delay_alu instid0(VALU_DEP_2) | instskip(NEXT) | instid1(VALU_DEP_2)
	v_cndmask_b32_e64 v111, 0x7f800000, v33, s5
	v_exp_f32_e32 v32, v36
	s_waitcnt_depctr 0xfff
	v_ldexp_f32 v32, v32, v35
	s_delay_alu instid0(VALU_DEP_1) | instskip(NEXT) | instid1(VALU_DEP_1)
	v_cndmask_b32_e64 v32, 0, v32, s6
	v_cndmask_b32_e64 v112, 0x7f800000, v32, s7
	ds_bpermute_b32 v32, v92, v111
	ds_bpermute_b32 v34, v92, v112
	s_waitcnt lgkmcnt(1)
	v_cndmask_b32_e32 v33, v111, v32, vcc_lo
	v_cndmask_b32_e64 v32, v111, v32, s1
	s_delay_alu instid0(VALU_DEP_2) | instskip(NEXT) | instid1(VALU_DEP_2)
	v_cndmask_b32_e64 v36, v33, v112, s3
	v_cndmask_b32_e64 v35, v32, v112, s2
	v_cvt_f16_f32_e32 v32, v32
	v_cvt_f16_f32_e32 v33, v33
	s_waitcnt lgkmcnt(0)
	s_delay_alu instid0(VALU_DEP_3) | instskip(SKIP_1) | instid1(VALU_DEP_3)
	v_cndmask_b32_e64 v35, v35, v34, s1
	v_cndmask_b32_e32 v34, v36, v34, vcc_lo
	v_pack_b32_f16 v32, v32, v33
	s_delay_alu instid0(VALU_DEP_3) | instskip(NEXT) | instid1(VALU_DEP_3)
	v_cvt_f16_f32_e32 v36, v35
	v_cvt_f16_f32_e32 v37, v34
	s_delay_alu instid0(VALU_DEP_1) | instskip(SKIP_1) | instid1(VALU_DEP_1)
	v_pack_b32_f16 v33, v36, v37
	v_dual_sub_f32 v36, v45, v56 :: v_dual_add_nc_u32 v45, 0x1a00, v138
	v_mul_f32_e32 v37, 0x3fb8aa3b, v36
	v_cmp_ngt_f32_e64 s4, 0xc2ce8ed0, v36
	v_cmp_nlt_f32_e64 s5, 0x42b17218, v36
	s_delay_alu instid0(VALU_DEP_3) | instskip(SKIP_1) | instid1(VALU_DEP_1)
	v_fma_f32 v38, 0x3fb8aa3b, v36, -v37
	v_rndne_f32_e32 v39, v37
	v_dual_fmac_f32 v38, 0x32a5705f, v36 :: v_dual_sub_f32 v37, v37, v39
	s_delay_alu instid0(VALU_DEP_1) | instskip(SKIP_1) | instid1(VALU_DEP_2)
	v_add_f32_e32 v37, v37, v38
	v_cvt_i32_f32_e32 v38, v39
	v_exp_f32_e32 v37, v37
	s_waitcnt_depctr 0xfff
	v_ldexp_f32 v37, v37, v38
	s_delay_alu instid0(VALU_DEP_1) | instskip(NEXT) | instid1(VALU_DEP_1)
	v_cndmask_b32_e64 v36, 0, v37, s4
	v_cndmask_b32_e64 v113, 0x7f800000, v36, s5
	ds_bpermute_b32 v36, v92, v113
	v_cndmask_b32_e64 v35, v35, v113, s2
	v_cndmask_b32_e64 v34, v34, v113, s3
	s_waitcnt lgkmcnt(0)
	s_delay_alu instid0(VALU_DEP_2) | instskip(NEXT) | instid1(VALU_DEP_2)
	v_cndmask_b32_e64 v35, v35, v36, s1
	v_cndmask_b32_e32 v36, v34, v36, vcc_lo
	s_delay_alu instid0(VALU_DEP_2) | instskip(NEXT) | instid1(VALU_DEP_2)
	v_cvt_f16_f32_e32 v34, v35
	v_cvt_f16_f32_e32 v37, v36
	s_delay_alu instid0(VALU_DEP_1) | instskip(SKIP_1) | instid1(VALU_DEP_1)
	v_pack_b32_f16 v34, v34, v37
	v_sub_f32_e32 v37, v44, v56
	v_mul_f32_e32 v38, 0x3fb8aa3b, v37
	v_cmp_ngt_f32_e64 s4, 0xc2ce8ed0, v37
	v_cmp_nlt_f32_e64 s5, 0x42b17218, v37
	s_delay_alu instid0(VALU_DEP_3) | instskip(SKIP_1) | instid1(VALU_DEP_1)
	v_fma_f32 v39, 0x3fb8aa3b, v37, -v38
	v_rndne_f32_e32 v44, v38
	v_dual_fmac_f32 v39, 0x32a5705f, v37 :: v_dual_sub_f32 v38, v38, v44
	s_delay_alu instid0(VALU_DEP_1) | instskip(SKIP_1) | instid1(VALU_DEP_2)
	v_add_f32_e32 v38, v38, v39
	v_cvt_i32_f32_e32 v39, v44
	v_exp_f32_e32 v38, v38
	s_waitcnt_depctr 0xfff
	v_ldexp_f32 v38, v38, v39
	s_delay_alu instid0(VALU_DEP_1) | instskip(NEXT) | instid1(VALU_DEP_1)
	v_cndmask_b32_e64 v37, 0, v38, s4
	v_cndmask_b32_e64 v114, 0x7f800000, v37, s5
	ds_bpermute_b32 v37, v92, v114
	v_cndmask_b32_e64 v35, v35, v114, s2
	v_cndmask_b32_e64 v36, v36, v114, s3
	s_waitcnt lgkmcnt(0)
	s_delay_alu instid0(VALU_DEP_2) | instskip(NEXT) | instid1(VALU_DEP_2)
	v_cndmask_b32_e64 v38, v35, v37, s1
	v_cndmask_b32_e32 v36, v36, v37, vcc_lo
	s_delay_alu instid0(VALU_DEP_2) | instskip(NEXT) | instid1(VALU_DEP_2)
	v_cvt_f16_f32_e32 v35, v38
	v_cvt_f16_f32_e32 v37, v36
	s_delay_alu instid0(VALU_DEP_1) | instskip(SKIP_1) | instid1(VALU_DEP_1)
	v_pack_b32_f16 v35, v35, v37
	v_sub_f32_e32 v37, v43, v56
	v_mul_f32_e32 v39, 0x3fb8aa3b, v37
	v_cmp_ngt_f32_e64 s4, 0xc2ce8ed0, v37
	v_cmp_nlt_f32_e64 s5, 0x42b17218, v37
	s_delay_alu instid0(VALU_DEP_3) | instskip(SKIP_1) | instid1(VALU_DEP_2)
	v_fma_f32 v43, 0x3fb8aa3b, v37, -v39
	v_rndne_f32_e32 v44, v39
	v_fmac_f32_e32 v43, 0x32a5705f, v37
	s_delay_alu instid0(VALU_DEP_2) | instskip(NEXT) | instid1(VALU_DEP_1)
	v_sub_f32_e32 v39, v39, v44
	v_add_f32_e32 v39, v39, v43
	v_cvt_i32_f32_e32 v43, v44
	s_delay_alu instid0(VALU_DEP_2) | instskip(SKIP_2) | instid1(VALU_DEP_1)
	v_exp_f32_e32 v39, v39
	s_waitcnt_depctr 0xfff
	v_ldexp_f32 v39, v39, v43
	v_cndmask_b32_e64 v37, 0, v39, s4
	s_delay_alu instid0(VALU_DEP_1) | instskip(NEXT) | instid1(VALU_DEP_1)
	v_cndmask_b32_e64 v115, 0x7f800000, v37, s5
	v_cndmask_b32_e64 v37, v38, v115, s2
	ds_bpermute_b32 v38, v92, v115
	v_cndmask_b32_e64 v36, v36, v115, s3
	s_waitcnt lgkmcnt(0)
	v_cndmask_b32_e64 v37, v37, v38, s1
	s_delay_alu instid0(VALU_DEP_2) | instskip(NEXT) | instid1(VALU_DEP_2)
	v_cndmask_b32_e32 v38, v36, v38, vcc_lo
	v_cvt_f16_f32_e32 v36, v37
	s_delay_alu instid0(VALU_DEP_2) | instskip(NEXT) | instid1(VALU_DEP_1)
	v_cvt_f16_f32_e32 v39, v38
	v_pack_b32_f16 v36, v36, v39
	v_sub_f32_e32 v39, v42, v56
	s_delay_alu instid0(VALU_DEP_1) | instskip(SKIP_2) | instid1(VALU_DEP_3)
	v_mul_f32_e32 v42, 0x3fb8aa3b, v39
	v_cmp_ngt_f32_e64 s4, 0xc2ce8ed0, v39
	v_cmp_nlt_f32_e64 s5, 0x42b17218, v39
	v_fma_f32 v43, 0x3fb8aa3b, v39, -v42
	v_rndne_f32_e32 v44, v42
	s_delay_alu instid0(VALU_DEP_1) | instskip(NEXT) | instid1(VALU_DEP_1)
	v_dual_fmac_f32 v43, 0x32a5705f, v39 :: v_dual_sub_f32 v42, v42, v44
	v_add_f32_e32 v42, v42, v43
	v_cvt_i32_f32_e32 v43, v44
	s_delay_alu instid0(VALU_DEP_2) | instskip(SKIP_2) | instid1(VALU_DEP_1)
	v_exp_f32_e32 v42, v42
	s_waitcnt_depctr 0xfff
	v_ldexp_f32 v42, v42, v43
	v_cndmask_b32_e64 v39, 0, v42, s4
	s_delay_alu instid0(VALU_DEP_1) | instskip(SKIP_4) | instid1(VALU_DEP_2)
	v_cndmask_b32_e64 v116, 0x7f800000, v39, s5
	ds_bpermute_b32 v39, v92, v116
	v_cndmask_b32_e64 v37, v37, v116, s2
	v_cndmask_b32_e64 v38, v38, v116, s3
	s_waitcnt lgkmcnt(0)
	v_cndmask_b32_e64 v42, v37, v39, s1
	s_delay_alu instid0(VALU_DEP_2) | instskip(NEXT) | instid1(VALU_DEP_2)
	v_cndmask_b32_e32 v38, v38, v39, vcc_lo
	v_cvt_f16_f32_e32 v37, v42
	s_delay_alu instid0(VALU_DEP_2) | instskip(NEXT) | instid1(VALU_DEP_1)
	v_cvt_f16_f32_e32 v39, v38
	v_pack_b32_f16 v37, v37, v39
	v_sub_f32_e32 v39, v41, v56
	s_delay_alu instid0(VALU_DEP_1) | instskip(SKIP_2) | instid1(VALU_DEP_3)
	v_mul_f32_e32 v41, 0x3fb8aa3b, v39
	v_cmp_ngt_f32_e64 s4, 0xc2ce8ed0, v39
	v_cmp_nlt_f32_e64 s5, 0x42b17218, v39
	v_fma_f32 v43, 0x3fb8aa3b, v39, -v41
	v_rndne_f32_e32 v44, v41
	s_delay_alu instid0(VALU_DEP_2) | instskip(NEXT) | instid1(VALU_DEP_2)
	v_fmac_f32_e32 v43, 0x32a5705f, v39
	v_sub_f32_e32 v41, v41, v44
	s_delay_alu instid0(VALU_DEP_1) | instskip(SKIP_1) | instid1(VALU_DEP_2)
	v_add_f32_e32 v41, v41, v43
	v_cvt_i32_f32_e32 v43, v44
	v_exp_f32_e32 v41, v41
	s_waitcnt_depctr 0xfff
	v_ldexp_f32 v41, v41, v43
	s_delay_alu instid0(VALU_DEP_1) | instskip(SKIP_1) | instid1(VALU_DEP_2)
	v_cndmask_b32_e64 v39, 0, v41, s4
	v_cmp_ngt_f32_e64 s4, 0xc2ce8ed0, v40
	v_cndmask_b32_e64 v117, 0x7f800000, v39, s5
	v_cmp_nlt_f32_e64 s5, 0x42b17218, v40
	ds_bpermute_b32 v41, v92, v117
	v_cndmask_b32_e64 v39, v42, v117, s2
	v_cndmask_b32_e64 v38, v38, v117, s3
	s_waitcnt lgkmcnt(0)
	s_delay_alu instid0(VALU_DEP_2) | instskip(NEXT) | instid1(VALU_DEP_2)
	v_cndmask_b32_e64 v39, v39, v41, s1
	v_cndmask_b32_e32 v41, v38, v41, vcc_lo
	s_delay_alu instid0(VALU_DEP_2) | instskip(NEXT) | instid1(VALU_DEP_2)
	v_cvt_f16_f32_e32 v38, v39
	v_cvt_f16_f32_e32 v42, v41
	s_delay_alu instid0(VALU_DEP_1) | instskip(SKIP_1) | instid1(VALU_DEP_1)
	v_pack_b32_f16 v38, v38, v42
	v_mul_f32_e32 v42, 0x3fb8aa3b, v40
	v_fma_f32 v43, 0x3fb8aa3b, v40, -v42
	v_rndne_f32_e32 v44, v42
	s_delay_alu instid0(VALU_DEP_2) | instskip(NEXT) | instid1(VALU_DEP_2)
	v_fmac_f32_e32 v43, 0x32a5705f, v40
	v_sub_f32_e32 v42, v42, v44
	s_delay_alu instid0(VALU_DEP_1) | instskip(SKIP_2) | instid1(VALU_DEP_3)
	v_add_f32_e32 v42, v42, v43
	v_cvt_i32_f32_e32 v43, v44
	v_add_nc_u32_e32 v44, 0x1800, v138
	v_exp_f32_e32 v42, v42
	s_waitcnt_depctr 0xfff
	v_ldexp_f32 v42, v42, v43
	v_add_nc_u32_e32 v43, 0x1400, v138
	s_delay_alu instid0(VALU_DEP_2) | instskip(NEXT) | instid1(VALU_DEP_1)
	v_cndmask_b32_e64 v40, 0, v42, s4
	v_cndmask_b32_e64 v118, 0x7f800000, v40, s5
	s_delay_alu instid0(VALU_DEP_1) | instskip(SKIP_3) | instid1(VALU_DEP_1)
	v_cndmask_b32_e64 v40, v41, v118, s3
	ds_bpermute_b32 v41, v92, v118
	v_cndmask_b32_e64 v39, v39, v118, s2
	s_waitcnt lgkmcnt(0)
	v_cndmask_b32_e64 v39, v39, v41, s1
	v_cndmask_b32_e32 v40, v40, v41, vcc_lo
	s_delay_alu instid0(VALU_DEP_2) | instskip(NEXT) | instid1(VALU_DEP_2)
	v_cvt_f16_f32_e32 v39, v39
	v_cvt_f16_f32_e32 v40, v40
	s_delay_alu instid0(VALU_DEP_1)
	v_pack_b32_f16 v39, v39, v40
	v_add_nc_u32_e32 v40, 0x1200, v138
	ds_load_2addr_b32 v[48:49], v40 offset0:120 offset1:140
	ds_load_2addr_b32 v[50:51], v127 offset0:112 offset1:132
	;; [unrolled: 1-line block ×3, first 2 shown]
	scratch_load_b32 v42, off, off offset:540 ; 4-byte Folded Reload
	s_waitcnt vmcnt(0)
	ds_load_b32 v40, v42 offset:1088
	ds_load_2addr_b32 v[54:55], v43 offset0:60 offset1:148
	ds_load_2addr_b32 v[57:58], v43 offset0:196 offset1:216
	ds_load_2addr_b32 v[59:60], v44 offset0:8 offset1:28
	ds_load_b32 v41, v42 offset:2176
	ds_load_2addr_b32 v[61:62], v44 offset0:76 offset1:164
	ds_load_2addr_b32 v[63:64], v44 offset0:212 offset1:232
	ds_load_2addr_b32 v[65:66], v46 offset0:24 offset1:44
	;; [unrolled: 4-line block ×3, first 2 shown]
	s_waitcnt lgkmcnt(13)
	v_perm_b32 v119, v51, v73, 0x5040100
	s_waitcnt lgkmcnt(12)
	v_perm_b32 v120, v49, v53, 0x5040100
	s_waitcnt lgkmcnt(10)
	v_perm_b32 v121, v55, v40, 0x5040100
	s_waitcnt lgkmcnt(8)
	v_perm_b32 v122, v60, v58, 0x5040100
	s_waitcnt lgkmcnt(6)
	v_perm_b32 v123, v62, v41, 0x5040100
	s_waitcnt lgkmcnt(4)
	v_perm_b32 v124, v66, v64, 0x5040100
	s_waitcnt lgkmcnt(2)
	v_perm_b32 v125, v68, v42, 0x5040100
	s_waitcnt lgkmcnt(0)
	v_perm_b32 v126, v72, v70, 0x5040100
	s_delay_alu instid0(VALU_DEP_1)
	v_wmma_f16_16x16x16_f16 v[24:31], v[119:126], v[32:39], v[24:31]
	v_perm_b32 v119, v51, v73, 0x7060302
	v_perm_b32 v126, v72, v70, 0x7060302
	ds_load_2addr_b32 v[72:73], v127 offset0:80 offset1:96
	ds_load_2addr_b32 v[74:75], v127 offset0:148 offset1:164
	;; [unrolled: 1-line block ×4, first 2 shown]
	scratch_load_b32 v47, off, off offset:572 ; 4-byte Folded Reload
	v_perm_b32 v121, v55, v40, 0x7060302
	v_perm_b32 v123, v62, v41, 0x7060302
	;; [unrolled: 1-line block ×6, first 2 shown]
	s_waitcnt vmcnt(0)
	ds_load_b32 v49, v47 offset:1088
	ds_load_2addr_b32 v[90:91], v43 offset0:164 offset1:180
	v_wmma_f16_16x16x16_f16 v[24:31], v[119:126], v[32:39], v[24:31] op_sel:[0,0,1]
	ds_load_2addr_b32 v[119:120], v43 offset0:232 offset1:248
	ds_load_2addr_b32 v[121:122], v44 offset0:44 offset1:60
	ds_load_b32 v51, v47 offset:2176
	ds_load_2addr_b32 v[123:124], v44 offset0:180 offset1:196
	ds_load_2addr_b32 v[125:126], v45 offset0:120 offset1:136
	;; [unrolled: 1-line block ×3, first 2 shown]
	ds_load_b32 v53, v47 offset:3264
	ds_load_2addr_b32 v[129:130], v46 offset0:196 offset1:212
	ds_load_2addr_b32 v[131:132], v81 offset0:8 offset1:24
	;; [unrolled: 1-line block ×3, first 2 shown]
	s_waitcnt lgkmcnt(14)
	v_perm_b32 v40, v74, v72, 0x5040100
	s_waitcnt lgkmcnt(12)
	v_perm_b32 v41, v78, v76, 0x5040100
	;; [unrolled: 2-line block ×8, first 2 shown]
	s_delay_alu instid0(VALU_DEP_1)
	v_wmma_f16_16x16x16_f16 v[16:23], v[40:47], v[32:39], v[16:23]
	v_perm_b32 v42, v90, v49, 0x7060302
	v_perm_b32 v44, v123, v51, 0x7060302
	;; [unrolled: 1-line block ×8, first 2 shown]
	v_add_nc_u32_e32 v129, 0x2c00, v138
	v_add_nc_u32_e32 v74, 0x3000, v138
	s_delay_alu instid0(VALU_DEP_3)
	v_wmma_f16_16x16x16_f16 v[16:23], v[40:47], v[32:39], v[16:23] op_sel:[0,0,1]
	scratch_load_b32 v46, off, off offset:604 ; 4-byte Folded Reload
	v_perm_b32 v40, v75, v73, 0x5040100
	v_perm_b32 v41, v79, v77, 0x5040100
	;; [unrolled: 1-line block ×5, first 2 shown]
	s_waitcnt vmcnt(0)
	ds_load_b32 v49, v46 offset:1088
	ds_load_b32 v51, v46 offset:2176
	;; [unrolled: 1-line block ×3, first 2 shown]
	s_waitcnt lgkmcnt(2)
	v_perm_b32 v42, v91, v49, 0x5040100
	s_waitcnt lgkmcnt(1)
	v_perm_b32 v44, v124, v51, 0x5040100
	;; [unrolled: 2-line block ×3, first 2 shown]
	s_delay_alu instid0(VALU_DEP_1)
	v_wmma_f16_16x16x16_f16 v[8:15], v[40:47], v[32:39], v[8:15]
	v_perm_b32 v40, v75, v73, 0x7060302
	v_perm_b32 v41, v79, v77, 0x7060302
	;; [unrolled: 1-line block ×8, first 2 shown]
	ds_load_2addr_b32 v[72:73], v81 offset0:108 offset1:128
	v_add_nc_u32_e32 v79, 0x2400, v138
	v_add_nc_u32_e32 v91, 0x2800, v138
	v_wmma_f16_16x16x16_f16 v[8:15], v[40:47], v[32:39], v[8:15] op_sel:[0,0,1]
	scratch_load_b32 v46, off, off offset:624 ; 4-byte Folded Reload
	v_perm_b32 v40, v52, v50, 0x5040100
	v_perm_b32 v41, v54, v48, 0x5040100
	;; [unrolled: 1-line block ×4, first 2 shown]
	s_waitcnt lgkmcnt(0)
	v_perm_b32 v47, v72, v71, 0x5040100
	s_waitcnt vmcnt(0)
	ds_load_b32 v49, v46 offset:1088
	ds_load_b32 v51, v46 offset:2176
	;; [unrolled: 1-line block ×3, first 2 shown]
	s_waitcnt lgkmcnt(2)
	v_perm_b32 v42, v57, v49, 0x5040100
	s_waitcnt lgkmcnt(1)
	v_perm_b32 v44, v63, v51, 0x5040100
	;; [unrolled: 2-line block ×3, first 2 shown]
	s_delay_alu instid0(VALU_DEP_1)
	v_wmma_f16_16x16x16_f16 v[0:7], v[40:47], v[32:39], v[0:7]
	v_perm_b32 v40, v52, v50, 0x7060302
	v_perm_b32 v41, v54, v48, 0x7060302
	v_perm_b32 v43, v61, v59, 0x7060302
	v_perm_b32 v45, v67, v65, 0x7060302
	v_perm_b32 v42, v57, v49, 0x7060302
	v_perm_b32 v44, v63, v51, 0x7060302
	v_perm_b32 v46, v69, v53, 0x7060302
	v_perm_b32 v47, v72, v71, 0x7060302
	s_delay_alu instid0(VALU_DEP_1) | instskip(SKIP_1) | instid1(VALU_DEP_1)
	v_wmma_f16_16x16x16_f16 v[0:7], v[40:47], v[32:39], v[0:7] op_sel:[0,0,1]
	v_sub_f32_e32 v32, v100, v56
	v_mul_f32_e32 v33, 0x3fb8aa3b, v32
	v_cmp_ngt_f32_e64 s4, 0xc2ce8ed0, v32
	v_cmp_nlt_f32_e64 s5, 0x42b17218, v32
	s_delay_alu instid0(VALU_DEP_3) | instskip(SKIP_1) | instid1(VALU_DEP_1)
	v_fma_f32 v34, 0x3fb8aa3b, v32, -v33
	v_rndne_f32_e32 v35, v33
	v_dual_fmac_f32 v34, 0x32a5705f, v32 :: v_dual_sub_f32 v33, v33, v35
	v_cvt_i32_f32_e32 v35, v35
	s_delay_alu instid0(VALU_DEP_2) | instskip(NEXT) | instid1(VALU_DEP_1)
	v_dual_add_f32 v33, v33, v34 :: v_dual_sub_f32 v34, v99, v56
	v_exp_f32_e32 v33, v33
	s_delay_alu instid0(VALU_DEP_1) | instskip(SKIP_2) | instid1(VALU_DEP_3)
	v_mul_f32_e32 v36, 0x3fb8aa3b, v34
	v_cmp_ngt_f32_e64 s6, 0xc2ce8ed0, v34
	v_cmp_nlt_f32_e64 s7, 0x42b17218, v34
	v_fma_f32 v37, 0x3fb8aa3b, v34, -v36
	v_rndne_f32_e32 v38, v36
	s_waitcnt_depctr 0xfff
	v_ldexp_f32 v33, v33, v35
	v_fmac_f32_e32 v37, 0x32a5705f, v34
	v_sub_f32_e32 v36, v36, v38
	v_cvt_i32_f32_e32 v35, v38
	s_delay_alu instid0(VALU_DEP_4) | instskip(NEXT) | instid1(VALU_DEP_3)
	v_cndmask_b32_e64 v33, 0, v33, s4
	v_add_f32_e32 v36, v36, v37
	s_delay_alu instid0(VALU_DEP_2) | instskip(NEXT) | instid1(VALU_DEP_2)
	v_cndmask_b32_e64 v119, 0x7f800000, v33, s5
	v_exp_f32_e32 v32, v36
	s_waitcnt_depctr 0xfff
	v_ldexp_f32 v32, v32, v35
	s_delay_alu instid0(VALU_DEP_1) | instskip(NEXT) | instid1(VALU_DEP_1)
	v_cndmask_b32_e64 v32, 0, v32, s6
	v_cndmask_b32_e64 v120, 0x7f800000, v32, s7
	ds_bpermute_b32 v32, v92, v119
	ds_bpermute_b32 v34, v92, v120
	s_waitcnt lgkmcnt(1)
	v_cndmask_b32_e32 v33, v119, v32, vcc_lo
	v_cndmask_b32_e64 v32, v119, v32, s1
	s_delay_alu instid0(VALU_DEP_2) | instskip(NEXT) | instid1(VALU_DEP_2)
	v_cndmask_b32_e64 v36, v33, v120, s3
	v_cndmask_b32_e64 v35, v32, v120, s2
	v_cvt_f16_f32_e32 v32, v32
	v_cvt_f16_f32_e32 v33, v33
	s_waitcnt lgkmcnt(0)
	s_delay_alu instid0(VALU_DEP_3) | instskip(SKIP_1) | instid1(VALU_DEP_3)
	v_cndmask_b32_e64 v35, v35, v34, s1
	v_cndmask_b32_e32 v34, v36, v34, vcc_lo
	v_pack_b32_f16 v32, v32, v33
	s_delay_alu instid0(VALU_DEP_3) | instskip(NEXT) | instid1(VALU_DEP_3)
	v_cvt_f16_f32_e32 v36, v35
	v_cvt_f16_f32_e32 v37, v34
	s_delay_alu instid0(VALU_DEP_1) | instskip(SKIP_1) | instid1(VALU_DEP_1)
	v_pack_b32_f16 v33, v36, v37
	v_sub_f32_e32 v36, v98, v56
	v_mul_f32_e32 v37, 0x3fb8aa3b, v36
	v_cmp_ngt_f32_e64 s4, 0xc2ce8ed0, v36
	v_cmp_nlt_f32_e64 s5, 0x42b17218, v36
	s_delay_alu instid0(VALU_DEP_3) | instskip(SKIP_1) | instid1(VALU_DEP_1)
	v_fma_f32 v38, 0x3fb8aa3b, v36, -v37
	v_rndne_f32_e32 v39, v37
	v_dual_fmac_f32 v38, 0x32a5705f, v36 :: v_dual_sub_f32 v37, v37, v39
	s_delay_alu instid0(VALU_DEP_1) | instskip(SKIP_1) | instid1(VALU_DEP_2)
	v_add_f32_e32 v37, v37, v38
	v_cvt_i32_f32_e32 v38, v39
	v_exp_f32_e32 v37, v37
	s_waitcnt_depctr 0xfff
	v_ldexp_f32 v37, v37, v38
	s_delay_alu instid0(VALU_DEP_1) | instskip(NEXT) | instid1(VALU_DEP_1)
	v_cndmask_b32_e64 v36, 0, v37, s4
	v_cndmask_b32_e64 v121, 0x7f800000, v36, s5
	ds_bpermute_b32 v36, v92, v121
	v_cndmask_b32_e64 v35, v35, v121, s2
	v_cndmask_b32_e64 v34, v34, v121, s3
	s_waitcnt lgkmcnt(0)
	s_delay_alu instid0(VALU_DEP_2) | instskip(NEXT) | instid1(VALU_DEP_2)
	v_cndmask_b32_e64 v35, v35, v36, s1
	v_cndmask_b32_e32 v36, v34, v36, vcc_lo
	s_delay_alu instid0(VALU_DEP_2) | instskip(NEXT) | instid1(VALU_DEP_2)
	v_cvt_f16_f32_e32 v34, v35
	v_cvt_f16_f32_e32 v37, v36
	s_delay_alu instid0(VALU_DEP_1) | instskip(SKIP_1) | instid1(VALU_DEP_1)
	v_pack_b32_f16 v34, v34, v37
	v_sub_f32_e32 v37, v97, v56
	v_mul_f32_e32 v38, 0x3fb8aa3b, v37
	v_cmp_ngt_f32_e64 s4, 0xc2ce8ed0, v37
	v_cmp_nlt_f32_e64 s5, 0x42b17218, v37
	s_delay_alu instid0(VALU_DEP_3) | instskip(SKIP_1) | instid1(VALU_DEP_1)
	v_fma_f32 v39, 0x3fb8aa3b, v37, -v38
	v_rndne_f32_e32 v40, v38
	v_dual_fmac_f32 v39, 0x32a5705f, v37 :: v_dual_sub_f32 v38, v38, v40
	s_delay_alu instid0(VALU_DEP_1) | instskip(SKIP_1) | instid1(VALU_DEP_2)
	v_add_f32_e32 v38, v38, v39
	v_cvt_i32_f32_e32 v39, v40
	v_exp_f32_e32 v38, v38
	s_waitcnt_depctr 0xfff
	v_ldexp_f32 v38, v38, v39
	s_delay_alu instid0(VALU_DEP_1) | instskip(NEXT) | instid1(VALU_DEP_1)
	v_cndmask_b32_e64 v37, 0, v38, s4
	v_cndmask_b32_e64 v122, 0x7f800000, v37, s5
	ds_bpermute_b32 v37, v92, v122
	v_cndmask_b32_e64 v35, v35, v122, s2
	v_cndmask_b32_e64 v36, v36, v122, s3
	s_waitcnt lgkmcnt(0)
	s_delay_alu instid0(VALU_DEP_2) | instskip(NEXT) | instid1(VALU_DEP_2)
	v_cndmask_b32_e64 v38, v35, v37, s1
	v_cndmask_b32_e32 v36, v36, v37, vcc_lo
	s_delay_alu instid0(VALU_DEP_2) | instskip(NEXT) | instid1(VALU_DEP_2)
	v_cvt_f16_f32_e32 v35, v38
	v_cvt_f16_f32_e32 v37, v36
	s_delay_alu instid0(VALU_DEP_1) | instskip(SKIP_1) | instid1(VALU_DEP_1)
	v_pack_b32_f16 v35, v35, v37
	v_sub_f32_e32 v37, v96, v56
	v_mul_f32_e32 v39, 0x3fb8aa3b, v37
	v_cmp_ngt_f32_e64 s4, 0xc2ce8ed0, v37
	v_cmp_nlt_f32_e64 s5, 0x42b17218, v37
	s_delay_alu instid0(VALU_DEP_3) | instskip(SKIP_1) | instid1(VALU_DEP_2)
	v_fma_f32 v40, 0x3fb8aa3b, v37, -v39
	v_rndne_f32_e32 v41, v39
	v_fmac_f32_e32 v40, 0x32a5705f, v37
	s_delay_alu instid0(VALU_DEP_2) | instskip(NEXT) | instid1(VALU_DEP_1)
	v_sub_f32_e32 v39, v39, v41
	v_add_f32_e32 v39, v39, v40
	v_cvt_i32_f32_e32 v40, v41
	s_delay_alu instid0(VALU_DEP_2) | instskip(SKIP_2) | instid1(VALU_DEP_1)
	v_exp_f32_e32 v39, v39
	s_waitcnt_depctr 0xfff
	v_ldexp_f32 v39, v39, v40
	v_cndmask_b32_e64 v37, 0, v39, s4
	s_delay_alu instid0(VALU_DEP_1) | instskip(NEXT) | instid1(VALU_DEP_1)
	v_cndmask_b32_e64 v123, 0x7f800000, v37, s5
	v_cndmask_b32_e64 v37, v38, v123, s2
	ds_bpermute_b32 v38, v92, v123
	v_cndmask_b32_e64 v36, v36, v123, s3
	s_waitcnt lgkmcnt(0)
	v_cndmask_b32_e64 v37, v37, v38, s1
	s_delay_alu instid0(VALU_DEP_2) | instskip(NEXT) | instid1(VALU_DEP_2)
	v_cndmask_b32_e32 v38, v36, v38, vcc_lo
	v_cvt_f16_f32_e32 v36, v37
	s_delay_alu instid0(VALU_DEP_2) | instskip(NEXT) | instid1(VALU_DEP_1)
	v_cvt_f16_f32_e32 v39, v38
	v_pack_b32_f16 v36, v36, v39
	v_sub_f32_e32 v39, v95, v56
	s_delay_alu instid0(VALU_DEP_1) | instskip(SKIP_2) | instid1(VALU_DEP_3)
	v_mul_f32_e32 v40, 0x3fb8aa3b, v39
	v_cmp_ngt_f32_e64 s4, 0xc2ce8ed0, v39
	v_cmp_nlt_f32_e64 s5, 0x42b17218, v39
	v_fma_f32 v41, 0x3fb8aa3b, v39, -v40
	v_rndne_f32_e32 v42, v40
	s_delay_alu instid0(VALU_DEP_1) | instskip(NEXT) | instid1(VALU_DEP_1)
	v_dual_fmac_f32 v41, 0x32a5705f, v39 :: v_dual_sub_f32 v40, v40, v42
	v_add_f32_e32 v40, v40, v41
	v_cvt_i32_f32_e32 v41, v42
	s_delay_alu instid0(VALU_DEP_2) | instskip(SKIP_2) | instid1(VALU_DEP_1)
	v_exp_f32_e32 v40, v40
	s_waitcnt_depctr 0xfff
	v_ldexp_f32 v40, v40, v41
	v_cndmask_b32_e64 v39, 0, v40, s4
	s_delay_alu instid0(VALU_DEP_1) | instskip(SKIP_4) | instid1(VALU_DEP_2)
	v_cndmask_b32_e64 v124, 0x7f800000, v39, s5
	ds_bpermute_b32 v39, v92, v124
	v_cndmask_b32_e64 v37, v37, v124, s2
	v_cndmask_b32_e64 v38, v38, v124, s3
	s_waitcnt lgkmcnt(0)
	v_cndmask_b32_e64 v40, v37, v39, s1
	s_delay_alu instid0(VALU_DEP_2) | instskip(NEXT) | instid1(VALU_DEP_2)
	v_cndmask_b32_e32 v38, v38, v39, vcc_lo
	v_cvt_f16_f32_e32 v37, v40
	s_delay_alu instid0(VALU_DEP_2) | instskip(NEXT) | instid1(VALU_DEP_1)
	v_cvt_f16_f32_e32 v39, v38
	v_pack_b32_f16 v37, v37, v39
	v_sub_f32_e32 v39, v94, v56
	s_delay_alu instid0(VALU_DEP_1) | instskip(SKIP_2) | instid1(VALU_DEP_3)
	v_mul_f32_e32 v41, 0x3fb8aa3b, v39
	v_cmp_ngt_f32_e64 s4, 0xc2ce8ed0, v39
	v_cmp_nlt_f32_e64 s5, 0x42b17218, v39
	v_fma_f32 v42, 0x3fb8aa3b, v39, -v41
	v_rndne_f32_e32 v43, v41
	s_delay_alu instid0(VALU_DEP_2) | instskip(NEXT) | instid1(VALU_DEP_2)
	v_fmac_f32_e32 v42, 0x32a5705f, v39
	v_sub_f32_e32 v41, v41, v43
	s_delay_alu instid0(VALU_DEP_1) | instskip(SKIP_1) | instid1(VALU_DEP_2)
	v_add_f32_e32 v41, v41, v42
	v_cvt_i32_f32_e32 v42, v43
	v_exp_f32_e32 v41, v41
	s_waitcnt_depctr 0xfff
	v_ldexp_f32 v41, v41, v42
	s_delay_alu instid0(VALU_DEP_1) | instskip(NEXT) | instid1(VALU_DEP_1)
	v_cndmask_b32_e64 v39, 0, v41, s4
	v_cndmask_b32_e64 v125, 0x7f800000, v39, s5
	s_delay_alu instid0(VALU_DEP_1) | instskip(SKIP_4) | instid1(VALU_DEP_2)
	v_cndmask_b32_e64 v39, v40, v125, s2
	ds_bpermute_b32 v40, v92, v125
	v_cndmask_b32_e64 v38, v38, v125, s3
	s_waitcnt lgkmcnt(0)
	v_cndmask_b32_e64 v39, v39, v40, s1
	v_cndmask_b32_e32 v40, v38, v40, vcc_lo
	s_delay_alu instid0(VALU_DEP_2) | instskip(NEXT) | instid1(VALU_DEP_2)
	v_cvt_f16_f32_e32 v38, v39
	v_cvt_f16_f32_e32 v41, v40
	s_delay_alu instid0(VALU_DEP_1) | instskip(SKIP_1) | instid1(VALU_DEP_1)
	v_pack_b32_f16 v38, v38, v41
	v_sub_f32_e32 v41, v89, v56
	v_mul_f32_e32 v42, 0x3fb8aa3b, v41
	v_cmp_ngt_f32_e64 s4, 0xc2ce8ed0, v41
	v_cmp_nlt_f32_e64 s5, 0x42b17218, v41
	s_delay_alu instid0(VALU_DEP_3) | instskip(SKIP_1) | instid1(VALU_DEP_1)
	v_fma_f32 v43, 0x3fb8aa3b, v41, -v42
	v_rndne_f32_e32 v44, v42
	v_dual_fmac_f32 v43, 0x32a5705f, v41 :: v_dual_sub_f32 v42, v42, v44
	s_delay_alu instid0(VALU_DEP_1) | instskip(SKIP_1) | instid1(VALU_DEP_2)
	v_add_f32_e32 v42, v42, v43
	v_cvt_i32_f32_e32 v43, v44
	v_exp_f32_e32 v42, v42
	s_waitcnt_depctr 0xfff
	v_ldexp_f32 v42, v42, v43
	s_delay_alu instid0(VALU_DEP_1) | instskip(NEXT) | instid1(VALU_DEP_1)
	v_cndmask_b32_e64 v41, 0, v42, s4
	v_cndmask_b32_e64 v126, 0x7f800000, v41, s5
	ds_bpermute_b32 v41, v92, v126
	v_cndmask_b32_e64 v39, v39, v126, s2
	v_cndmask_b32_e64 v40, v40, v126, s3
	s_waitcnt lgkmcnt(0)
	s_delay_alu instid0(VALU_DEP_2) | instskip(NEXT) | instid1(VALU_DEP_2)
	v_cndmask_b32_e64 v39, v39, v41, s1
	v_cndmask_b32_e32 v40, v40, v41, vcc_lo
	s_delay_alu instid0(VALU_DEP_2) | instskip(NEXT) | instid1(VALU_DEP_2)
	v_cvt_f16_f32_e32 v39, v39
	v_cvt_f16_f32_e32 v40, v40
	s_delay_alu instid0(VALU_DEP_1)
	v_pack_b32_f16 v39, v39, v40
	v_add_nc_u32_e32 v40, 0x2200, v138
	ds_load_2addr_b32 v[48:49], v40 offset0:116 offset1:136
	ds_load_2addr_b32 v[50:51], v81 offset0:176 offset1:196
	;; [unrolled: 1-line block ×3, first 2 shown]
	scratch_load_b32 v46, off, off offset:548 ; 4-byte Folded Reload
	s_waitcnt vmcnt(0)
	ds_load_b32 v75, v46 offset:1088
	ds_load_2addr_b32 v[54:55], v79 offset0:124 offset1:212
	ds_load_2addr_b32 v[57:58], v91 offset0:4 offset1:24
	ds_load_2addr_b32 v[59:60], v91 offset0:72 offset1:92
	ds_load_b32 v76, v46 offset:2176
	ds_load_2addr_b32 v[61:62], v91 offset0:140 offset1:228
	ds_load_2addr_b32 v[63:64], v129 offset0:20 offset1:40
	ds_load_2addr_b32 v[65:66], v129 offset0:88 offset1:108
	;; [unrolled: 4-line block ×3, first 2 shown]
	s_waitcnt lgkmcnt(13)
	v_perm_b32 v40, v51, v73, 0x5040100
	s_waitcnt lgkmcnt(12)
	v_perm_b32 v41, v53, v49, 0x5040100
	;; [unrolled: 2-line block ×8, first 2 shown]
	s_delay_alu instid0(VALU_DEP_1)
	v_wmma_f16_16x16x16_f16 v[24:31], v[40:47], v[32:39], v[24:31]
	v_perm_b32 v40, v51, v73, 0x7060302
	v_perm_b32 v42, v55, v75, 0x7060302
	;; [unrolled: 1-line block ×8, first 2 shown]
	ds_load_2addr_b32 v[72:73], v81 offset0:144 offset1:160
	ds_load_2addr_b32 v[75:76], v81 offset0:212 offset1:228
	;; [unrolled: 1-line block ×4, first 2 shown]
	v_wmma_f16_16x16x16_f16 v[24:31], v[40:47], v[32:39], v[24:31] op_sel:[0,0,1]
	scratch_load_b32 v46, off, off offset:580 ; 4-byte Folded Reload
	v_add_nc_u32_e32 v44, 0x2a00, v138
	s_waitcnt vmcnt(0)
	ds_load_b32 v49, v46 offset:1088
	ds_load_2addr_b32 v[94:95], v79 offset0:228 offset1:244
	ds_load_2addr_b32 v[96:97], v91 offset0:40 offset1:56
	ds_load_2addr_b32 v[98:99], v91 offset0:108 offset1:124
	ds_load_b32 v51, v46 offset:2176
	ds_load_2addr_b32 v[100:101], v44 offset0:116 offset1:132
	ds_load_2addr_b32 v[127:128], v129 offset0:56 offset1:72
	ds_load_2addr_b32 v[129:130], v129 offset0:124 offset1:140
	;; [unrolled: 4-line block ×3, first 2 shown]
	s_waitcnt lgkmcnt(14)
	v_perm_b32 v40, v75, v72, 0x5040100
	s_waitcnt lgkmcnt(12)
	v_perm_b32 v41, v89, v77, 0x5040100
	v_add_nc_u32_e32 v91, 0x4000, v138
	s_waitcnt lgkmcnt(10)
	v_perm_b32 v42, v94, v49, 0x5040100
	s_waitcnt lgkmcnt(8)
	v_perm_b32 v43, v98, v96, 0x5040100
	;; [unrolled: 2-line block ×6, first 2 shown]
	s_delay_alu instid0(VALU_DEP_1)
	v_wmma_f16_16x16x16_f16 v[16:23], v[40:47], v[32:39], v[16:23]
	v_perm_b32 v42, v94, v49, 0x7060302
	v_perm_b32 v44, v100, v51, 0x7060302
	v_perm_b32 v46, v131, v53, 0x7060302
	v_perm_b32 v40, v75, v72, 0x7060302
	v_perm_b32 v41, v89, v77, 0x7060302
	v_perm_b32 v43, v98, v96, 0x7060302
	v_perm_b32 v45, v129, v127, 0x7060302
	v_perm_b32 v47, v135, v133, 0x7060302
	v_add_nc_u32_e32 v75, 0x3400, v138
	s_delay_alu instid0(VALU_DEP_2)
	v_wmma_f16_16x16x16_f16 v[16:23], v[40:47], v[32:39], v[16:23] op_sel:[0,0,1]
	scratch_load_b32 v46, off, off offset:612 ; 4-byte Folded Reload
	v_perm_b32 v40, v76, v73, 0x5040100
	v_perm_b32 v41, v90, v78, 0x5040100
	;; [unrolled: 1-line block ×5, first 2 shown]
	s_waitcnt vmcnt(0)
	ds_load_b32 v49, v46 offset:1088
	ds_load_b32 v51, v46 offset:2176
	;; [unrolled: 1-line block ×3, first 2 shown]
	s_waitcnt lgkmcnt(2)
	v_perm_b32 v42, v95, v49, 0x5040100
	s_waitcnt lgkmcnt(1)
	v_perm_b32 v44, v101, v51, 0x5040100
	;; [unrolled: 2-line block ×3, first 2 shown]
	s_delay_alu instid0(VALU_DEP_1)
	v_wmma_f16_16x16x16_f16 v[8:15], v[40:47], v[32:39], v[8:15]
	v_perm_b32 v40, v76, v73, 0x7060302
	v_perm_b32 v41, v90, v78, 0x7060302
	;; [unrolled: 1-line block ×8, first 2 shown]
	ds_load_2addr_b32 v[72:73], v74 offset0:172 offset1:192
	v_add_nc_u32_e32 v90, 0x3c00, v138
	v_wmma_f16_16x16x16_f16 v[8:15], v[40:47], v[32:39], v[8:15] op_sel:[0,0,1]
	scratch_load_b32 v46, off, off offset:628 ; 4-byte Folded Reload
	v_perm_b32 v40, v48, v50, 0x5040100
	v_perm_b32 v41, v54, v52, 0x5040100
	;; [unrolled: 1-line block ×4, first 2 shown]
	s_waitcnt lgkmcnt(0)
	v_perm_b32 v47, v72, v71, 0x5040100
	s_waitcnt vmcnt(0)
	ds_load_b32 v49, v46 offset:1088
	ds_load_b32 v51, v46 offset:2176
	;; [unrolled: 1-line block ×3, first 2 shown]
	s_waitcnt lgkmcnt(2)
	v_perm_b32 v42, v57, v49, 0x5040100
	s_waitcnt lgkmcnt(1)
	v_perm_b32 v44, v63, v51, 0x5040100
	;; [unrolled: 2-line block ×3, first 2 shown]
	s_delay_alu instid0(VALU_DEP_1)
	v_wmma_f16_16x16x16_f16 v[0:7], v[40:47], v[32:39], v[0:7]
	v_perm_b32 v40, v48, v50, 0x7060302
	v_perm_b32 v41, v54, v52, 0x7060302
	;; [unrolled: 1-line block ×8, first 2 shown]
	s_delay_alu instid0(VALU_DEP_1) | instskip(SKIP_2) | instid1(VALU_DEP_2)
	v_wmma_f16_16x16x16_f16 v[0:7], v[40:47], v[32:39], v[0:7] op_sel:[0,0,1]
	v_sub_f32_e32 v32, v88, v56
	v_add_nc_u32_e32 v46, 0x3e00, v138
	v_mul_f32_e32 v33, 0x3fb8aa3b, v32
	v_cmp_ngt_f32_e64 s4, 0xc2ce8ed0, v32
	v_cmp_nlt_f32_e64 s5, 0x42b17218, v32
	s_delay_alu instid0(VALU_DEP_3) | instskip(SKIP_1) | instid1(VALU_DEP_1)
	v_fma_f32 v34, 0x3fb8aa3b, v32, -v33
	v_rndne_f32_e32 v35, v33
	v_dual_fmac_f32 v34, 0x32a5705f, v32 :: v_dual_sub_f32 v33, v33, v35
	v_cvt_i32_f32_e32 v35, v35
	s_delay_alu instid0(VALU_DEP_2) | instskip(NEXT) | instid1(VALU_DEP_1)
	v_dual_add_f32 v33, v33, v34 :: v_dual_sub_f32 v34, v87, v56
	v_exp_f32_e32 v33, v33
	s_delay_alu instid0(VALU_DEP_1) | instskip(SKIP_2) | instid1(VALU_DEP_3)
	v_mul_f32_e32 v36, 0x3fb8aa3b, v34
	v_cmp_ngt_f32_e64 s6, 0xc2ce8ed0, v34
	v_cmp_nlt_f32_e64 s7, 0x42b17218, v34
	v_fma_f32 v37, 0x3fb8aa3b, v34, -v36
	v_rndne_f32_e32 v38, v36
	s_waitcnt_depctr 0xfff
	v_ldexp_f32 v33, v33, v35
	v_fmac_f32_e32 v37, 0x32a5705f, v34
	v_sub_f32_e32 v36, v36, v38
	v_cvt_i32_f32_e32 v35, v38
	s_delay_alu instid0(VALU_DEP_4) | instskip(NEXT) | instid1(VALU_DEP_3)
	v_cndmask_b32_e64 v33, 0, v33, s4
	v_add_f32_e32 v36, v36, v37
	s_delay_alu instid0(VALU_DEP_2) | instskip(NEXT) | instid1(VALU_DEP_2)
	v_cndmask_b32_e64 v127, 0x7f800000, v33, s5
	v_exp_f32_e32 v32, v36
	s_waitcnt_depctr 0xfff
	v_ldexp_f32 v32, v32, v35
	s_delay_alu instid0(VALU_DEP_1) | instskip(NEXT) | instid1(VALU_DEP_1)
	v_cndmask_b32_e64 v32, 0, v32, s6
	v_cndmask_b32_e64 v128, 0x7f800000, v32, s7
	ds_bpermute_b32 v32, v92, v127
	ds_bpermute_b32 v34, v92, v128
	s_waitcnt lgkmcnt(1)
	v_cndmask_b32_e32 v33, v127, v32, vcc_lo
	v_cndmask_b32_e64 v32, v127, v32, s1
	s_delay_alu instid0(VALU_DEP_2) | instskip(NEXT) | instid1(VALU_DEP_2)
	v_cndmask_b32_e64 v36, v33, v128, s3
	v_cndmask_b32_e64 v35, v32, v128, s2
	v_cvt_f16_f32_e32 v32, v32
	v_cvt_f16_f32_e32 v33, v33
	s_waitcnt lgkmcnt(0)
	s_delay_alu instid0(VALU_DEP_3) | instskip(SKIP_1) | instid1(VALU_DEP_3)
	v_cndmask_b32_e64 v35, v35, v34, s1
	v_cndmask_b32_e32 v34, v36, v34, vcc_lo
	v_pack_b32_f16 v32, v32, v33
	s_delay_alu instid0(VALU_DEP_3) | instskip(NEXT) | instid1(VALU_DEP_3)
	v_cvt_f16_f32_e32 v36, v35
	v_cvt_f16_f32_e32 v37, v34
	s_delay_alu instid0(VALU_DEP_1) | instskip(SKIP_2) | instid1(VALU_DEP_2)
	v_pack_b32_f16 v33, v36, v37
	v_sub_f32_e32 v36, v86, v56
	v_add_nc_u32_e32 v86, 0x3800, v138
	v_mul_f32_e32 v37, 0x3fb8aa3b, v36
	v_cmp_ngt_f32_e64 s4, 0xc2ce8ed0, v36
	v_cmp_nlt_f32_e64 s5, 0x42b17218, v36
	s_delay_alu instid0(VALU_DEP_3) | instskip(SKIP_1) | instid1(VALU_DEP_1)
	v_fma_f32 v38, 0x3fb8aa3b, v36, -v37
	v_rndne_f32_e32 v39, v37
	v_dual_fmac_f32 v38, 0x32a5705f, v36 :: v_dual_sub_f32 v37, v37, v39
	s_delay_alu instid0(VALU_DEP_1) | instskip(SKIP_1) | instid1(VALU_DEP_2)
	v_add_f32_e32 v37, v37, v38
	v_cvt_i32_f32_e32 v38, v39
	v_exp_f32_e32 v37, v37
	s_waitcnt_depctr 0xfff
	v_ldexp_f32 v37, v37, v38
	s_delay_alu instid0(VALU_DEP_1) | instskip(NEXT) | instid1(VALU_DEP_1)
	v_cndmask_b32_e64 v36, 0, v37, s4
	v_cndmask_b32_e64 v129, 0x7f800000, v36, s5
	ds_bpermute_b32 v36, v92, v129
	v_cndmask_b32_e64 v35, v35, v129, s2
	v_cndmask_b32_e64 v34, v34, v129, s3
	s_waitcnt lgkmcnt(0)
	s_delay_alu instid0(VALU_DEP_2) | instskip(NEXT) | instid1(VALU_DEP_2)
	v_cndmask_b32_e64 v35, v35, v36, s1
	v_cndmask_b32_e32 v36, v34, v36, vcc_lo
	s_delay_alu instid0(VALU_DEP_2) | instskip(NEXT) | instid1(VALU_DEP_2)
	v_cvt_f16_f32_e32 v34, v35
	v_cvt_f16_f32_e32 v37, v36
	s_delay_alu instid0(VALU_DEP_1) | instskip(SKIP_1) | instid1(VALU_DEP_1)
	v_pack_b32_f16 v34, v34, v37
	v_sub_f32_e32 v37, v85, v56
	v_mul_f32_e32 v38, 0x3fb8aa3b, v37
	v_cmp_ngt_f32_e64 s4, 0xc2ce8ed0, v37
	v_cmp_nlt_f32_e64 s5, 0x42b17218, v37
	s_delay_alu instid0(VALU_DEP_3) | instskip(SKIP_1) | instid1(VALU_DEP_1)
	v_fma_f32 v39, 0x3fb8aa3b, v37, -v38
	v_rndne_f32_e32 v40, v38
	v_dual_fmac_f32 v39, 0x32a5705f, v37 :: v_dual_sub_f32 v38, v38, v40
	s_delay_alu instid0(VALU_DEP_1) | instskip(SKIP_1) | instid1(VALU_DEP_2)
	v_add_f32_e32 v38, v38, v39
	v_cvt_i32_f32_e32 v39, v40
	v_exp_f32_e32 v38, v38
	s_waitcnt_depctr 0xfff
	v_ldexp_f32 v38, v38, v39
	s_delay_alu instid0(VALU_DEP_1) | instskip(NEXT) | instid1(VALU_DEP_1)
	v_cndmask_b32_e64 v37, 0, v38, s4
	v_cndmask_b32_e64 v130, 0x7f800000, v37, s5
	ds_bpermute_b32 v37, v92, v130
	v_cndmask_b32_e64 v35, v35, v130, s2
	v_cndmask_b32_e64 v36, v36, v130, s3
	s_waitcnt lgkmcnt(0)
	s_delay_alu instid0(VALU_DEP_2) | instskip(NEXT) | instid1(VALU_DEP_2)
	v_cndmask_b32_e64 v38, v35, v37, s1
	v_cndmask_b32_e32 v36, v36, v37, vcc_lo
	s_delay_alu instid0(VALU_DEP_2) | instskip(NEXT) | instid1(VALU_DEP_2)
	v_cvt_f16_f32_e32 v35, v38
	v_cvt_f16_f32_e32 v37, v36
	s_delay_alu instid0(VALU_DEP_1) | instskip(SKIP_1) | instid1(VALU_DEP_1)
	v_pack_b32_f16 v35, v35, v37
	v_sub_f32_e32 v37, v84, v56
	v_mul_f32_e32 v39, 0x3fb8aa3b, v37
	v_cmp_ngt_f32_e64 s4, 0xc2ce8ed0, v37
	v_cmp_nlt_f32_e64 s5, 0x42b17218, v37
	s_delay_alu instid0(VALU_DEP_3) | instskip(SKIP_1) | instid1(VALU_DEP_2)
	v_fma_f32 v40, 0x3fb8aa3b, v37, -v39
	v_rndne_f32_e32 v41, v39
	v_fmac_f32_e32 v40, 0x32a5705f, v37
	s_delay_alu instid0(VALU_DEP_2) | instskip(NEXT) | instid1(VALU_DEP_1)
	v_sub_f32_e32 v39, v39, v41
	v_add_f32_e32 v39, v39, v40
	v_cvt_i32_f32_e32 v40, v41
	s_delay_alu instid0(VALU_DEP_2) | instskip(SKIP_2) | instid1(VALU_DEP_1)
	v_exp_f32_e32 v39, v39
	s_waitcnt_depctr 0xfff
	v_ldexp_f32 v39, v39, v40
	v_cndmask_b32_e64 v37, 0, v39, s4
	s_delay_alu instid0(VALU_DEP_1) | instskip(NEXT) | instid1(VALU_DEP_1)
	v_cndmask_b32_e64 v131, 0x7f800000, v37, s5
	v_cndmask_b32_e64 v37, v38, v131, s2
	ds_bpermute_b32 v38, v92, v131
	v_cndmask_b32_e64 v36, v36, v131, s3
	s_waitcnt lgkmcnt(0)
	v_cndmask_b32_e64 v37, v37, v38, s1
	s_delay_alu instid0(VALU_DEP_2) | instskip(NEXT) | instid1(VALU_DEP_2)
	v_cndmask_b32_e32 v38, v36, v38, vcc_lo
	v_cvt_f16_f32_e32 v36, v37
	s_delay_alu instid0(VALU_DEP_2) | instskip(NEXT) | instid1(VALU_DEP_1)
	v_cvt_f16_f32_e32 v39, v38
	v_pack_b32_f16 v36, v36, v39
	v_sub_f32_e32 v39, v83, v56
	s_delay_alu instid0(VALU_DEP_1) | instskip(SKIP_2) | instid1(VALU_DEP_3)
	v_mul_f32_e32 v40, 0x3fb8aa3b, v39
	v_cmp_ngt_f32_e64 s4, 0xc2ce8ed0, v39
	v_cmp_nlt_f32_e64 s5, 0x42b17218, v39
	v_fma_f32 v41, 0x3fb8aa3b, v39, -v40
	v_rndne_f32_e32 v42, v40
	s_delay_alu instid0(VALU_DEP_1) | instskip(NEXT) | instid1(VALU_DEP_1)
	v_dual_fmac_f32 v41, 0x32a5705f, v39 :: v_dual_sub_f32 v40, v40, v42
	v_add_f32_e32 v40, v40, v41
	v_cvt_i32_f32_e32 v41, v42
	s_delay_alu instid0(VALU_DEP_2) | instskip(SKIP_2) | instid1(VALU_DEP_1)
	v_exp_f32_e32 v40, v40
	s_waitcnt_depctr 0xfff
	v_ldexp_f32 v40, v40, v41
	v_cndmask_b32_e64 v39, 0, v40, s4
	s_delay_alu instid0(VALU_DEP_1) | instskip(SKIP_4) | instid1(VALU_DEP_2)
	v_cndmask_b32_e64 v132, 0x7f800000, v39, s5
	ds_bpermute_b32 v39, v92, v132
	v_cndmask_b32_e64 v37, v37, v132, s2
	v_cndmask_b32_e64 v38, v38, v132, s3
	s_waitcnt lgkmcnt(0)
	v_cndmask_b32_e64 v40, v37, v39, s1
	s_delay_alu instid0(VALU_DEP_2) | instskip(NEXT) | instid1(VALU_DEP_2)
	v_cndmask_b32_e32 v38, v38, v39, vcc_lo
	v_cvt_f16_f32_e32 v37, v40
	s_delay_alu instid0(VALU_DEP_2) | instskip(NEXT) | instid1(VALU_DEP_1)
	v_cvt_f16_f32_e32 v39, v38
	v_pack_b32_f16 v37, v37, v39
	v_sub_f32_e32 v39, v82, v56
	s_delay_alu instid0(VALU_DEP_1) | instskip(SKIP_2) | instid1(VALU_DEP_3)
	v_mul_f32_e32 v41, 0x3fb8aa3b, v39
	v_cmp_ngt_f32_e64 s4, 0xc2ce8ed0, v39
	v_cmp_nlt_f32_e64 s5, 0x42b17218, v39
	v_fma_f32 v42, 0x3fb8aa3b, v39, -v41
	v_rndne_f32_e32 v43, v41
	s_delay_alu instid0(VALU_DEP_2) | instskip(NEXT) | instid1(VALU_DEP_2)
	v_fmac_f32_e32 v42, 0x32a5705f, v39
	v_sub_f32_e32 v41, v41, v43
	s_delay_alu instid0(VALU_DEP_1) | instskip(SKIP_1) | instid1(VALU_DEP_2)
	v_add_f32_e32 v41, v41, v42
	v_cvt_i32_f32_e32 v42, v43
	v_exp_f32_e32 v41, v41
	s_waitcnt_depctr 0xfff
	v_ldexp_f32 v41, v41, v42
	s_delay_alu instid0(VALU_DEP_1) | instskip(NEXT) | instid1(VALU_DEP_1)
	v_cndmask_b32_e64 v39, 0, v41, s4
	v_cndmask_b32_e64 v133, 0x7f800000, v39, s5
	s_delay_alu instid0(VALU_DEP_1) | instskip(SKIP_4) | instid1(VALU_DEP_2)
	v_cndmask_b32_e64 v39, v40, v133, s2
	ds_bpermute_b32 v40, v92, v133
	v_cndmask_b32_e64 v38, v38, v133, s3
	s_waitcnt lgkmcnt(0)
	v_cndmask_b32_e64 v39, v39, v40, s1
	v_cndmask_b32_e32 v40, v38, v40, vcc_lo
	s_delay_alu instid0(VALU_DEP_2) | instskip(NEXT) | instid1(VALU_DEP_2)
	v_cvt_f16_f32_e32 v38, v39
	v_cvt_f16_f32_e32 v41, v40
	s_delay_alu instid0(VALU_DEP_1) | instskip(SKIP_1) | instid1(VALU_DEP_1)
	v_pack_b32_f16 v38, v38, v41
	v_sub_f32_e32 v41, v80, v56
	v_mul_f32_e32 v42, 0x3fb8aa3b, v41
	v_cmp_ngt_f32_e64 s4, 0xc2ce8ed0, v41
	v_cmp_nlt_f32_e64 s5, 0x42b17218, v41
	s_delay_alu instid0(VALU_DEP_3) | instskip(SKIP_1) | instid1(VALU_DEP_1)
	v_fma_f32 v43, 0x3fb8aa3b, v41, -v42
	v_rndne_f32_e32 v44, v42
	v_dual_fmac_f32 v43, 0x32a5705f, v41 :: v_dual_sub_f32 v42, v42, v44
	s_delay_alu instid0(VALU_DEP_1) | instskip(SKIP_2) | instid1(VALU_DEP_3)
	v_add_f32_e32 v42, v42, v43
	v_cvt_i32_f32_e32 v43, v44
	v_add_nc_u32_e32 v44, 0x3a00, v138
	v_exp_f32_e32 v42, v42
	s_waitcnt_depctr 0xfff
	v_ldexp_f32 v42, v42, v43
	s_delay_alu instid0(VALU_DEP_1) | instskip(SKIP_1) | instid1(VALU_DEP_2)
	v_cndmask_b32_e64 v41, 0, v42, s4
	v_add_nc_u32_e32 v42, 0x3600, v138
	v_cndmask_b32_e64 v134, 0x7f800000, v41, s5
	ds_bpermute_b32 v41, v92, v134
	v_cndmask_b32_e64 v39, v39, v134, s2
	v_cndmask_b32_e64 v40, v40, v134, s3
	s_waitcnt lgkmcnt(0)
	s_delay_alu instid0(VALU_DEP_2) | instskip(NEXT) | instid1(VALU_DEP_2)
	v_cndmask_b32_e64 v39, v39, v41, s1
	v_cndmask_b32_e32 v40, v40, v41, vcc_lo
	s_delay_alu instid0(VALU_DEP_2) | instskip(NEXT) | instid1(VALU_DEP_2)
	v_cvt_f16_f32_e32 v39, v39
	v_cvt_f16_f32_e32 v40, v40
	s_delay_alu instid0(VALU_DEP_1)
	v_pack_b32_f16 v39, v39, v40
	v_add_nc_u32_e32 v40, 0x3200, v138
	ds_load_2addr_b32 v[48:49], v40 offset0:112 offset1:132
	ds_load_2addr_b32 v[52:53], v75 offset0:52 offset1:72
	;; [unrolled: 1-line block ×3, first 2 shown]
	scratch_load_b32 v47, off, off offset:556 ; 4-byte Folded Reload
	s_waitcnt vmcnt(0)
	ds_load_b32 v76, v47 offset:1088
	ds_load_2addr_b32 v[57:58], v42 offset0:60 offset1:148
	ds_load_2addr_b32 v[50:51], v86 offset0:68 offset1:88
	ds_load_2addr_b32 v[61:62], v86 offset0:136 offset1:156
	ds_load_b32 v77, v47 offset:2176
	ds_load_2addr_b32 v[63:64], v44 offset0:76 offset1:164
	ds_load_2addr_b32 v[59:60], v90 offset0:84 offset1:104
	ds_load_2addr_b32 v[65:66], v90 offset0:152 offset1:172
	;; [unrolled: 4-line block ×3, first 2 shown]
	s_waitcnt lgkmcnt(14)
	v_perm_b32 v40, v49, v73, 0x5040100
	s_waitcnt lgkmcnt(12)
	v_perm_b32 v41, v55, v53, 0x5040100
	;; [unrolled: 2-line block ×8, first 2 shown]
	s_delay_alu instid0(VALU_DEP_1)
	v_wmma_f16_16x16x16_f16 v[24:31], v[40:47], v[32:39], v[24:31]
	v_perm_b32 v40, v49, v73, 0x7060302
	v_perm_b32 v42, v58, v76, 0x7060302
	;; [unrolled: 1-line block ×8, first 2 shown]
	ds_load_2addr_b32 v[76:77], v74 offset0:208 offset1:224
	ds_load_2addr_b32 v[78:79], v75 offset0:20 offset1:36
	;; [unrolled: 1-line block ×4, first 2 shown]
	v_wmma_f16_16x16x16_f16 v[24:31], v[40:47], v[32:39], v[24:31] op_sel:[0,0,1]
	scratch_load_b32 v46, off, off offset:588 ; 4-byte Folded Reload
	s_waitcnt vmcnt(0)
	ds_load_b32 v49, v46 offset:1088
	ds_load_2addr_b32 v[72:73], v86 offset0:36 offset1:52
	ds_load_2addr_b32 v[84:85], v86 offset0:104 offset1:120
	ds_load_2addr_b32 v[86:87], v86 offset0:172 offset1:188
	ds_load_b32 v51, v46 offset:2176
	ds_load_2addr_b32 v[74:75], v90 offset0:52 offset1:68
	ds_load_2addr_b32 v[88:89], v90 offset0:120 offset1:136
	ds_load_2addr_b32 v[98:99], v90 offset0:188 offset1:204
	;; [unrolled: 4-line block ×3, first 2 shown]
	s_waitcnt lgkmcnt(14)
	v_perm_b32 v40, v78, v76, 0x5040100
	s_waitcnt lgkmcnt(12)
	v_perm_b32 v41, v82, v80, 0x5040100
	ds_load_b32 v68, v138 offset:17328
	s_waitcnt lgkmcnt(11)
	v_perm_b32 v42, v72, v49, 0x5040100
	s_waitcnt lgkmcnt(9)
	v_perm_b32 v43, v86, v84, 0x5040100
	;; [unrolled: 2-line block ×6, first 2 shown]
	s_delay_alu instid0(VALU_DEP_1)
	v_wmma_f16_16x16x16_f16 v[16:23], v[40:47], v[32:39], v[16:23]
	v_perm_b32 v42, v72, v49, 0x7060302
	v_perm_b32 v44, v74, v51, 0x7060302
	;; [unrolled: 1-line block ×11, first 2 shown]
	s_delay_alu instid0(VALU_DEP_4)
	v_wmma_f16_16x16x16_f16 v[16:23], v[40:47], v[32:39], v[16:23] op_sel:[0,0,1]
	scratch_load_b32 v46, off, off offset:616 ; 4-byte Folded Reload
	v_perm_b32 v40, v79, v77, 0x5040100
	v_perm_b32 v41, v83, v81, 0x5040100
	;; [unrolled: 1-line block ×5, first 2 shown]
	s_waitcnt vmcnt(0)
	ds_load_b32 v55, v46 offset:1088
	ds_load_b32 v58, v46 offset:2176
	;; [unrolled: 1-line block ×3, first 2 shown]
	s_waitcnt lgkmcnt(2)
	v_perm_b32 v42, v73, v55, 0x5040100
	s_waitcnt lgkmcnt(1)
	v_perm_b32 v44, v75, v58, 0x5040100
	;; [unrolled: 2-line block ×3, first 2 shown]
	s_delay_alu instid0(VALU_DEP_1)
	v_wmma_f16_16x16x16_f16 v[8:15], v[40:47], v[32:39], v[8:15]
	scratch_load_b32 v46, off, off offset:632 ; 4-byte Folded Reload
	v_perm_b32 v40, v52, v48, 0x5040100
	v_perm_b32 v41, v57, v54, 0x5040100
	;; [unrolled: 1-line block ×6, first 2 shown]
	s_waitcnt vmcnt(0)
	ds_load_b32 v62, v46 offset:1088
	ds_load_b32 v64, v46 offset:2176
	;; [unrolled: 1-line block ×3, first 2 shown]
	s_waitcnt lgkmcnt(0)
	s_barrier
	buffer_gl0_inv
	v_perm_b32 v42, v50, v62, 0x5040100
	v_perm_b32 v44, v59, v64, 0x5040100
	;; [unrolled: 1-line block ×6, first 2 shown]
	s_delay_alu instid0(VALU_DEP_4)
	v_wmma_f16_16x16x16_f16 v[0:7], v[40:47], v[32:39], v[0:7]
	v_perm_b32 v42, v73, v55, 0x7060302
	v_add_f32_e32 v55, v103, v104
	v_perm_b32 v44, v75, v58, 0x7060302
	v_perm_b32 v40, v79, v77, 0x7060302
	;; [unrolled: 1-line block ×4, first 2 shown]
	v_add_f32_e32 v55, v105, v55
	v_perm_b32 v45, v99, v89, 0x7060302
	v_perm_b32 v47, v97, v95, 0x7060302
	;; [unrolled: 1-line block ×3, first 2 shown]
	s_delay_alu instid0(VALU_DEP_4) | instskip(NEXT) | instid1(VALU_DEP_2)
	v_add_f32_e32 v55, v106, v55
	v_wmma_f16_16x16x16_f16 v[8:15], v[40:47], v[32:39], v[8:15] op_sel:[0,0,1]
	s_delay_alu instid0(VALU_DEP_2) | instskip(NEXT) | instid1(VALU_DEP_1)
	v_add_f32_e32 v55, v107, v55
	v_add_f32_e32 v55, v108, v55
	s_delay_alu instid0(VALU_DEP_1) | instskip(NEXT) | instid1(VALU_DEP_1)
	v_add_f32_e32 v55, v109, v55
	v_add_f32_e32 v55, v110, v55
	s_delay_alu instid0(VALU_DEP_1) | instskip(NEXT) | instid1(VALU_DEP_1)
	;; [unrolled: 3-line block ×13, first 2 shown]
	v_add_f32_e32 v55, v133, v55
	v_add_f32_e32 v57, v134, v55
	v_perm_b32 v55, v68, v67, 0x7060302
	s_delay_alu instid0(VALU_DEP_2) | instskip(NEXT) | instid1(VALU_DEP_2)
	v_fmac_f32_e32 v57, v93, v102
	v_wmma_f16_16x16x16_f16 v[0:7], v[48:55], v[32:39], v[0:7] op_sel:[0,0,1]
	ds_bpermute_b32 v58, v92, v57
	s_waitcnt lgkmcnt(0)
	v_add_f32_e32 v57, v57, v58
	s_cbranch_scc1 .LBB25_347
; %bb.346:                              ;   in Loop: Header=BB25_14 Depth=1
	scratch_load_b32 v32, off, off offset:1412 ; 4-byte Folded Reload
	v_max_f32_e32 v34, v56, v56
	s_waitcnt vmcnt(0)
	v_lshlrev_b32_e32 v32, 2, v32
	global_load_b32 v32, v32, s[74:75]
	s_waitcnt vmcnt(0)
	v_max_f32_e32 v33, v32, v32
	s_delay_alu instid0(VALU_DEP_1) | instskip(NEXT) | instid1(VALU_DEP_1)
	v_max_f32_e32 v33, v34, v33
	v_sub_f32_e32 v34, v56, v33
	v_sub_f32_e32 v32, v32, v33
	s_delay_alu instid0(VALU_DEP_2) | instskip(NEXT) | instid1(VALU_DEP_1)
	v_dual_mov_b32 v56, v33 :: v_dual_mul_f32 v35, 0x3fb8aa3b, v34
	v_fma_f32 v36, 0x3fb8aa3b, v34, -v35
	v_rndne_f32_e32 v37, v35
	s_delay_alu instid0(VALU_DEP_1) | instskip(NEXT) | instid1(VALU_DEP_1)
	v_dual_fmac_f32 v36, 0x32a5705f, v34 :: v_dual_sub_f32 v35, v35, v37
	v_add_f32_e32 v35, v35, v36
	v_cvt_i32_f32_e32 v36, v37
	v_cmp_ngt_f32_e32 vcc_lo, 0xc2ce8ed0, v34
	s_delay_alu instid0(VALU_DEP_3) | instskip(SKIP_2) | instid1(VALU_DEP_1)
	v_exp_f32_e32 v35, v35
	s_waitcnt_depctr 0xfff
	v_ldexp_f32 v35, v35, v36
	v_cndmask_b32_e32 v35, 0, v35, vcc_lo
	v_cmp_nlt_f32_e32 vcc_lo, 0x42b17218, v34
	s_delay_alu instid0(VALU_DEP_2) | instskip(SKIP_1) | instid1(VALU_DEP_2)
	v_cndmask_b32_e32 v35, 0x7f800000, v35, vcc_lo
	v_cmp_le_f32_e32 vcc_lo, 0xc1a00000, v34
	v_cndmask_b32_e32 v34, 0, v35, vcc_lo
	v_cmp_ngt_f32_e32 vcc_lo, 0xc2ce8ed0, v32
	s_delay_alu instid0(VALU_DEP_2) | instskip(NEXT) | instid1(VALU_DEP_1)
	v_cvt_f16_f32_e32 v35, v34
	v_pk_mul_f16 v24, v35, v24 op_sel_hi:[0,1]
	v_pk_mul_f16 v25, v35, v25 op_sel_hi:[0,1]
	;; [unrolled: 1-line block ×32, first 2 shown]
	v_mul_f32_e32 v35, 0x3fb8aa3b, v32
	s_delay_alu instid0(VALU_DEP_1) | instskip(SKIP_1) | instid1(VALU_DEP_1)
	v_fma_f32 v36, 0x3fb8aa3b, v32, -v35
	v_rndne_f32_e32 v37, v35
	v_dual_fmac_f32 v36, 0x32a5705f, v32 :: v_dual_sub_f32 v35, v35, v37
	s_delay_alu instid0(VALU_DEP_1) | instskip(SKIP_1) | instid1(VALU_DEP_2)
	v_add_f32_e32 v35, v35, v36
	v_cvt_i32_f32_e32 v36, v37
	v_exp_f32_e32 v35, v35
	s_waitcnt_depctr 0xfff
	v_ldexp_f32 v35, v35, v36
	s_delay_alu instid0(VALU_DEP_1) | instskip(SKIP_1) | instid1(VALU_DEP_2)
	v_cndmask_b32_e32 v35, 0, v35, vcc_lo
	v_cmp_nlt_f32_e32 vcc_lo, 0x42b17218, v32
	v_cndmask_b32_e32 v32, 0x7f800000, v35, vcc_lo
	s_delay_alu instid0(VALU_DEP_1) | instskip(NEXT) | instid1(VALU_DEP_1)
	v_fmac_f32_e32 v32, v57, v34
	v_mov_b32_e32 v57, v32
.LBB25_347:                             ;   in Loop: Header=BB25_14 Depth=1
	s_barrier
	buffer_gl0_inv
	s_mov_b32 s0, exec_lo
	v_readlane_b32 s1, v255, 16
	s_delay_alu instid0(VALU_DEP_1) | instskip(NEXT) | instid1(SALU_CYCLE_1)
	s_and_b32 s1, s0, s1
	s_mov_b32 exec_lo, s1
	s_cbranch_execz .LBB25_349
; %bb.348:                              ;   in Loop: Header=BB25_14 Depth=1
	scratch_load_b64 v[32:33], off, off offset:1432 ; 8-byte Folded Reload
	s_waitcnt vmcnt(0)
	global_store_b64 v[32:33], v[56:57], off
.LBB25_349:                             ;   in Loop: Header=BB25_14 Depth=1
	s_or_b32 exec_lo, exec_lo, s0
	scratch_load_b32 v32, off, off offset:1316 ; 4-byte Folded Reload
	s_waitcnt vmcnt(0)
	ds_store_2addr_b32 v32, v24, v25 offset1:2
	ds_store_2addr_b32 v32, v26, v27 offset0:4 offset1:6
	ds_store_2addr_b32 v32, v28, v29 offset0:8 offset1:10
	;; [unrolled: 1-line block ×15, first 2 shown]
	s_clause 0x1
	scratch_load_b32 v6, off, off offset:724
	scratch_load_b32 v8, off, off offset:716
	v_mov_b32_e32 v0, 50
	s_waitcnt vmcnt(0) lgkmcnt(0)
	s_waitcnt_vscnt null, 0x0
	s_barrier
	buffer_gl0_inv
	v_cmp_gt_i32_e64 s1, s8, v6
	v_cmp_gt_i32_e64 s2, s78, v8
	v_cmp_le_i32_e32 vcc_lo, s78, v8
	s_delay_alu instid0(VALU_DEP_2) | instskip(NEXT) | instid1(SALU_CYCLE_1)
	s_and_b32 s1, s1, s2
	s_and_saveexec_b32 s0, s1
	s_cbranch_execz .LBB25_351
; %bb.350:                              ;   in Loop: Header=BB25_14 Depth=1
	s_clause 0x1
	scratch_load_b64 v[4:5], off, off offset:1196
	scratch_load_b32 v0, off, off offset:1320
	s_waitcnt vmcnt(1)
	v_mad_u64_u32 v[2:3], null, v6, s9, v[4:5]
	scratch_load_b32 v3, off, off offset:1048 ; 4-byte Folded Reload
	s_waitcnt vmcnt(1)
	ds_load_2addr_b32 v[0:1], v0 offset1:32
	s_waitcnt lgkmcnt(0)
	v_lshrrev_b32_e32 v4, 16, v0
	v_lshrrev_b32_e32 v5, 16, v1
	v_cvt_f32_f16_e32 v0, v0
	v_cvt_f32_f16_e32 v6, v1
	s_delay_alu instid0(VALU_DEP_4) | instskip(NEXT) | instid1(VALU_DEP_4)
	v_cvt_f32_f16_e32 v4, v4
	v_cvt_f32_f16_e32 v7, v5
	s_delay_alu instid0(VALU_DEP_2) | instskip(NEXT) | instid1(VALU_DEP_2)
	v_dual_add_f32 v5, 0, v6 :: v_dual_add_f32 v4, 0, v4
	v_add_f32_e32 v6, 0, v7
	s_waitcnt vmcnt(0)
	v_lshl_add_u32 v2, v2, 6, v3
	s_delay_alu instid0(VALU_DEP_1) | instskip(NEXT) | instid1(VALU_DEP_1)
	v_ashrrev_i32_e32 v3, 31, v2
	v_lshlrev_b64 v[2:3], 3, v[2:3]
	s_delay_alu instid0(VALU_DEP_1) | instskip(NEXT) | instid1(VALU_DEP_1)
	v_add_co_u32 v1, s1, s69, v2
	v_add_co_ci_u32_e64 v2, s1, s98, v3, s1
	v_dual_add_f32 v3, 0, v0 :: v_dual_mov_b32 v0, 0
	s_clause 0x1
	global_store_b64 v[1:2], v[3:4], off
	global_store_b64 v[1:2], v[5:6], off offset:256
.LBB25_351:                             ;   in Loop: Header=BB25_14 Depth=1
	s_or_b32 exec_lo, exec_lo, s0
	s_mov_b32 s3, -1
	s_mov_b32 s0, exec_lo
	v_cmpx_gt_i32_e32 50, v0
; %bb.352:                              ;   in Loop: Header=BB25_14 Depth=1
	v_cmp_eq_u32_e64 s1, 0, v0
	s_delay_alu instid0(VALU_DEP_1)
	s_or_not1_b32 s3, s1, exec_lo
; %bb.353:                              ;   in Loop: Header=BB25_14 Depth=1
	s_or_b32 exec_lo, exec_lo, s0
	s_mov_b32 s0, 0
	s_mov_b32 s77, 0
                                        ; implicit-def: $vgpr1
                                        ; implicit-def: $vgpr2
	s_and_saveexec_b32 s2, s3
	s_cbranch_execz .LBB25_441
; %bb.354:                              ;   in Loop: Header=BB25_14 Depth=1
	scratch_load_b32 v6, off, off offset:720 ; 4-byte Folded Reload
	v_mov_b32_e32 v0, 50
	s_xor_b32 s5, vcc_lo, -1
	s_waitcnt vmcnt(0)
	v_cmp_gt_i32_e64 s1, s8, v6
	s_delay_alu instid0(VALU_DEP_1) | instskip(NEXT) | instid1(SALU_CYCLE_1)
	s_and_b32 s3, s1, s5
	s_and_saveexec_b32 s1, s3
	s_cbranch_execz .LBB25_356
; %bb.355:                              ;   in Loop: Header=BB25_14 Depth=1
	s_clause 0x1
	scratch_load_b64 v[4:5], off, off offset:1196
	scratch_load_b32 v0, off, off offset:1212
	s_waitcnt vmcnt(1)
	v_mad_u64_u32 v[2:3], null, v6, s9, v[4:5]
	scratch_load_b32 v3, off, off offset:1048 ; 4-byte Folded Reload
	s_waitcnt vmcnt(1)
	ds_load_2addr_b32 v[0:1], v0 offset1:32
	s_waitcnt lgkmcnt(0)
	v_lshrrev_b32_e32 v4, 16, v0
	v_lshrrev_b32_e32 v5, 16, v1
	v_cvt_f32_f16_e32 v0, v0
	v_cvt_f32_f16_e32 v6, v1
	s_delay_alu instid0(VALU_DEP_4) | instskip(NEXT) | instid1(VALU_DEP_4)
	v_cvt_f32_f16_e32 v4, v4
	v_cvt_f32_f16_e32 v7, v5
	s_delay_alu instid0(VALU_DEP_2) | instskip(NEXT) | instid1(VALU_DEP_2)
	v_dual_add_f32 v5, 0, v6 :: v_dual_add_f32 v4, 0, v4
	v_add_f32_e32 v6, 0, v7
	s_waitcnt vmcnt(0)
	v_lshl_add_u32 v2, v2, 6, v3
	s_delay_alu instid0(VALU_DEP_1) | instskip(NEXT) | instid1(VALU_DEP_1)
	v_ashrrev_i32_e32 v3, 31, v2
	v_lshlrev_b64 v[2:3], 3, v[2:3]
	s_delay_alu instid0(VALU_DEP_1) | instskip(NEXT) | instid1(VALU_DEP_2)
	v_add_co_u32 v1, vcc_lo, s69, v2
	v_add_co_ci_u32_e32 v2, vcc_lo, s98, v3, vcc_lo
	v_dual_add_f32 v3, 0, v0 :: v_dual_mov_b32 v0, 0
	s_clause 0x1
	global_store_b64 v[1:2], v[3:4], off
	global_store_b64 v[1:2], v[5:6], off offset:256
.LBB25_356:                             ;   in Loop: Header=BB25_14 Depth=1
	s_or_b32 exec_lo, exec_lo, s1
	s_mov_b32 s4, -1
	s_mov_b32 s1, exec_lo
	v_cmpx_gt_i32_e32 50, v0
; %bb.357:                              ;   in Loop: Header=BB25_14 Depth=1
	v_cmp_eq_u32_e32 vcc_lo, 0, v0
	s_or_not1_b32 s4, vcc_lo, exec_lo
; %bb.358:                              ;   in Loop: Header=BB25_14 Depth=1
	s_or_b32 exec_lo, exec_lo, s1
	s_mov_b32 s3, 0
                                        ; implicit-def: $vgpr1
                                        ; implicit-def: $vgpr2
	s_and_saveexec_b32 s1, s4
	s_cbranch_execz .LBB25_440
; %bb.359:                              ;   in Loop: Header=BB25_14 Depth=1
	scratch_load_b32 v6, off, off offset:728 ; 4-byte Folded Reload
	v_mov_b32_e32 v0, 50
	s_waitcnt vmcnt(0)
	v_cmp_gt_i32_e32 vcc_lo, s8, v6
	s_and_b32 s4, vcc_lo, s5
	s_delay_alu instid0(SALU_CYCLE_1)
	s_and_saveexec_b32 s3, s4
	s_cbranch_execz .LBB25_361
; %bb.360:                              ;   in Loop: Header=BB25_14 Depth=1
	s_clause 0x1
	scratch_load_b64 v[4:5], off, off offset:1196
	scratch_load_b32 v0, off, off offset:1216
	s_waitcnt vmcnt(1)
	v_mad_u64_u32 v[2:3], null, v6, s9, v[4:5]
	scratch_load_b32 v3, off, off offset:1048 ; 4-byte Folded Reload
	s_waitcnt vmcnt(1)
	ds_load_2addr_b32 v[0:1], v0 offset1:32
	s_waitcnt lgkmcnt(0)
	v_lshrrev_b32_e32 v4, 16, v0
	v_lshrrev_b32_e32 v5, 16, v1
	v_cvt_f32_f16_e32 v0, v0
	v_cvt_f32_f16_e32 v6, v1
	s_delay_alu instid0(VALU_DEP_4) | instskip(NEXT) | instid1(VALU_DEP_4)
	v_cvt_f32_f16_e32 v4, v4
	v_cvt_f32_f16_e32 v7, v5
	s_delay_alu instid0(VALU_DEP_2) | instskip(NEXT) | instid1(VALU_DEP_2)
	v_dual_add_f32 v5, 0, v6 :: v_dual_add_f32 v4, 0, v4
	v_add_f32_e32 v6, 0, v7
	s_waitcnt vmcnt(0)
	v_lshl_add_u32 v2, v2, 6, v3
	s_delay_alu instid0(VALU_DEP_1) | instskip(NEXT) | instid1(VALU_DEP_1)
	v_ashrrev_i32_e32 v3, 31, v2
	v_lshlrev_b64 v[2:3], 3, v[2:3]
	s_delay_alu instid0(VALU_DEP_1) | instskip(NEXT) | instid1(VALU_DEP_2)
	v_add_co_u32 v1, vcc_lo, s69, v2
	v_add_co_ci_u32_e32 v2, vcc_lo, s98, v3, vcc_lo
	v_dual_add_f32 v3, 0, v0 :: v_dual_mov_b32 v0, 0
	s_clause 0x1
	global_store_b64 v[1:2], v[3:4], off
	global_store_b64 v[1:2], v[5:6], off offset:256
.LBB25_361:                             ;   in Loop: Header=BB25_14 Depth=1
	s_or_b32 exec_lo, exec_lo, s3
	s_mov_b32 s6, -1
	s_mov_b32 s3, exec_lo
	v_cmpx_gt_i32_e32 50, v0
; %bb.362:                              ;   in Loop: Header=BB25_14 Depth=1
	v_cmp_eq_u32_e32 vcc_lo, 0, v0
	s_or_not1_b32 s6, vcc_lo, exec_lo
; %bb.363:                              ;   in Loop: Header=BB25_14 Depth=1
	s_or_b32 exec_lo, exec_lo, s3
	s_mov_b32 s4, 0
                                        ; implicit-def: $vgpr1
                                        ; implicit-def: $vgpr2
	s_and_saveexec_b32 s3, s6
	s_cbranch_execz .LBB25_439
; %bb.364:                              ;   in Loop: Header=BB25_14 Depth=1
	scratch_load_b32 v6, off, off offset:732 ; 4-byte Folded Reload
	v_mov_b32_e32 v0, 50
	s_waitcnt vmcnt(0)
	v_cmp_gt_i32_e32 vcc_lo, s8, v6
	s_and_b32 s6, vcc_lo, s5
	s_delay_alu instid0(SALU_CYCLE_1)
	;; [unrolled: 56-line block ×4, first 2 shown]
	s_and_saveexec_b32 s7, s14
	s_cbranch_execz .LBB25_376
; %bb.375:                              ;   in Loop: Header=BB25_14 Depth=1
	s_clause 0x1
	scratch_load_b32 v0, off, off offset:1220
	scratch_load_b64 v[3:4], off, off offset:1196
	s_waitcnt vmcnt(1)
	v_add_nc_u32_e32 v2, 0x800, v0
	s_waitcnt vmcnt(0)
	v_mad_u64_u32 v[0:1], null, v5, s9, v[3:4]
	scratch_load_b32 v3, off, off offset:1048 ; 4-byte Folded Reload
	ds_load_2addr_b32 v[1:2], v2 offset0:32 offset1:64
	s_waitcnt lgkmcnt(0)
	v_lshrrev_b32_e32 v5, 16, v2
	v_cvt_f32_f16_e32 v2, v2
	s_delay_alu instid0(VALU_DEP_2) | instskip(NEXT) | instid1(VALU_DEP_1)
	v_cvt_f32_f16_e32 v6, v5
	v_add_f32_e32 v6, 0, v6
	s_waitcnt vmcnt(0)
	v_lshl_add_u32 v3, v0, 6, v3
	v_lshrrev_b32_e32 v0, 16, v1
	v_cvt_f32_f16_e32 v1, v1
	s_delay_alu instid0(VALU_DEP_3) | instskip(NEXT) | instid1(VALU_DEP_3)
	v_ashrrev_i32_e32 v4, 31, v3
	v_cvt_f32_f16_e32 v0, v0
	s_delay_alu instid0(VALU_DEP_3) | instskip(SKIP_1) | instid1(VALU_DEP_4)
	v_add_f32_e32 v1, 0, v1
	v_add_f32_e32 v5, 0, v2
	v_lshlrev_b64 v[3:4], 3, v[3:4]
	s_delay_alu instid0(VALU_DEP_4) | instskip(SKIP_1) | instid1(VALU_DEP_3)
	v_add_f32_e32 v2, 0, v0
	v_mov_b32_e32 v0, 0
	v_add_co_u32 v3, vcc_lo, s69, v3
	s_delay_alu instid0(VALU_DEP_4)
	v_add_co_ci_u32_e32 v4, vcc_lo, s98, v4, vcc_lo
	s_clause 0x1
	global_store_b64 v[3:4], v[1:2], off
	global_store_b64 v[3:4], v[5:6], off offset:256
.LBB25_376:                             ;   in Loop: Header=BB25_14 Depth=1
	s_or_b32 exec_lo, exec_lo, s7
	s_mov_b32 s35, -1
	s_mov_b32 s7, exec_lo
	v_cmpx_gt_i32_e32 50, v0
; %bb.377:                              ;   in Loop: Header=BB25_14 Depth=1
	v_cmp_eq_u32_e32 vcc_lo, 0, v0
	s_or_not1_b32 s35, vcc_lo, exec_lo
; %bb.378:                              ;   in Loop: Header=BB25_14 Depth=1
	s_or_b32 exec_lo, exec_lo, s7
	s_mov_b32 s14, 0
                                        ; implicit-def: $vgpr1
                                        ; implicit-def: $vgpr2
	s_and_saveexec_b32 s7, s35
	s_cbranch_execz .LBB25_436
; %bb.379:                              ;   in Loop: Header=BB25_14 Depth=1
	scratch_load_b32 v5, off, off offset:744 ; 4-byte Folded Reload
	v_mov_b32_e32 v0, 50
	s_waitcnt vmcnt(0)
	v_cmp_gt_i32_e32 vcc_lo, s8, v5
	s_and_b32 s35, vcc_lo, s5
	s_delay_alu instid0(SALU_CYCLE_1)
	s_and_saveexec_b32 s14, s35
	s_cbranch_execz .LBB25_381
; %bb.380:                              ;   in Loop: Header=BB25_14 Depth=1
	s_clause 0x1
	scratch_load_b32 v0, off, off offset:1220
	scratch_load_b64 v[3:4], off, off offset:1196
	s_waitcnt vmcnt(1)
	v_add_nc_u32_e32 v2, 0xc00, v0
	s_waitcnt vmcnt(0)
	v_mad_u64_u32 v[0:1], null, v5, s9, v[3:4]
	scratch_load_b32 v3, off, off offset:1048 ; 4-byte Folded Reload
	ds_load_2addr_b32 v[1:2], v2 offset0:48 offset1:80
	s_waitcnt lgkmcnt(0)
	v_lshrrev_b32_e32 v5, 16, v2
	v_cvt_f32_f16_e32 v2, v2
	s_delay_alu instid0(VALU_DEP_2) | instskip(NEXT) | instid1(VALU_DEP_1)
	v_cvt_f32_f16_e32 v6, v5
	v_add_f32_e32 v6, 0, v6
	s_waitcnt vmcnt(0)
	v_lshl_add_u32 v3, v0, 6, v3
	v_lshrrev_b32_e32 v0, 16, v1
	v_cvt_f32_f16_e32 v1, v1
	s_delay_alu instid0(VALU_DEP_3) | instskip(NEXT) | instid1(VALU_DEP_3)
	v_ashrrev_i32_e32 v4, 31, v3
	v_cvt_f32_f16_e32 v0, v0
	s_delay_alu instid0(VALU_DEP_3) | instskip(SKIP_1) | instid1(VALU_DEP_4)
	v_add_f32_e32 v1, 0, v1
	v_add_f32_e32 v5, 0, v2
	v_lshlrev_b64 v[3:4], 3, v[3:4]
	s_delay_alu instid0(VALU_DEP_4) | instskip(SKIP_1) | instid1(VALU_DEP_3)
	v_add_f32_e32 v2, 0, v0
	v_mov_b32_e32 v0, 0
	v_add_co_u32 v3, vcc_lo, s69, v3
	s_delay_alu instid0(VALU_DEP_4)
	v_add_co_ci_u32_e32 v4, vcc_lo, s98, v4, vcc_lo
	s_clause 0x1
	global_store_b64 v[3:4], v[1:2], off
	global_store_b64 v[3:4], v[5:6], off offset:256
.LBB25_381:                             ;   in Loop: Header=BB25_14 Depth=1
	s_or_b32 exec_lo, exec_lo, s14
	s_mov_b32 s46, -1
	s_mov_b32 s14, exec_lo
	v_cmpx_gt_i32_e32 50, v0
; %bb.382:                              ;   in Loop: Header=BB25_14 Depth=1
	v_cmp_eq_u32_e32 vcc_lo, 0, v0
	s_or_not1_b32 s46, vcc_lo, exec_lo
; %bb.383:                              ;   in Loop: Header=BB25_14 Depth=1
	s_or_b32 exec_lo, exec_lo, s14
	s_mov_b32 s35, 0
                                        ; implicit-def: $vgpr1
                                        ; implicit-def: $vgpr2
	s_and_saveexec_b32 s14, s46
	s_cbranch_execz .LBB25_435
; %bb.384:                              ;   in Loop: Header=BB25_14 Depth=1
	scratch_load_b32 v5, off, off offset:752 ; 4-byte Folded Reload
	v_mov_b32_e32 v0, 50
	s_waitcnt vmcnt(0)
	v_cmp_gt_i32_e32 vcc_lo, s8, v5
	s_and_b32 s46, vcc_lo, s5
	s_delay_alu instid0(SALU_CYCLE_1)
	s_and_saveexec_b32 s35, s46
	s_cbranch_execz .LBB25_386
; %bb.385:                              ;   in Loop: Header=BB25_14 Depth=1
	s_clause 0x1
	scratch_load_b32 v0, off, off offset:1220
	scratch_load_b64 v[3:4], off, off offset:1196
	s_waitcnt vmcnt(1)
	v_add_nc_u32_e32 v2, 0x1000, v0
	s_waitcnt vmcnt(0)
	v_mad_u64_u32 v[0:1], null, v5, s9, v[3:4]
	scratch_load_b32 v3, off, off offset:1048 ; 4-byte Folded Reload
	ds_load_2addr_b32 v[1:2], v2 offset0:64 offset1:96
	s_waitcnt lgkmcnt(0)
	v_lshrrev_b32_e32 v5, 16, v2
	v_cvt_f32_f16_e32 v2, v2
	s_delay_alu instid0(VALU_DEP_2) | instskip(NEXT) | instid1(VALU_DEP_1)
	v_cvt_f32_f16_e32 v6, v5
	v_add_f32_e32 v6, 0, v6
	s_waitcnt vmcnt(0)
	v_lshl_add_u32 v3, v0, 6, v3
	v_lshrrev_b32_e32 v0, 16, v1
	v_cvt_f32_f16_e32 v1, v1
	s_delay_alu instid0(VALU_DEP_3) | instskip(NEXT) | instid1(VALU_DEP_3)
	v_ashrrev_i32_e32 v4, 31, v3
	v_cvt_f32_f16_e32 v0, v0
	s_delay_alu instid0(VALU_DEP_3) | instskip(SKIP_1) | instid1(VALU_DEP_4)
	v_add_f32_e32 v1, 0, v1
	v_add_f32_e32 v5, 0, v2
	v_lshlrev_b64 v[3:4], 3, v[3:4]
	s_delay_alu instid0(VALU_DEP_4) | instskip(SKIP_1) | instid1(VALU_DEP_3)
	v_add_f32_e32 v2, 0, v0
	v_mov_b32_e32 v0, 0
	v_add_co_u32 v3, vcc_lo, s69, v3
	s_delay_alu instid0(VALU_DEP_4)
	v_add_co_ci_u32_e32 v4, vcc_lo, s98, v4, vcc_lo
	s_clause 0x1
	global_store_b64 v[3:4], v[1:2], off
	global_store_b64 v[3:4], v[5:6], off offset:256
.LBB25_386:                             ;   in Loop: Header=BB25_14 Depth=1
	s_or_b32 exec_lo, exec_lo, s35
	s_mov_b32 s58, -1
	s_mov_b32 s35, exec_lo
	v_cmpx_gt_i32_e32 50, v0
; %bb.387:                              ;   in Loop: Header=BB25_14 Depth=1
	v_cmp_eq_u32_e32 vcc_lo, 0, v0
	s_or_not1_b32 s58, vcc_lo, exec_lo
; %bb.388:                              ;   in Loop: Header=BB25_14 Depth=1
	s_or_b32 exec_lo, exec_lo, s35
	s_mov_b32 s46, 0
                                        ; implicit-def: $vgpr1
                                        ; implicit-def: $vgpr2
	s_and_saveexec_b32 s35, s58
	s_cbranch_execz .LBB25_434
; %bb.389:                              ;   in Loop: Header=BB25_14 Depth=1
	scratch_load_b32 v6, off, off offset:760 ; 4-byte Folded Reload
	v_mov_b32_e32 v0, 50
	s_waitcnt vmcnt(0)
	v_cmp_gt_i32_e32 vcc_lo, s8, v6
	s_and_b32 s58, vcc_lo, s5
	s_delay_alu instid0(SALU_CYCLE_1)
	s_and_saveexec_b32 s46, s58
	s_cbranch_execz .LBB25_391
; %bb.390:                              ;   in Loop: Header=BB25_14 Depth=1
	s_clause 0x1
	scratch_load_b64 v[4:5], off, off offset:1196
	scratch_load_b32 v0, off, off offset:1652
	s_waitcnt vmcnt(1)
	v_mad_u64_u32 v[2:3], null, v6, s9, v[4:5]
	scratch_load_b32 v3, off, off offset:1048 ; 4-byte Folded Reload
	s_waitcnt vmcnt(1)
	ds_load_2addr_b32 v[0:1], v0 offset1:32
	s_waitcnt lgkmcnt(0)
	v_lshrrev_b32_e32 v4, 16, v0
	v_lshrrev_b32_e32 v5, 16, v1
	v_cvt_f32_f16_e32 v0, v0
	v_cvt_f32_f16_e32 v6, v1
	s_delay_alu instid0(VALU_DEP_4) | instskip(NEXT) | instid1(VALU_DEP_4)
	v_cvt_f32_f16_e32 v4, v4
	v_cvt_f32_f16_e32 v7, v5
	s_delay_alu instid0(VALU_DEP_2) | instskip(NEXT) | instid1(VALU_DEP_2)
	v_dual_add_f32 v5, 0, v6 :: v_dual_add_f32 v4, 0, v4
	v_add_f32_e32 v6, 0, v7
	s_waitcnt vmcnt(0)
	v_lshl_add_u32 v2, v2, 6, v3
	s_delay_alu instid0(VALU_DEP_1) | instskip(NEXT) | instid1(VALU_DEP_1)
	v_ashrrev_i32_e32 v3, 31, v2
	v_lshlrev_b64 v[2:3], 3, v[2:3]
	s_delay_alu instid0(VALU_DEP_1) | instskip(NEXT) | instid1(VALU_DEP_2)
	v_add_co_u32 v1, vcc_lo, s69, v2
	v_add_co_ci_u32_e32 v2, vcc_lo, s98, v3, vcc_lo
	v_dual_add_f32 v3, 0, v0 :: v_dual_mov_b32 v0, 0
	s_clause 0x1
	global_store_b64 v[1:2], v[3:4], off
	global_store_b64 v[1:2], v[5:6], off offset:256
.LBB25_391:                             ;   in Loop: Header=BB25_14 Depth=1
	s_or_b32 exec_lo, exec_lo, s46
	s_mov_b32 s59, -1
	s_mov_b32 s46, exec_lo
	v_cmpx_gt_i32_e32 50, v0
; %bb.392:                              ;   in Loop: Header=BB25_14 Depth=1
	v_cmp_eq_u32_e32 vcc_lo, 0, v0
	s_or_not1_b32 s59, vcc_lo, exec_lo
; %bb.393:                              ;   in Loop: Header=BB25_14 Depth=1
	s_or_b32 exec_lo, exec_lo, s46
	s_mov_b32 s58, 0
                                        ; implicit-def: $vgpr1
                                        ; implicit-def: $vgpr2
	s_and_saveexec_b32 s46, s59
	s_cbranch_execz .LBB25_433
; %bb.394:                              ;   in Loop: Header=BB25_14 Depth=1
	scratch_load_b32 v5, off, off offset:768 ; 4-byte Folded Reload
	v_mov_b32_e32 v0, 50
	s_waitcnt vmcnt(0)
	v_cmp_gt_i32_e32 vcc_lo, s8, v5
	s_and_b32 s59, vcc_lo, s5
	s_delay_alu instid0(SALU_CYCLE_1)
	s_and_saveexec_b32 s58, s59
	s_cbranch_execz .LBB25_396
; %bb.395:                              ;   in Loop: Header=BB25_14 Depth=1
	s_clause 0x1
	scratch_load_b32 v0, off, off offset:1220
	scratch_load_b64 v[3:4], off, off offset:1196
	s_waitcnt vmcnt(1)
	v_add_nc_u32_e32 v2, 0x1800, v0
	s_waitcnt vmcnt(0)
	v_mad_u64_u32 v[0:1], null, v5, s9, v[3:4]
	scratch_load_b32 v3, off, off offset:1048 ; 4-byte Folded Reload
	ds_load_2addr_b32 v[1:2], v2 offset0:96 offset1:128
	s_waitcnt lgkmcnt(0)
	v_lshrrev_b32_e32 v5, 16, v2
	v_cvt_f32_f16_e32 v2, v2
	s_delay_alu instid0(VALU_DEP_2) | instskip(NEXT) | instid1(VALU_DEP_1)
	v_cvt_f32_f16_e32 v6, v5
	v_add_f32_e32 v6, 0, v6
	s_waitcnt vmcnt(0)
	v_lshl_add_u32 v3, v0, 6, v3
	v_lshrrev_b32_e32 v0, 16, v1
	v_cvt_f32_f16_e32 v1, v1
	s_delay_alu instid0(VALU_DEP_3) | instskip(NEXT) | instid1(VALU_DEP_3)
	v_ashrrev_i32_e32 v4, 31, v3
	v_cvt_f32_f16_e32 v0, v0
	s_delay_alu instid0(VALU_DEP_3) | instskip(SKIP_1) | instid1(VALU_DEP_4)
	v_add_f32_e32 v1, 0, v1
	v_add_f32_e32 v5, 0, v2
	v_lshlrev_b64 v[3:4], 3, v[3:4]
	s_delay_alu instid0(VALU_DEP_4) | instskip(SKIP_1) | instid1(VALU_DEP_3)
	v_add_f32_e32 v2, 0, v0
	v_mov_b32_e32 v0, 0
	v_add_co_u32 v3, vcc_lo, s69, v3
	s_delay_alu instid0(VALU_DEP_4)
	v_add_co_ci_u32_e32 v4, vcc_lo, s98, v4, vcc_lo
	s_clause 0x1
	global_store_b64 v[3:4], v[1:2], off
	global_store_b64 v[3:4], v[5:6], off offset:256
.LBB25_396:                             ;   in Loop: Header=BB25_14 Depth=1
	s_or_b32 exec_lo, exec_lo, s58
	s_mov_b32 s65, -1
	s_mov_b32 s58, exec_lo
	v_cmpx_gt_i32_e32 50, v0
; %bb.397:                              ;   in Loop: Header=BB25_14 Depth=1
	v_cmp_eq_u32_e32 vcc_lo, 0, v0
	s_or_not1_b32 s65, vcc_lo, exec_lo
; %bb.398:                              ;   in Loop: Header=BB25_14 Depth=1
	s_or_b32 exec_lo, exec_lo, s58
	s_mov_b32 s59, 0
                                        ; implicit-def: $vgpr1
                                        ; implicit-def: $vgpr2
	s_and_saveexec_b32 s58, s65
	s_cbranch_execz .LBB25_432
; %bb.399:                              ;   in Loop: Header=BB25_14 Depth=1
	scratch_load_b32 v5, off, off offset:776 ; 4-byte Folded Reload
	v_mov_b32_e32 v0, 50
	s_waitcnt vmcnt(0)
	v_cmp_gt_i32_e32 vcc_lo, s8, v5
	s_and_b32 s65, vcc_lo, s5
	s_delay_alu instid0(SALU_CYCLE_1)
	s_and_saveexec_b32 s59, s65
	s_cbranch_execz .LBB25_401
; %bb.400:                              ;   in Loop: Header=BB25_14 Depth=1
	s_clause 0x1
	scratch_load_b32 v0, off, off offset:1220
	scratch_load_b64 v[3:4], off, off offset:1196
	s_waitcnt vmcnt(1)
	v_add_nc_u32_e32 v2, 0x1c00, v0
	s_waitcnt vmcnt(0)
	v_mad_u64_u32 v[0:1], null, v5, s9, v[3:4]
	scratch_load_b32 v3, off, off offset:1048 ; 4-byte Folded Reload
	ds_load_2addr_b32 v[1:2], v2 offset0:112 offset1:144
	s_waitcnt lgkmcnt(0)
	v_lshrrev_b32_e32 v5, 16, v2
	v_cvt_f32_f16_e32 v2, v2
	s_delay_alu instid0(VALU_DEP_2) | instskip(NEXT) | instid1(VALU_DEP_1)
	v_cvt_f32_f16_e32 v6, v5
	v_add_f32_e32 v6, 0, v6
	s_waitcnt vmcnt(0)
	v_lshl_add_u32 v3, v0, 6, v3
	v_lshrrev_b32_e32 v0, 16, v1
	v_cvt_f32_f16_e32 v1, v1
	s_delay_alu instid0(VALU_DEP_3) | instskip(NEXT) | instid1(VALU_DEP_3)
	v_ashrrev_i32_e32 v4, 31, v3
	v_cvt_f32_f16_e32 v0, v0
	s_delay_alu instid0(VALU_DEP_3) | instskip(SKIP_1) | instid1(VALU_DEP_4)
	v_add_f32_e32 v1, 0, v1
	v_add_f32_e32 v5, 0, v2
	v_lshlrev_b64 v[3:4], 3, v[3:4]
	s_delay_alu instid0(VALU_DEP_4) | instskip(SKIP_1) | instid1(VALU_DEP_3)
	v_add_f32_e32 v2, 0, v0
	v_mov_b32_e32 v0, 0
	v_add_co_u32 v3, vcc_lo, s69, v3
	s_delay_alu instid0(VALU_DEP_4)
	v_add_co_ci_u32_e32 v4, vcc_lo, s98, v4, vcc_lo
	s_clause 0x1
	global_store_b64 v[3:4], v[1:2], off
	global_store_b64 v[3:4], v[5:6], off offset:256
.LBB25_401:                             ;   in Loop: Header=BB25_14 Depth=1
	;; [unrolled: 60-line block ×3, first 2 shown]
	s_or_b32 exec_lo, exec_lo, s65
	s_mov_b32 s76, -1
	s_mov_b32 s65, exec_lo
	v_cmpx_gt_i32_e32 50, v0
; %bb.407:                              ;   in Loop: Header=BB25_14 Depth=1
	v_cmp_eq_u32_e32 vcc_lo, 0, v0
	s_or_not1_b32 s76, vcc_lo, exec_lo
; %bb.408:                              ;   in Loop: Header=BB25_14 Depth=1
	s_or_b32 exec_lo, exec_lo, s65
	s_mov_b32 s68, 0
                                        ; implicit-def: $vgpr1
                                        ; implicit-def: $vgpr2
	s_and_saveexec_b32 s65, s76
	s_cbranch_execz .LBB25_430
; %bb.409:                              ;   in Loop: Header=BB25_14 Depth=1
	scratch_load_b32 v6, off, off offset:792 ; 4-byte Folded Reload
	v_mov_b32_e32 v0, 50
	s_waitcnt vmcnt(0)
	v_cmp_gt_i32_e32 vcc_lo, s8, v6
	s_and_b32 s76, vcc_lo, s5
	s_delay_alu instid0(SALU_CYCLE_1)
	s_and_saveexec_b32 s68, s76
	s_cbranch_execz .LBB25_411
; %bb.410:                              ;   in Loop: Header=BB25_14 Depth=1
	s_clause 0x1
	scratch_load_b64 v[4:5], off, off offset:1196
	scratch_load_b32 v0, off, off offset:1660
	s_waitcnt vmcnt(1)
	v_mad_u64_u32 v[2:3], null, v6, s9, v[4:5]
	scratch_load_b32 v3, off, off offset:1048 ; 4-byte Folded Reload
	s_waitcnt vmcnt(1)
	ds_load_2addr_b32 v[0:1], v0 offset1:32
	s_waitcnt lgkmcnt(0)
	v_lshrrev_b32_e32 v4, 16, v0
	v_lshrrev_b32_e32 v5, 16, v1
	v_cvt_f32_f16_e32 v0, v0
	v_cvt_f32_f16_e32 v6, v1
	s_delay_alu instid0(VALU_DEP_4) | instskip(NEXT) | instid1(VALU_DEP_4)
	v_cvt_f32_f16_e32 v4, v4
	v_cvt_f32_f16_e32 v7, v5
	s_delay_alu instid0(VALU_DEP_2) | instskip(NEXT) | instid1(VALU_DEP_2)
	v_dual_add_f32 v5, 0, v6 :: v_dual_add_f32 v4, 0, v4
	v_add_f32_e32 v6, 0, v7
	s_waitcnt vmcnt(0)
	v_lshl_add_u32 v2, v2, 6, v3
	s_delay_alu instid0(VALU_DEP_1) | instskip(NEXT) | instid1(VALU_DEP_1)
	v_ashrrev_i32_e32 v3, 31, v2
	v_lshlrev_b64 v[2:3], 3, v[2:3]
	s_delay_alu instid0(VALU_DEP_1) | instskip(NEXT) | instid1(VALU_DEP_2)
	v_add_co_u32 v1, vcc_lo, s69, v2
	v_add_co_ci_u32_e32 v2, vcc_lo, s98, v3, vcc_lo
	v_dual_add_f32 v3, 0, v0 :: v_dual_mov_b32 v0, 0
	s_clause 0x1
	global_store_b64 v[1:2], v[3:4], off
	global_store_b64 v[1:2], v[5:6], off offset:256
.LBB25_411:                             ;   in Loop: Header=BB25_14 Depth=1
	s_or_b32 exec_lo, exec_lo, s68
	s_mov_b32 s77, -1
	s_mov_b32 s68, exec_lo
	v_cmpx_gt_i32_e32 50, v0
; %bb.412:                              ;   in Loop: Header=BB25_14 Depth=1
	v_cmp_eq_u32_e32 vcc_lo, 0, v0
	s_or_not1_b32 s77, vcc_lo, exec_lo
; %bb.413:                              ;   in Loop: Header=BB25_14 Depth=1
	s_or_b32 exec_lo, exec_lo, s68
	s_mov_b32 s76, 0
                                        ; implicit-def: $vgpr1
                                        ; implicit-def: $vgpr2
	s_and_saveexec_b32 s68, s77
	s_cbranch_execz .LBB25_429
; %bb.414:                              ;   in Loop: Header=BB25_14 Depth=1
	scratch_load_b32 v5, off, off offset:800 ; 4-byte Folded Reload
	v_mov_b32_e32 v0, 50
	s_waitcnt vmcnt(0)
	v_cmp_gt_i32_e32 vcc_lo, s8, v5
	s_and_b32 s77, vcc_lo, s5
	s_delay_alu instid0(SALU_CYCLE_1)
	s_and_saveexec_b32 s76, s77
	s_cbranch_execz .LBB25_416
; %bb.415:                              ;   in Loop: Header=BB25_14 Depth=1
	s_clause 0x1
	scratch_load_b32 v0, off, off offset:1220
	scratch_load_b64 v[3:4], off, off offset:1196
	s_waitcnt vmcnt(1)
	v_add_nc_u32_e32 v2, 0x2800, v0
	s_waitcnt vmcnt(0)
	v_mad_u64_u32 v[0:1], null, v5, s9, v[3:4]
	scratch_load_b32 v3, off, off offset:1048 ; 4-byte Folded Reload
	ds_load_2addr_b32 v[1:2], v2 offset0:160 offset1:192
	s_waitcnt lgkmcnt(0)
	v_lshrrev_b32_e32 v5, 16, v2
	v_cvt_f32_f16_e32 v2, v2
	s_delay_alu instid0(VALU_DEP_2) | instskip(NEXT) | instid1(VALU_DEP_1)
	v_cvt_f32_f16_e32 v6, v5
	v_add_f32_e32 v6, 0, v6
	s_waitcnt vmcnt(0)
	v_lshl_add_u32 v3, v0, 6, v3
	v_lshrrev_b32_e32 v0, 16, v1
	v_cvt_f32_f16_e32 v1, v1
	s_delay_alu instid0(VALU_DEP_3) | instskip(NEXT) | instid1(VALU_DEP_3)
	v_ashrrev_i32_e32 v4, 31, v3
	v_cvt_f32_f16_e32 v0, v0
	s_delay_alu instid0(VALU_DEP_3) | instskip(SKIP_1) | instid1(VALU_DEP_4)
	v_add_f32_e32 v1, 0, v1
	v_add_f32_e32 v5, 0, v2
	v_lshlrev_b64 v[3:4], 3, v[3:4]
	s_delay_alu instid0(VALU_DEP_4) | instskip(SKIP_1) | instid1(VALU_DEP_3)
	v_add_f32_e32 v2, 0, v0
	v_mov_b32_e32 v0, 0
	v_add_co_u32 v3, vcc_lo, s69, v3
	s_delay_alu instid0(VALU_DEP_4)
	v_add_co_ci_u32_e32 v4, vcc_lo, s98, v4, vcc_lo
	s_clause 0x1
	global_store_b64 v[3:4], v[1:2], off
	global_store_b64 v[3:4], v[5:6], off offset:256
.LBB25_416:                             ;   in Loop: Header=BB25_14 Depth=1
	s_or_b32 exec_lo, exec_lo, s76
	s_mov_b32 s85, -1
	s_mov_b32 s76, exec_lo
	v_cmpx_gt_i32_e32 50, v0
; %bb.417:                              ;   in Loop: Header=BB25_14 Depth=1
	v_cmp_eq_u32_e32 vcc_lo, 0, v0
	s_or_not1_b32 s85, vcc_lo, exec_lo
; %bb.418:                              ;   in Loop: Header=BB25_14 Depth=1
	s_or_b32 exec_lo, exec_lo, s76
	s_mov_b32 s77, 0
                                        ; implicit-def: $vgpr1
                                        ; implicit-def: $vgpr2
	s_and_saveexec_b32 s76, s85
	s_cbranch_execz .LBB25_428
; %bb.419:                              ;   in Loop: Header=BB25_14 Depth=1
	scratch_load_b32 v5, off, off offset:808 ; 4-byte Folded Reload
	v_mov_b32_e32 v0, 50
	s_waitcnt vmcnt(0)
	v_cmp_gt_i32_e32 vcc_lo, s8, v5
	s_and_b32 s85, vcc_lo, s5
	s_delay_alu instid0(SALU_CYCLE_1)
	s_and_saveexec_b32 s77, s85
	s_cbranch_execz .LBB25_421
; %bb.420:                              ;   in Loop: Header=BB25_14 Depth=1
	s_clause 0x1
	scratch_load_b32 v0, off, off offset:1220
	scratch_load_b64 v[3:4], off, off offset:1196
	s_waitcnt vmcnt(1)
	v_add_nc_u32_e32 v2, 0x2c00, v0
	s_waitcnt vmcnt(0)
	v_mad_u64_u32 v[0:1], null, v5, s9, v[3:4]
	scratch_load_b32 v3, off, off offset:1048 ; 4-byte Folded Reload
	ds_load_2addr_b32 v[1:2], v2 offset0:176 offset1:208
	s_waitcnt lgkmcnt(0)
	v_lshrrev_b32_e32 v5, 16, v2
	v_cvt_f32_f16_e32 v2, v2
	s_delay_alu instid0(VALU_DEP_2) | instskip(NEXT) | instid1(VALU_DEP_1)
	v_cvt_f32_f16_e32 v6, v5
	v_add_f32_e32 v6, 0, v6
	s_waitcnt vmcnt(0)
	v_lshl_add_u32 v3, v0, 6, v3
	v_lshrrev_b32_e32 v0, 16, v1
	v_cvt_f32_f16_e32 v1, v1
	s_delay_alu instid0(VALU_DEP_3) | instskip(NEXT) | instid1(VALU_DEP_3)
	v_ashrrev_i32_e32 v4, 31, v3
	v_cvt_f32_f16_e32 v0, v0
	s_delay_alu instid0(VALU_DEP_3) | instskip(SKIP_1) | instid1(VALU_DEP_4)
	v_add_f32_e32 v1, 0, v1
	v_add_f32_e32 v5, 0, v2
	v_lshlrev_b64 v[3:4], 3, v[3:4]
	s_delay_alu instid0(VALU_DEP_4) | instskip(SKIP_1) | instid1(VALU_DEP_3)
	v_add_f32_e32 v2, 0, v0
	v_mov_b32_e32 v0, 0
	v_add_co_u32 v3, vcc_lo, s69, v3
	s_delay_alu instid0(VALU_DEP_4)
	v_add_co_ci_u32_e32 v4, vcc_lo, s98, v4, vcc_lo
	s_clause 0x1
	global_store_b64 v[3:4], v[1:2], off
	global_store_b64 v[3:4], v[5:6], off offset:256
.LBB25_421:                             ;   in Loop: Header=BB25_14 Depth=1
	s_or_b32 exec_lo, exec_lo, s77
	s_mov_b32 s93, -1
	s_mov_b32 s77, exec_lo
	v_cmpx_gt_i32_e32 50, v0
; %bb.422:                              ;   in Loop: Header=BB25_14 Depth=1
	v_cmp_eq_u32_e32 vcc_lo, 0, v0
	s_or_not1_b32 s93, vcc_lo, exec_lo
; %bb.423:                              ;   in Loop: Header=BB25_14 Depth=1
	s_or_b32 exec_lo, exec_lo, s77
	s_mov_b32 s85, 0
                                        ; implicit-def: $vgpr1
                                        ; implicit-def: $vgpr2
	s_and_saveexec_b32 s77, s93
	s_cbranch_execz .LBB25_427
; %bb.424:                              ;   in Loop: Header=BB25_14 Depth=1
	scratch_load_b32 v0, off, off offset:812 ; 4-byte Folded Reload
                                        ; implicit-def: $vgpr1
                                        ; implicit-def: $vgpr2
	s_waitcnt vmcnt(0)
	v_cmp_gt_i32_e32 vcc_lo, s8, v0
	s_and_b32 s5, vcc_lo, s5
	s_delay_alu instid0(SALU_CYCLE_1) | instskip(NEXT) | instid1(SALU_CYCLE_1)
	s_and_saveexec_b32 s93, s5
	s_xor_b32 s5, exec_lo, s93
	s_cbranch_execz .LBB25_426
; %bb.425:                              ;   in Loop: Header=BB25_14 Depth=1
	scratch_load_b64 v[1:2], off, off offset:1196 ; 8-byte Folded Reload
	v_mul_lo_u32 v0, v0, s9
	s_mov_b32 s85, exec_lo
	s_waitcnt vmcnt(0)
	s_delay_alu instid0(VALU_DEP_1)
	v_add_lshl_u32 v2, v0, v1, 6
	scratch_load_b32 v0, off, off offset:1220 ; 4-byte Folded Reload
	s_waitcnt vmcnt(0)
	v_add_nc_u32_e32 v0, 0x3000, v0
	ds_load_2addr_b32 v[0:1], v0 offset0:192 offset1:224
	s_waitcnt lgkmcnt(0)
	v_cvt_f32_f16_e32 v3, v0
	v_lshrrev_b32_e32 v0, 16, v0
	s_delay_alu instid0(VALU_DEP_2) | instskip(NEXT) | instid1(VALU_DEP_2)
	v_add_f32_e32 v3, 0, v3
	v_cvt_f32_f16_e32 v0, v0
	s_delay_alu instid0(VALU_DEP_1)
	v_add_f32_e32 v4, 0, v0
	scratch_load_b32 v0, off, off offset:1048 ; 4-byte Folded Reload
	s_waitcnt vmcnt(0)
	v_add_nc_u32_e32 v5, v0, v2
	v_cvt_f32_f16_e32 v0, v1
	v_lshrrev_b32_e32 v1, 16, v1
	s_delay_alu instid0(VALU_DEP_3) | instskip(NEXT) | instid1(VALU_DEP_2)
	v_ashrrev_i32_e32 v6, 31, v5
	v_cvt_f32_f16_e32 v1, v1
	s_delay_alu instid0(VALU_DEP_4) | instskip(NEXT) | instid1(VALU_DEP_3)
	v_add_f32_e32 v0, 0, v0
	v_lshlrev_b64 v[5:6], 3, v[5:6]
	s_delay_alu instid0(VALU_DEP_3) | instskip(NEXT) | instid1(VALU_DEP_2)
	v_add_f32_e32 v1, 0, v1
	v_add_co_u32 v5, vcc_lo, s69, v5
	s_delay_alu instid0(VALU_DEP_3)
	v_add_co_ci_u32_e32 v6, vcc_lo, s98, v6, vcc_lo
	global_store_b64 v[5:6], v[3:4], off
.LBB25_426:                             ;   in Loop: Header=BB25_14 Depth=1
	s_or_b32 exec_lo, exec_lo, s5
	s_delay_alu instid0(SALU_CYCLE_1)
	s_and_b32 s85, s85, exec_lo
.LBB25_427:                             ;   in Loop: Header=BB25_14 Depth=1
	s_or_b32 exec_lo, exec_lo, s77
	s_delay_alu instid0(SALU_CYCLE_1)
	s_and_b32 s77, s85, exec_lo
.LBB25_428:                             ;   in Loop: Header=BB25_14 Depth=1
	s_or_b32 exec_lo, exec_lo, s76
	s_delay_alu instid0(SALU_CYCLE_1)
	s_and_b32 s76, s77, exec_lo
.LBB25_429:                             ;   in Loop: Header=BB25_14 Depth=1
	s_or_b32 exec_lo, exec_lo, s68
	s_delay_alu instid0(SALU_CYCLE_1)
	s_and_b32 s68, s76, exec_lo
.LBB25_430:                             ;   in Loop: Header=BB25_14 Depth=1
	s_or_b32 exec_lo, exec_lo, s65
	s_delay_alu instid0(SALU_CYCLE_1)
	s_and_b32 s65, s68, exec_lo
.LBB25_431:                             ;   in Loop: Header=BB25_14 Depth=1
	s_or_b32 exec_lo, exec_lo, s59
	s_delay_alu instid0(SALU_CYCLE_1)
	s_and_b32 s59, s65, exec_lo
.LBB25_432:                             ;   in Loop: Header=BB25_14 Depth=1
	s_or_b32 exec_lo, exec_lo, s58
	s_delay_alu instid0(SALU_CYCLE_1)
	s_and_b32 s58, s59, exec_lo
.LBB25_433:                             ;   in Loop: Header=BB25_14 Depth=1
	s_or_b32 exec_lo, exec_lo, s46
	s_delay_alu instid0(SALU_CYCLE_1)
	s_and_b32 s46, s58, exec_lo
.LBB25_434:                             ;   in Loop: Header=BB25_14 Depth=1
	s_or_b32 exec_lo, exec_lo, s35
	s_delay_alu instid0(SALU_CYCLE_1)
	s_and_b32 s35, s46, exec_lo
.LBB25_435:                             ;   in Loop: Header=BB25_14 Depth=1
	s_or_b32 exec_lo, exec_lo, s14
	s_delay_alu instid0(SALU_CYCLE_1)
	s_and_b32 s14, s35, exec_lo
.LBB25_436:                             ;   in Loop: Header=BB25_14 Depth=1
	s_or_b32 exec_lo, exec_lo, s7
	s_delay_alu instid0(SALU_CYCLE_1)
	s_and_b32 s7, s14, exec_lo
.LBB25_437:                             ;   in Loop: Header=BB25_14 Depth=1
	s_or_b32 exec_lo, exec_lo, s6
	s_delay_alu instid0(SALU_CYCLE_1)
	s_and_b32 s6, s7, exec_lo
.LBB25_438:                             ;   in Loop: Header=BB25_14 Depth=1
	s_or_b32 exec_lo, exec_lo, s4
	s_delay_alu instid0(SALU_CYCLE_1)
	s_and_b32 s4, s6, exec_lo
.LBB25_439:                             ;   in Loop: Header=BB25_14 Depth=1
	s_or_b32 exec_lo, exec_lo, s3
	s_delay_alu instid0(SALU_CYCLE_1)
	s_and_b32 s3, s4, exec_lo
.LBB25_440:                             ;   in Loop: Header=BB25_14 Depth=1
	s_or_b32 exec_lo, exec_lo, s1
	s_delay_alu instid0(SALU_CYCLE_1)
	s_and_b32 s77, s3, exec_lo
.LBB25_441:                             ;   in Loop: Header=BB25_14 Depth=1
	s_or_b32 exec_lo, exec_lo, s2
	s_delay_alu instid0(SALU_CYCLE_1)
	s_and_b32 vcc_lo, exec_lo, s0
	s_cbranch_vccz .LBB25_866
.LBB25_442:                             ;   in Loop: Header=BB25_14 Depth=1
	scratch_load_b32 v0, off, off offset:1228 ; 4-byte Folded Reload
	s_lshl_b32 s2, s34, 4
	v_cmp_gt_i32_e32 vcc_lo, s78, v8
	s_waitcnt vmcnt(0)
	v_add_nc_u32_e32 v0, s2, v0
	s_delay_alu instid0(VALU_DEP_1) | instskip(SKIP_2) | instid1(SALU_CYCLE_1)
	v_cmp_gt_i32_e64 s1, s8, v0
	scratch_store_b32 off, v0, off offset:1324 ; 4-byte Folded Spill
	s_and_b32 s34, s1, vcc_lo
	s_xor_b32 s0, s34, -1
	s_delay_alu instid0(SALU_CYCLE_1) | instskip(NEXT) | instid1(SALU_CYCLE_1)
	s_and_saveexec_b32 s1, s0
	s_xor_b32 s0, exec_lo, s1
	s_cbranch_execz .LBB25_444
; %bb.443:                              ;   in Loop: Header=BB25_14 Depth=1
	scratch_load_b32 v0, off, off offset:1320 ; 4-byte Folded Reload
	v_mov_b32_e32 v1, 0
	s_waitcnt vmcnt(0)
	ds_store_2addr_b32 v0, v1, v1 offset1:32
.LBB25_444:                             ;   in Loop: Header=BB25_14 Depth=1
	s_and_not1_saveexec_b32 s0, s0
	s_cbranch_execz .LBB25_446
; %bb.445:                              ;   in Loop: Header=BB25_14 Depth=1
	s_clause 0x2
	scratch_load_b32 v0, off, off offset:1324
	scratch_load_b32 v1, off, off offset:1048
	scratch_load_b32 v2, off, off offset:1184
	s_waitcnt vmcnt(2)
	v_mul_lo_u32 v0, v0, s61
	s_waitcnt vmcnt(0)
	s_delay_alu instid0(VALU_DEP_1) | instskip(NEXT) | instid1(VALU_DEP_1)
	v_add3_u32 v0, v0, v2, v1
	v_ashrrev_i32_e32 v1, 31, v0
	s_delay_alu instid0(VALU_DEP_1) | instskip(NEXT) | instid1(VALU_DEP_1)
	v_lshlrev_b64 v[0:1], 3, v[0:1]
	v_add_co_u32 v0, s1, s94, v0
	s_delay_alu instid0(VALU_DEP_1)
	v_add_co_ci_u32_e64 v1, s1, s95, v1, s1
	s_clause 0x1
	global_load_b64 v[2:3], v[0:1], off
	global_load_b64 v[0:1], v[0:1], off offset:256
	s_waitcnt vmcnt(1)
	v_cvt_f16_f32_e32 v2, v2
	v_cvt_f16_f32_e32 v3, v3
	s_waitcnt vmcnt(0)
	v_cvt_f16_f32_e32 v0, v0
	v_cvt_f16_f32_e32 v1, v1
	s_delay_alu instid0(VALU_DEP_3)
	v_pack_b32_f16 v2, v2, v3
	scratch_load_b32 v3, off, off offset:1180 ; 4-byte Folded Reload
	v_pack_b32_f16 v0, v0, v1
	s_waitcnt vmcnt(0)
	v_pk_mul_f16 v1, v3, v2
	scratch_load_b32 v2, off, off offset:1320 ; 4-byte Folded Reload
	v_pk_mul_f16 v0, v3, v0
	s_waitcnt vmcnt(0)
	ds_store_2addr_b32 v2, v1, v0 offset1:32
.LBB25_446:                             ;   in Loop: Header=BB25_14 Depth=1
	s_or_b32 exec_lo, exec_lo, s0
	scratch_load_b32 v0, off, off offset:1236 ; 4-byte Folded Reload
	s_waitcnt vmcnt(0)
	v_add_nc_u32_e32 v0, s2, v0
	s_delay_alu instid0(VALU_DEP_1) | instskip(SKIP_2) | instid1(SALU_CYCLE_1)
	v_cmp_gt_i32_e64 s1, s8, v0
	scratch_store_b32 off, v0, off offset:1360 ; 4-byte Folded Spill
	s_and_b32 s76, s1, vcc_lo
	s_xor_b32 s0, s76, -1
	s_delay_alu instid0(SALU_CYCLE_1) | instskip(NEXT) | instid1(SALU_CYCLE_1)
	s_and_saveexec_b32 s1, s0
	s_xor_b32 s0, exec_lo, s1
	s_cbranch_execz .LBB25_448
; %bb.447:                              ;   in Loop: Header=BB25_14 Depth=1
	scratch_load_b32 v1, off, off offset:1212 ; 4-byte Folded Reload
	v_mov_b32_e32 v0, 0
	s_waitcnt vmcnt(0)
	ds_store_2addr_b32 v1, v0, v0 offset1:32
.LBB25_448:                             ;   in Loop: Header=BB25_14 Depth=1
	s_and_not1_saveexec_b32 s0, s0
	s_cbranch_execz .LBB25_450
; %bb.449:                              ;   in Loop: Header=BB25_14 Depth=1
	s_clause 0x2
	scratch_load_b32 v0, off, off offset:1360
	scratch_load_b32 v1, off, off offset:1048
	scratch_load_b32 v2, off, off offset:1184
	s_waitcnt vmcnt(2)
	v_mul_lo_u32 v0, v0, s61
	s_waitcnt vmcnt(0)
	s_delay_alu instid0(VALU_DEP_1) | instskip(NEXT) | instid1(VALU_DEP_1)
	v_add3_u32 v0, v0, v2, v1
	v_ashrrev_i32_e32 v1, 31, v0
	s_delay_alu instid0(VALU_DEP_1) | instskip(NEXT) | instid1(VALU_DEP_1)
	v_lshlrev_b64 v[0:1], 3, v[0:1]
	v_add_co_u32 v0, s1, s94, v0
	s_delay_alu instid0(VALU_DEP_1)
	v_add_co_ci_u32_e64 v1, s1, s95, v1, s1
	s_clause 0x1
	global_load_b64 v[2:3], v[0:1], off
	global_load_b64 v[0:1], v[0:1], off offset:256
	s_waitcnt vmcnt(1)
	v_cvt_f16_f32_e32 v2, v2
	v_cvt_f16_f32_e32 v3, v3
	s_waitcnt vmcnt(0)
	v_cvt_f16_f32_e32 v0, v0
	v_cvt_f16_f32_e32 v1, v1
	s_delay_alu instid0(VALU_DEP_3)
	v_pack_b32_f16 v2, v2, v3
	scratch_load_b32 v3, off, off offset:1180 ; 4-byte Folded Reload
	v_pack_b32_f16 v0, v0, v1
	s_waitcnt vmcnt(0)
	v_pk_mul_f16 v1, v3, v2
	scratch_load_b32 v2, off, off offset:1212 ; 4-byte Folded Reload
	v_pk_mul_f16 v0, v3, v0
	s_waitcnt vmcnt(0)
	ds_store_2addr_b32 v2, v1, v0 offset1:32
.LBB25_450:                             ;   in Loop: Header=BB25_14 Depth=1
	s_or_b32 exec_lo, exec_lo, s0
	scratch_load_b32 v0, off, off offset:1240 ; 4-byte Folded Reload
	;; [unrolled: 57-line block ×10, first 2 shown]
	s_waitcnt vmcnt(0)
	v_add_nc_u32_e32 v0, s2, v0
	s_delay_alu instid0(VALU_DEP_1) | instskip(SKIP_2) | instid1(SALU_CYCLE_1)
	v_cmp_gt_i32_e64 s1, s8, v0
	scratch_store_b32 off, v0, off offset:1396 ; 4-byte Folded Spill
	s_and_b32 s46, s1, vcc_lo
	s_xor_b32 s1, s46, -1
	s_delay_alu instid0(SALU_CYCLE_1) | instskip(NEXT) | instid1(SALU_CYCLE_1)
	s_and_saveexec_b32 s3, s1
	s_xor_b32 s1, exec_lo, s3
	s_cbranch_execz .LBB25_484
; %bb.483:                              ;   in Loop: Header=BB25_14 Depth=1
	scratch_load_b32 v0, off, off offset:1192 ; 4-byte Folded Reload
	s_waitcnt vmcnt(0)
	v_dual_mov_b32 v1, 0 :: v_dual_add_nc_u32 v0, 0x400, v0
	ds_store_2addr_b32 v0, v1, v1 offset0:16 offset1:48
.LBB25_484:                             ;   in Loop: Header=BB25_14 Depth=1
	s_and_not1_saveexec_b32 s3, s1
	s_cbranch_execz .LBB25_486
; %bb.485:                              ;   in Loop: Header=BB25_14 Depth=1
	s_clause 0x2
	scratch_load_b32 v0, off, off offset:1396
	scratch_load_b32 v1, off, off offset:1048
	scratch_load_b32 v2, off, off offset:1184
	s_waitcnt vmcnt(2)
	v_mul_lo_u32 v0, v0, s61
	s_waitcnt vmcnt(0)
	s_delay_alu instid0(VALU_DEP_1) | instskip(NEXT) | instid1(VALU_DEP_1)
	v_add3_u32 v0, v0, v2, v1
	v_ashrrev_i32_e32 v1, 31, v0
	s_delay_alu instid0(VALU_DEP_1) | instskip(NEXT) | instid1(VALU_DEP_1)
	v_lshlrev_b64 v[0:1], 3, v[0:1]
	v_add_co_u32 v0, s1, s94, v0
	s_delay_alu instid0(VALU_DEP_1)
	v_add_co_ci_u32_e64 v1, s1, s95, v1, s1
	s_clause 0x1
	global_load_b64 v[2:3], v[0:1], off
	global_load_b64 v[0:1], v[0:1], off offset:256
	s_waitcnt vmcnt(1)
	v_cvt_f16_f32_e32 v2, v2
	v_cvt_f16_f32_e32 v3, v3
	s_waitcnt vmcnt(0)
	v_cvt_f16_f32_e32 v0, v0
	v_cvt_f16_f32_e32 v1, v1
	s_delay_alu instid0(VALU_DEP_3)
	v_pack_b32_f16 v2, v2, v3
	scratch_load_b32 v3, off, off offset:1180 ; 4-byte Folded Reload
	v_pack_b32_f16 v0, v0, v1
	s_waitcnt vmcnt(0)
	v_pk_mul_f16 v1, v3, v2
	scratch_load_b32 v2, off, off offset:1192 ; 4-byte Folded Reload
	v_pk_mul_f16 v0, v3, v0
	s_waitcnt vmcnt(0)
	v_add_nc_u32_e32 v2, 0x400, v2
	ds_store_2addr_b32 v2, v1, v0 offset0:16 offset1:48
.LBB25_486:                             ;   in Loop: Header=BB25_14 Depth=1
	s_or_b32 exec_lo, exec_lo, s3
	scratch_load_b32 v0, off, off offset:1296 ; 4-byte Folded Reload
	s_waitcnt vmcnt(0)
	v_add_nc_u32_e32 v0, s2, v0
	s_delay_alu instid0(VALU_DEP_1) | instskip(SKIP_2) | instid1(SALU_CYCLE_1)
	v_cmp_gt_i32_e64 s1, s8, v0
	scratch_store_b32 off, v0, off offset:1400 ; 4-byte Folded Spill
	s_and_b32 s14, s1, vcc_lo
	s_xor_b32 s1, s14, -1
	s_delay_alu instid0(SALU_CYCLE_1) | instskip(NEXT) | instid1(SALU_CYCLE_1)
	s_and_saveexec_b32 s3, s1
	s_xor_b32 s1, exec_lo, s3
	s_cbranch_execz .LBB25_488
; %bb.487:                              ;   in Loop: Header=BB25_14 Depth=1
	scratch_load_b32 v0, off, off offset:1192 ; 4-byte Folded Reload
	s_waitcnt vmcnt(0)
	v_dual_mov_b32 v1, 0 :: v_dual_add_nc_u32 v0, 0x800, v0
	ds_store_2addr_b32 v0, v1, v1 offset0:32 offset1:64
.LBB25_488:                             ;   in Loop: Header=BB25_14 Depth=1
	s_and_not1_saveexec_b32 s3, s1
	s_cbranch_execz .LBB25_490
; %bb.489:                              ;   in Loop: Header=BB25_14 Depth=1
	s_clause 0x2
	scratch_load_b32 v0, off, off offset:1400
	scratch_load_b32 v1, off, off offset:1048
	scratch_load_b32 v2, off, off offset:1184
	s_waitcnt vmcnt(2)
	v_mul_lo_u32 v0, v0, s61
	s_waitcnt vmcnt(0)
	s_delay_alu instid0(VALU_DEP_1) | instskip(NEXT) | instid1(VALU_DEP_1)
	v_add3_u32 v0, v0, v2, v1
	v_ashrrev_i32_e32 v1, 31, v0
	s_delay_alu instid0(VALU_DEP_1) | instskip(NEXT) | instid1(VALU_DEP_1)
	v_lshlrev_b64 v[0:1], 3, v[0:1]
	v_add_co_u32 v0, s1, s94, v0
	s_delay_alu instid0(VALU_DEP_1)
	v_add_co_ci_u32_e64 v1, s1, s95, v1, s1
	s_clause 0x1
	global_load_b64 v[2:3], v[0:1], off
	global_load_b64 v[0:1], v[0:1], off offset:256
	s_waitcnt vmcnt(1)
	v_cvt_f16_f32_e32 v2, v2
	v_cvt_f16_f32_e32 v3, v3
	s_waitcnt vmcnt(0)
	v_cvt_f16_f32_e32 v0, v0
	v_cvt_f16_f32_e32 v1, v1
	s_delay_alu instid0(VALU_DEP_3)
	v_pack_b32_f16 v2, v2, v3
	scratch_load_b32 v3, off, off offset:1180 ; 4-byte Folded Reload
	v_pack_b32_f16 v0, v0, v1
	s_waitcnt vmcnt(0)
	v_pk_mul_f16 v1, v3, v2
	scratch_load_b32 v2, off, off offset:1192 ; 4-byte Folded Reload
	v_pk_mul_f16 v0, v3, v0
	s_waitcnt vmcnt(0)
	v_add_nc_u32_e32 v2, 0x800, v2
	ds_store_2addr_b32 v2, v1, v0 offset0:32 offset1:64
.LBB25_490:                             ;   in Loop: Header=BB25_14 Depth=1
	s_or_b32 exec_lo, exec_lo, s3
	scratch_load_b32 v0, off, off offset:1300 ; 4-byte Folded Reload
	s_waitcnt vmcnt(0)
	v_add_nc_u32_e32 v0, s2, v0
	s_delay_alu instid0(VALU_DEP_1) | instskip(SKIP_2) | instid1(SALU_CYCLE_1)
	v_cmp_gt_i32_e64 s1, s8, v0
	scratch_store_b32 off, v0, off offset:1404 ; 4-byte Folded Spill
	s_and_b32 s65, s1, vcc_lo
	s_xor_b32 s1, s65, -1
	s_delay_alu instid0(SALU_CYCLE_1) | instskip(NEXT) | instid1(SALU_CYCLE_1)
	s_and_saveexec_b32 s3, s1
	s_xor_b32 s1, exec_lo, s3
	s_cbranch_execz .LBB25_492
; %bb.491:                              ;   in Loop: Header=BB25_14 Depth=1
	scratch_load_b32 v0, off, off offset:1192 ; 4-byte Folded Reload
	s_waitcnt vmcnt(0)
	v_dual_mov_b32 v1, 0 :: v_dual_add_nc_u32 v0, 0xc00, v0
	ds_store_2addr_b32 v0, v1, v1 offset0:48 offset1:80
.LBB25_492:                             ;   in Loop: Header=BB25_14 Depth=1
	s_and_not1_saveexec_b32 s3, s1
	s_cbranch_execz .LBB25_494
; %bb.493:                              ;   in Loop: Header=BB25_14 Depth=1
	s_clause 0x2
	scratch_load_b32 v0, off, off offset:1404
	scratch_load_b32 v1, off, off offset:1048
	scratch_load_b32 v2, off, off offset:1184
	s_waitcnt vmcnt(2)
	v_mul_lo_u32 v0, v0, s61
	s_waitcnt vmcnt(0)
	s_delay_alu instid0(VALU_DEP_1) | instskip(NEXT) | instid1(VALU_DEP_1)
	v_add3_u32 v0, v0, v2, v1
	v_ashrrev_i32_e32 v1, 31, v0
	s_delay_alu instid0(VALU_DEP_1) | instskip(NEXT) | instid1(VALU_DEP_1)
	v_lshlrev_b64 v[0:1], 3, v[0:1]
	v_add_co_u32 v0, s1, s94, v0
	s_delay_alu instid0(VALU_DEP_1)
	v_add_co_ci_u32_e64 v1, s1, s95, v1, s1
	s_clause 0x1
	global_load_b64 v[2:3], v[0:1], off
	global_load_b64 v[0:1], v[0:1], off offset:256
	s_waitcnt vmcnt(1)
	v_cvt_f16_f32_e32 v2, v2
	v_cvt_f16_f32_e32 v3, v3
	s_waitcnt vmcnt(0)
	v_cvt_f16_f32_e32 v0, v0
	v_cvt_f16_f32_e32 v1, v1
	s_delay_alu instid0(VALU_DEP_3)
	v_pack_b32_f16 v2, v2, v3
	scratch_load_b32 v3, off, off offset:1180 ; 4-byte Folded Reload
	v_pack_b32_f16 v0, v0, v1
	s_waitcnt vmcnt(0)
	v_pk_mul_f16 v1, v3, v2
	scratch_load_b32 v2, off, off offset:1192 ; 4-byte Folded Reload
	v_pk_mul_f16 v0, v3, v0
	s_waitcnt vmcnt(0)
	v_add_nc_u32_e32 v2, 0xc00, v2
	ds_store_2addr_b32 v2, v1, v0 offset0:48 offset1:80
.LBB25_494:                             ;   in Loop: Header=BB25_14 Depth=1
	s_or_b32 exec_lo, exec_lo, s3
	scratch_load_b32 v0, off, off offset:1304 ; 4-byte Folded Reload
	s_waitcnt vmcnt(0)
	v_add_nc_u32_e32 v0, s2, v0
	s_delay_alu instid0(VALU_DEP_1) | instskip(SKIP_2) | instid1(SALU_CYCLE_1)
	v_cmp_gt_i32_e64 s1, s8, v0
	scratch_store_b32 off, v0, off offset:1408 ; 4-byte Folded Spill
	s_and_b32 s35, s1, vcc_lo
	s_xor_b32 s1, s35, -1
	s_delay_alu instid0(SALU_CYCLE_1) | instskip(NEXT) | instid1(SALU_CYCLE_1)
	s_and_saveexec_b32 s3, s1
	s_xor_b32 s1, exec_lo, s3
	s_cbranch_execz .LBB25_496
; %bb.495:                              ;   in Loop: Header=BB25_14 Depth=1
	scratch_load_b32 v0, off, off offset:1192 ; 4-byte Folded Reload
	s_waitcnt vmcnt(0)
	v_dual_mov_b32 v1, 0 :: v_dual_add_nc_u32 v0, 0x1000, v0
	ds_store_2addr_b32 v0, v1, v1 offset0:64 offset1:96
.LBB25_496:                             ;   in Loop: Header=BB25_14 Depth=1
	s_and_not1_saveexec_b32 s3, s1
	s_cbranch_execz .LBB25_498
; %bb.497:                              ;   in Loop: Header=BB25_14 Depth=1
	s_clause 0x2
	scratch_load_b32 v0, off, off offset:1408
	scratch_load_b32 v1, off, off offset:1048
	scratch_load_b32 v2, off, off offset:1184
	s_waitcnt vmcnt(2)
	v_mul_lo_u32 v0, v0, s61
	s_waitcnt vmcnt(0)
	s_delay_alu instid0(VALU_DEP_1) | instskip(NEXT) | instid1(VALU_DEP_1)
	v_add3_u32 v0, v0, v2, v1
	v_ashrrev_i32_e32 v1, 31, v0
	s_delay_alu instid0(VALU_DEP_1) | instskip(NEXT) | instid1(VALU_DEP_1)
	v_lshlrev_b64 v[0:1], 3, v[0:1]
	v_add_co_u32 v0, s1, s94, v0
	s_delay_alu instid0(VALU_DEP_1)
	v_add_co_ci_u32_e64 v1, s1, s95, v1, s1
	s_clause 0x1
	global_load_b64 v[2:3], v[0:1], off
	global_load_b64 v[0:1], v[0:1], off offset:256
	s_waitcnt vmcnt(1)
	v_cvt_f16_f32_e32 v2, v2
	v_cvt_f16_f32_e32 v3, v3
	s_waitcnt vmcnt(0)
	v_cvt_f16_f32_e32 v0, v0
	v_cvt_f16_f32_e32 v1, v1
	s_delay_alu instid0(VALU_DEP_3)
	v_pack_b32_f16 v2, v2, v3
	scratch_load_b32 v3, off, off offset:1180 ; 4-byte Folded Reload
	v_pack_b32_f16 v0, v0, v1
	s_waitcnt vmcnt(0)
	v_pk_mul_f16 v1, v3, v2
	scratch_load_b32 v2, off, off offset:1192 ; 4-byte Folded Reload
	v_pk_mul_f16 v0, v3, v0
	s_waitcnt vmcnt(0)
	v_add_nc_u32_e32 v2, 0x1000, v2
	ds_store_2addr_b32 v2, v1, v0 offset0:64 offset1:96
.LBB25_498:                             ;   in Loop: Header=BB25_14 Depth=1
	s_or_b32 exec_lo, exec_lo, s3
	scratch_load_b32 v0, off, off offset:1308 ; 4-byte Folded Reload
	s_waitcnt vmcnt(0)
	v_add_nc_u32_e32 v5, s2, v0
	s_delay_alu instid0(VALU_DEP_1) | instskip(NEXT) | instid1(VALU_DEP_1)
	v_cmp_gt_i32_e64 s1, s8, v5
	s_and_b32 s1, s1, vcc_lo
	s_delay_alu instid0(SALU_CYCLE_1) | instskip(SKIP_1) | instid1(SALU_CYCLE_1)
	v_writelane_b32 v255, s1, 28
	s_xor_b32 s1, s1, -1
	s_and_saveexec_b32 s3, s1
	s_delay_alu instid0(SALU_CYCLE_1)
	s_xor_b32 s1, exec_lo, s3
	s_cbranch_execz .LBB25_500
; %bb.499:                              ;   in Loop: Header=BB25_14 Depth=1
	scratch_load_b32 v0, off, off offset:1192 ; 4-byte Folded Reload
	s_waitcnt vmcnt(0)
	v_dual_mov_b32 v1, 0 :: v_dual_add_nc_u32 v0, 0x1400, v0
	ds_store_2addr_b32 v0, v1, v1 offset0:80 offset1:112
.LBB25_500:                             ;   in Loop: Header=BB25_14 Depth=1
	s_and_not1_saveexec_b32 s3, s1
	s_cbranch_execz .LBB25_502
; %bb.501:                              ;   in Loop: Header=BB25_14 Depth=1
	s_clause 0x1
	scratch_load_b32 v1, off, off offset:1048
	scratch_load_b32 v2, off, off offset:1184
	v_mul_lo_u32 v0, v5, s61
	s_waitcnt vmcnt(0)
	s_delay_alu instid0(VALU_DEP_1) | instskip(NEXT) | instid1(VALU_DEP_1)
	v_add3_u32 v0, v0, v2, v1
	v_ashrrev_i32_e32 v1, 31, v0
	s_delay_alu instid0(VALU_DEP_1) | instskip(NEXT) | instid1(VALU_DEP_1)
	v_lshlrev_b64 v[0:1], 3, v[0:1]
	v_add_co_u32 v0, s1, s94, v0
	s_delay_alu instid0(VALU_DEP_1)
	v_add_co_ci_u32_e64 v1, s1, s95, v1, s1
	s_clause 0x1
	global_load_b64 v[2:3], v[0:1], off
	global_load_b64 v[0:1], v[0:1], off offset:256
	s_waitcnt vmcnt(1)
	v_cvt_f16_f32_e32 v2, v2
	v_cvt_f16_f32_e32 v3, v3
	s_waitcnt vmcnt(0)
	v_cvt_f16_f32_e32 v0, v0
	v_cvt_f16_f32_e32 v1, v1
	s_delay_alu instid0(VALU_DEP_3)
	v_pack_b32_f16 v2, v2, v3
	scratch_load_b32 v3, off, off offset:1180 ; 4-byte Folded Reload
	v_pack_b32_f16 v0, v0, v1
	s_waitcnt vmcnt(0)
	v_pk_mul_f16 v1, v3, v2
	scratch_load_b32 v2, off, off offset:1192 ; 4-byte Folded Reload
	v_pk_mul_f16 v0, v3, v0
	s_waitcnt vmcnt(0)
	v_add_nc_u32_e32 v2, 0x1400, v2
	ds_store_2addr_b32 v2, v1, v0 offset0:80 offset1:112
.LBB25_502:                             ;   in Loop: Header=BB25_14 Depth=1
	s_or_b32 exec_lo, exec_lo, s3
	scratch_load_b32 v0, off, off offset:1312 ; 4-byte Folded Reload
	s_waitcnt vmcnt(0)
	v_add_nc_u32_e32 v4, s2, v0
	s_delay_alu instid0(VALU_DEP_1) | instskip(NEXT) | instid1(VALU_DEP_1)
	v_cmp_gt_i32_e64 s1, s8, v4
	s_and_b32 s1, s1, vcc_lo
	s_delay_alu instid0(SALU_CYCLE_1) | instskip(SKIP_1) | instid1(SALU_CYCLE_1)
	v_writelane_b32 v255, s1, 29
	s_xor_b32 s1, s1, -1
	s_and_saveexec_b32 s3, s1
	s_delay_alu instid0(SALU_CYCLE_1)
	s_xor_b32 s1, exec_lo, s3
	s_cbranch_execz .LBB25_504
; %bb.503:                              ;   in Loop: Header=BB25_14 Depth=1
	scratch_load_b32 v0, off, off offset:1192 ; 4-byte Folded Reload
	s_waitcnt vmcnt(0)
	v_dual_mov_b32 v1, 0 :: v_dual_add_nc_u32 v0, 0x1800, v0
	ds_store_2addr_b32 v0, v1, v1 offset0:96 offset1:128
.LBB25_504:                             ;   in Loop: Header=BB25_14 Depth=1
	s_and_not1_saveexec_b32 s1, s1
	s_cbranch_execz .LBB25_506
; %bb.505:                              ;   in Loop: Header=BB25_14 Depth=1
	s_clause 0x1
	scratch_load_b32 v1, off, off offset:1048
	scratch_load_b32 v2, off, off offset:1184
	v_mul_lo_u32 v0, v4, s61
	s_waitcnt vmcnt(0)
	s_delay_alu instid0(VALU_DEP_1) | instskip(NEXT) | instid1(VALU_DEP_1)
	v_add3_u32 v0, v0, v2, v1
	v_ashrrev_i32_e32 v1, 31, v0
	s_delay_alu instid0(VALU_DEP_1) | instskip(NEXT) | instid1(VALU_DEP_1)
	v_lshlrev_b64 v[0:1], 3, v[0:1]
	v_add_co_u32 v0, vcc_lo, s94, v0
	s_delay_alu instid0(VALU_DEP_2)
	v_add_co_ci_u32_e32 v1, vcc_lo, s95, v1, vcc_lo
	s_clause 0x1
	global_load_b64 v[2:3], v[0:1], off
	global_load_b64 v[0:1], v[0:1], off offset:256
	s_waitcnt vmcnt(1)
	v_cvt_f16_f32_e32 v2, v2
	v_cvt_f16_f32_e32 v3, v3
	s_waitcnt vmcnt(0)
	v_cvt_f16_f32_e32 v0, v0
	v_cvt_f16_f32_e32 v1, v1
	s_delay_alu instid0(VALU_DEP_3)
	v_pack_b32_f16 v2, v2, v3
	scratch_load_b32 v3, off, off offset:1180 ; 4-byte Folded Reload
	v_pack_b32_f16 v0, v0, v1
	s_waitcnt vmcnt(0)
	v_pk_mul_f16 v1, v3, v2
	scratch_load_b32 v2, off, off offset:1192 ; 4-byte Folded Reload
	v_pk_mul_f16 v0, v3, v0
	s_waitcnt vmcnt(0)
	v_add_nc_u32_e32 v2, 0x1800, v2
	ds_store_2addr_b32 v2, v1, v0 offset0:96 offset1:128
.LBB25_506:                             ;   in Loop: Header=BB25_14 Depth=1
	s_or_b32 exec_lo, exec_lo, s1
	s_waitcnt lgkmcnt(0)
	s_waitcnt_vscnt null, 0x0
	s_barrier
	buffer_gl0_inv
	scratch_load_b32 v0, off, off offset:1232 ; 4-byte Folded Reload
	s_cmp_gt_i32 s15, 1
	s_waitcnt vmcnt(0)
	ds_load_b128 v[240:243], v0
	ds_load_b128 v[244:247], v0 offset:16
	ds_load_b128 v[232:235], v0 offset:32
	;; [unrolled: 1-line block ×15, first 2 shown]
	s_waitcnt lgkmcnt(0)
	s_barrier
	buffer_gl0_inv
	s_clause 0x1
	scratch_store_b32 off, v4, off offset:1428
	scratch_store_b32 off, v5, off offset:1424
	s_cbranch_scc1 .LBB25_508
; %bb.507:                              ;   in Loop: Header=BB25_14 Depth=1
	scratch_load_b32 v3, off, off offset:1204 ; 4-byte Folded Reload
	s_mov_b32 s1, 0
	s_mov_b32 s3, 0xfeffffff
	s_mov_b32 s4, 0
	s_mov_b32 s94, 0
	s_waitcnt vmcnt(0)
	v_add_nc_u32_e32 v0, s2, v3
	v_add_nc_u32_e32 v1, 4, v3
	;; [unrolled: 1-line block ×4, first 2 shown]
	s_delay_alu instid0(VALU_DEP_4) | instskip(NEXT) | instid1(VALU_DEP_4)
	v_mul_hi_u32 v4, s48, v0
	v_add_nc_u32_e32 v1, s2, v1
	s_delay_alu instid0(VALU_DEP_4) | instskip(NEXT) | instid1(VALU_DEP_4)
	v_add_nc_u32_e32 v2, s2, v2
	v_add_nc_u32_e32 v3, s2, v3
	s_delay_alu instid0(VALU_DEP_3) | instskip(NEXT) | instid1(VALU_DEP_3)
	v_mul_hi_u32 v5, s48, v1
	v_mul_hi_u32 v6, s48, v2
	v_add_nc_u32_e32 v4, v0, v4
	s_delay_alu instid0(VALU_DEP_4) | instskip(NEXT) | instid1(VALU_DEP_2)
	v_mul_hi_u32 v7, s48, v3
	v_lshrrev_b32_e32 v4, s49, v4
	v_add_nc_u32_e32 v5, v1, v5
	v_add_nc_u32_e32 v6, v2, v6
	s_delay_alu instid0(VALU_DEP_4) | instskip(NEXT) | instid1(VALU_DEP_4)
	v_add_nc_u32_e32 v7, v3, v7
	v_mul_lo_u32 v4, v4, s8
	s_delay_alu instid0(VALU_DEP_4) | instskip(NEXT) | instid1(VALU_DEP_4)
	v_lshrrev_b32_e32 v5, s49, v5
	v_lshrrev_b32_e32 v6, s49, v6
	s_delay_alu instid0(VALU_DEP_4) | instskip(NEXT) | instid1(VALU_DEP_3)
	v_lshrrev_b32_e32 v7, s49, v7
	v_mul_lo_u32 v5, v5, s8
	s_delay_alu instid0(VALU_DEP_3) | instskip(SKIP_1) | instid1(VALU_DEP_4)
	v_mul_lo_u32 v6, v6, s8
	v_sub_nc_u32_e32 v0, v0, v4
	v_mul_lo_u32 v7, v7, s8
	s_delay_alu instid0(VALU_DEP_4) | instskip(NEXT) | instid1(VALU_DEP_3)
	v_sub_nc_u32_e32 v1, v1, v5
	v_mad_i64_i32 v[4:5], null, v0, s50, 0
	v_sub_nc_u32_e32 v2, v2, v6
	s_delay_alu instid0(VALU_DEP_4)
	v_sub_nc_u32_e32 v3, v3, v7
	scratch_store_b64 off, v[4:5], off offset:1352 ; 8-byte Folded Spill
	v_mad_i64_i32 v[4:5], null, v1, s50, 0
	v_mad_i64_i32 v[0:1], null, v2, s50, 0
	scratch_store_b64 off, v[0:1], off offset:1336 ; 8-byte Folded Spill
	v_mad_i64_i32 v[0:1], null, v3, s50, 0
	s_clause 0x1
	scratch_store_b64 off, v[4:5], off offset:1344
	scratch_store_b64 off, v[0:1], off offset:1328
	s_branch .LBB25_509
.LBB25_508:                             ;   in Loop: Header=BB25_14 Depth=1
                                        ; implicit-def: $vgpr0_vgpr1
                                        ; kill: killed $vgpr0_vgpr1
	s_mov_b32 s1, -1
                                        ; implicit-def: $vgpr0_vgpr1
                                        ; kill: killed $vgpr0_vgpr1
                                        ; implicit-def: $sgpr94
                                        ; implicit-def: $sgpr4
                                        ; implicit-def: $sgpr3
                                        ; implicit-def: $vgpr0_vgpr1
                                        ; kill: killed $vgpr0_vgpr1
                                        ; implicit-def: $vgpr0_vgpr1
                                        ; kill: killed $vgpr0_vgpr1
.LBB25_509:                             ;   in Loop: Header=BB25_14 Depth=1
	v_mbcnt_lo_u32_b32 v0, -1, 0
	v_dual_mov_b32 v31, s94 :: v_dual_mov_b32 v120, s4
	v_dual_mov_b32 v121, s3 :: v_dual_mov_b32 v30, s94
	s_delay_alu instid0(VALU_DEP_3)
	v_xor_b32_e32 v0, 16, v0
	v_dual_mov_b32 v29, s94 :: v_dual_mov_b32 v28, s94
	v_dual_mov_b32 v27, s94 :: v_dual_mov_b32 v26, s94
	scratch_store_b32 off, v0, off offset:1224 ; 4-byte Folded Spill
	v_dual_mov_b32 v25, s94 :: v_dual_mov_b32 v24, s94
	v_dual_mov_b32 v23, s94 :: v_dual_mov_b32 v22, s94
	;; [unrolled: 1-line block ×13, first 2 shown]
	s_and_not1_b32 vcc_lo, exec_lo, s1
	s_cbranch_vccnz .LBB25_641
; %bb.510:                              ;   in Loop: Header=BB25_14 Depth=1
	s_clause 0x1
	scratch_load_b32 v4, off, off offset:1204
	scratch_load_b32 v10, off, off offset:1224
	v_mbcnt_lo_u32_b32 v9, -1, 0
	s_add_i32 s94, s15, -1
	s_delay_alu instid0(SALU_CYCLE_1)
	s_mov_b32 s15, s94
	s_waitcnt vmcnt(1)
	v_add_nc_u32_e32 v1, s2, v4
	s_waitcnt vmcnt(0)
	v_cmp_gt_i32_e32 vcc_lo, 32, v10
	v_dual_cndmask_b32 v9, v9, v10 :: v_dual_add_nc_u32 v0, 4, v4
	s_delay_alu instid0(VALU_DEP_1) | instskip(SKIP_1) | instid1(VALU_DEP_1)
	v_add_nc_u32_e32 v2, s2, v0
	v_add_nc_u32_e32 v0, 8, v4
	;; [unrolled: 1-line block ×4, first 2 shown]
	s_delay_alu instid0(VALU_DEP_1)
	v_add_nc_u32_e32 v4, s2, v0
	v_mul_hi_u32 v0, s48, v1
	s_add_u32 s2, s22, s82
	s_addc_u32 s3, s23, s79
	s_add_u32 s1, s63, s92
	s_addc_u32 s4, s56, s91
	;; [unrolled: 2-line block ×3, first 2 shown]
	v_readlane_b32 s56, v255, 24
	v_add_nc_u32_e32 v8, v1, v0
	v_mov_b32_e32 v0, 0
	v_lshlrev_b32_e32 v250, 2, v9
	v_readlane_b32 s57, v255, 25
	s_delay_alu instid0(VALU_DEP_4) | instskip(NEXT) | instid1(VALU_DEP_4)
	v_lshrrev_b32_e32 v8, s49, v8
	v_mov_b32_e32 v9, v0
	v_mov_b32_e32 v10, v0
	;; [unrolled: 1-line block ×4, first 2 shown]
	v_mul_lo_u32 v8, v8, s8
	v_mov_b32_e32 v13, v0
	v_mov_b32_e32 v14, v0
	;; [unrolled: 1-line block ×7, first 2 shown]
	v_sub_nc_u32_e32 v32, v1, v8
	v_mov_b32_e32 v1, v0
	v_mul_hi_u32 v5, s48, v2
	v_mov_b32_e32 v8, v0
	v_mov_b32_e32 v20, v0
	v_mad_i64_i32 v[36:37], null, v32, s50, 0
	v_mad_i64_i32 v[38:39], null, s56, v32, s[2:3]
	v_mov_b32_e32 v21, v0
	v_dual_mov_b32 v22, v0 :: v_dual_add_nc_u32 v5, v2, v5
	v_mov_b32_e32 v23, v0
	scratch_store_b64 off, v[36:37], off offset:1352 ; 8-byte Folded Spill
	v_mov_b32_e32 v24, v0
	v_lshrrev_b32_e32 v5, s49, v5
	v_mov_b32_e32 v25, v0
	v_mov_b32_e32 v26, v0
	v_mov_b32_e32 v27, v0
	v_mov_b32_e32 v28, v0
	v_mul_lo_u32 v5, v5, s8
	v_mov_b32_e32 v29, v0
	v_mov_b32_e32 v30, v0
	;; [unrolled: 1-line block ×3, first 2 shown]
	s_delay_alu instid0(VALU_DEP_4) | instskip(SKIP_3) | instid1(VALU_DEP_4)
	v_sub_nc_u32_e32 v33, v2, v5
	v_mov_b32_e32 v2, v0
	v_mul_hi_u32 v6, s48, v3
	v_mov_b32_e32 v5, v0
	v_mad_i64_i32 v[36:37], null, v33, s50, 0
	v_mad_i64_i32 v[40:41], null, s56, v33, s[2:3]
	s_delay_alu instid0(VALU_DEP_4) | instskip(NEXT) | instid1(VALU_DEP_1)
	v_add_nc_u32_e32 v6, v3, v6
	v_lshrrev_b32_e32 v6, s49, v6
	s_delay_alu instid0(VALU_DEP_1) | instskip(NEXT) | instid1(VALU_DEP_1)
	v_mul_lo_u32 v6, v6, s8
	v_sub_nc_u32_e32 v34, v3, v6
	v_mov_b32_e32 v3, v0
	v_mul_hi_u32 v7, s48, v4
	v_mov_b32_e32 v6, v0
	s_delay_alu instid0(VALU_DEP_4) | instskip(SKIP_1) | instid1(VALU_DEP_4)
	v_mad_i64_i32 v[32:33], null, v34, s50, 0
	v_mad_i64_i32 v[252:253], null, s56, v34, s[2:3]
	v_add_nc_u32_e32 v7, v4, v7
	scratch_store_b64 off, v[32:33], off offset:1336 ; 8-byte Folded Spill
	v_lshrrev_b32_e32 v7, s49, v7
	s_delay_alu instid0(VALU_DEP_1) | instskip(NEXT) | instid1(VALU_DEP_1)
	v_mul_lo_u32 v7, v7, s8
	v_sub_nc_u32_e32 v35, v4, v7
	v_mov_b32_e32 v4, v0
	v_mov_b32_e32 v7, v0
	s_delay_alu instid0(VALU_DEP_3)
	v_mad_i64_i32 v[32:33], null, v35, s50, 0
	v_mad_i64_i32 v[248:249], null, s56, v35, s[2:3]
	scratch_store_b64 off, v[32:33], off offset:1328 ; 8-byte Folded Spill
	scratch_load_b32 v32, off, off offset:1444 ; 4-byte Folded Reload
	s_waitcnt vmcnt(0)
	v_add_co_u32 v32, vcc_lo, v32, s1
	s_clause 0x1
	scratch_store_b64 off, v[36:37], off offset:1344
	scratch_store_b32 off, v32, off offset:192
	scratch_load_b32 v32, off, off offset:1448 ; 4-byte Folded Reload
	s_waitcnt vmcnt(0)
	v_add_co_ci_u32_e32 v32, vcc_lo, s4, v32, vcc_lo
	scratch_store_b32 off, v32, off offset:224 ; 4-byte Folded Spill
	scratch_load_b32 v32, off, off offset:1452 ; 4-byte Folded Reload
	s_waitcnt vmcnt(0)
	v_add_co_u32 v32, vcc_lo, v32, s1
	scratch_store_b32 off, v32, off offset:256 ; 4-byte Folded Spill
	scratch_load_b32 v32, off, off offset:1456 ; 4-byte Folded Reload
	s_waitcnt vmcnt(0)
	v_add_co_ci_u32_e32 v32, vcc_lo, s4, v32, vcc_lo
	scratch_store_b32 off, v32, off offset:288 ; 4-byte Folded Spill
	scratch_load_b32 v32, off, off offset:1460 ; 4-byte Folded Reload
	s_waitcnt vmcnt(0)
	v_add_co_u32 v32, vcc_lo, v32, s1
	scratch_store_b32 off, v32, off offset:320 ; 4-byte Folded Spill
	;; [unrolled: 8-line block ×7, first 2 shown]
	scratch_load_b32 v32, off, off offset:1504 ; 4-byte Folded Reload
	s_waitcnt vmcnt(0)
	v_add_co_ci_u32_e32 v32, vcc_lo, s4, v32, vcc_lo
	scratch_store_b32 off, v32, off offset:716 ; 4-byte Folded Spill
	scratch_load_b32 v32, off, off offset:1508 ; 4-byte Folded Reload
	s_waitcnt vmcnt(0)
	v_add_co_u32 v37, vcc_lo, v32, s5
	scratch_load_b32 v32, off, off offset:1512 ; 4-byte Folded Reload
	s_waitcnt vmcnt(0)
	v_add_co_ci_u32_e32 v42, vcc_lo, s6, v32, vcc_lo
	scratch_load_b32 v32, off, off offset:1516 ; 4-byte Folded Reload
	s_waitcnt vmcnt(0)
	v_add_co_u32 v43, vcc_lo, v32, s5
	scratch_load_b32 v32, off, off offset:1520 ; 4-byte Folded Reload
	s_waitcnt vmcnt(0)
	v_add_co_ci_u32_e32 v46, vcc_lo, s6, v32, vcc_lo
	;; [unrolled: 6-line block ×8, first 2 shown]
	v_mov_b32_e32 v32, 0
	scratch_store_b32 off, v32, off offset:820 ; 4-byte Folded Spill
	v_mov_b32_e32 v32, 0xfeffffff
	s_clause 0x6
	scratch_store_b32 off, v32, off offset:824
	scratch_store_b128 off, v[240:243], off offset:32
	scratch_store_b128 off, v[244:247], off offset:48
	;; [unrolled: 1-line block ×6, first 2 shown]
.LBB25_511:                             ;   Parent Loop BB25_14 Depth=1
                                        ; =>  This Inner Loop Header: Depth=2
	scratch_load_b32 v36, off, off offset:1188 ; 4-byte Folded Reload
	s_clause 0x1
	scratch_store_b64 off, v[38:39], off offset:128
	scratch_store_b64 off, v[40:41], off offset:160
	v_dual_mov_b32 v112, v232 :: v_dual_mov_b32 v115, v235
	v_dual_mov_b32 v128, v224 :: v_dual_mov_b32 v131, v227
	;; [unrolled: 1-line block ×8, first 2 shown]
	v_mov_b32_e32 v134, v230
	v_dual_mov_b32 v154, v194 :: v_dual_mov_b32 v157, v197
	v_dual_mov_b32 v156, v196 :: v_dual_mov_b32 v159, v199
	v_dual_mov_b32 v158, v198 :: v_dual_mov_b32 v113, v233
	v_mov_b32_e32 v153, v193
	s_waitcnt vmcnt(0)
	v_add_co_u32 v32, vcc_lo, v38, v36
	v_add_co_ci_u32_e32 v33, vcc_lo, 0, v39, vcc_lo
	v_add_co_u32 v34, vcc_lo, v40, v36
	v_add_co_ci_u32_e32 v35, vcc_lo, 0, v41, vcc_lo
	global_load_b32 v40, v[32:33], off
	global_load_b32 v41, v[34:35], off
	scratch_load_b32 v48, off, off offset:672 ; 4-byte Folded Reload
	v_add_co_u32 v32, vcc_lo, v252, v36
	v_add_co_ci_u32_e32 v33, vcc_lo, 0, v253, vcc_lo
	v_add_co_u32 v34, vcc_lo, v248, v36
	v_add_co_ci_u32_e32 v35, vcc_lo, 0, v249, vcc_lo
	s_clause 0x1
	scratch_store_b32 off, v37, off offset:720
	scratch_store_b32 off, v42, off offset:724
	s_waitcnt vmcnt(0)
	v_add_co_u32 v36, vcc_lo, v37, v48
	v_add_co_ci_u32_e32 v37, vcc_lo, 0, v42, vcc_lo
	global_load_b32 v44, v[32:33], off
	global_load_b32 v45, v[34:35], off
	global_load_b128 v[32:35], v[36:37], off
	v_add_co_u32 v36, vcc_lo, v43, v48
	v_add_co_ci_u32_e32 v37, vcc_lo, 0, v46, vcc_lo
	s_clause 0x1
	scratch_store_b32 off, v43, off offset:728
	scratch_store_b32 off, v46, off offset:732
	global_load_b128 v[36:39], v[36:37], off
	s_clause 0x1
	scratch_load_b32 v42, off, off offset:512
	scratch_load_b32 v43, off, off offset:636
	s_clause 0xb
	scratch_store_b32 off, v47, off offset:736
	scratch_store_b32 off, v49, off offset:740
	;; [unrolled: 1-line block ×12, first 2 shown]
	s_waitcnt vmcnt(0)
	v_add_nc_u32_e32 v42, v42, v43
	s_delay_alu instid0(VALU_DEP_1)
	v_add_nc_u32_e32 v43, 0x4400, v42
	v_add_nc_u32_e32 v46, 0x4800, v42
	ds_store_2addr_b32 v43, v40, v41 offset1:144
	v_add_co_u32 v40, vcc_lo, v47, v48
	v_add_co_ci_u32_e32 v41, vcc_lo, 0, v49, vcc_lo
	ds_store_2addr_b32 v46, v44, v45 offset0:32 offset1:176
	v_add_co_u32 v44, vcc_lo, v50, v48
	global_load_b128 v[40:43], v[40:41], off
	v_add_co_ci_u32_e32 v45, vcc_lo, 0, v51, vcc_lo
	v_add_co_u32 v46, vcc_lo, v52, v48
	v_add_co_ci_u32_e32 v47, vcc_lo, 0, v53, vcc_lo
	ds_store_b128 v137, v[32:35]
	ds_store_b128 v139, v[36:39]
	global_load_b128 v[32:35], v[44:45], off
	global_load_b128 v[36:39], v[46:47], off
	v_add_co_u32 v44, vcc_lo, v54, v48
	v_add_co_ci_u32_e32 v45, vcc_lo, 0, v55, vcc_lo
	s_waitcnt vmcnt(2)
	ds_store_b128 v140, v[40:43]
	v_add_co_u32 v40, vcc_lo, v56, v48
	v_add_co_ci_u32_e32 v41, vcc_lo, 0, v57, vcc_lo
	v_add_co_u32 v46, vcc_lo, v58, v48
	v_add_co_ci_u32_e32 v47, vcc_lo, 0, v59, vcc_lo
	s_waitcnt vmcnt(1)
	ds_store_b128 v141, v[32:35]
	global_load_b128 v[32:35], v[44:45], off
	global_load_b128 v[40:43], v[40:41], off
	s_waitcnt vmcnt(2)
	ds_store_b128 v142, v[36:39]
	global_load_b128 v[36:39], v[46:47], off
	s_waitcnt vmcnt(2)
	ds_store_b128 v143, v[32:35]
	s_waitcnt vmcnt(1)
	ds_store_b128 v144, v[40:43]
	;; [unrolled: 2-line block ×3, first 2 shown]
	s_waitcnt lgkmcnt(0)
	s_waitcnt_vscnt null, 0x0
	s_barrier
	buffer_gl0_inv
	ds_load_b128 v[32:35], v254
	ds_load_b128 v[36:39], v254 offset:16
	v_dual_mov_b32 v47, s43 :: v_dual_mov_b32 v44, s40
	v_dual_mov_b32 v46, s42 :: v_dual_mov_b32 v45, s41
	v_dual_mov_b32 v43, s39 :: v_dual_mov_b32 v42, s38
	v_dual_mov_b32 v41, s37 :: v_dual_mov_b32 v40, s36
	v_dual_mov_b32 v136, v216 :: v_dual_mov_b32 v139, v219
	v_dual_mov_b32 v144, v200 :: v_dual_mov_b32 v147, v203
	v_dual_mov_b32 v137, v217 :: v_dual_mov_b32 v138, v218
	v_dual_mov_b32 v141, v221 :: v_dual_mov_b32 v140, v220
	v_dual_mov_b32 v143, v223 :: v_dual_mov_b32 v142, v222
	v_mov_b32_e32 v145, v201
	s_waitcnt lgkmcnt(0)
	v_wmma_f32_16x16x16_f16 v[96:103], v[32:39], v[240:247], v[40:47]
	ds_load_b128 v[32:35], v254 offset:32
	ds_load_b128 v[36:39], v254 offset:48
	v_dual_mov_b32 v146, v202 :: v_dual_mov_b32 v149, v205
	v_dual_mov_b32 v148, v204 :: v_dual_mov_b32 v151, v207
	v_mov_b32_e32 v150, v206
	s_waitcnt lgkmcnt(0)
	v_wmma_f32_16x16x16_f16 v[96:103], v[32:39], v[232:239], v[96:103]
	ds_load_b128 v[32:35], v254 offset:64
	ds_load_b128 v[36:39], v254 offset:80
	s_waitcnt lgkmcnt(0)
	v_wmma_f32_16x16x16_f16 v[96:103], v[32:39], v[224:231], v[96:103]
	ds_load_b128 v[32:35], v254 offset:96
	ds_load_b128 v[36:39], v254 offset:112
	s_waitcnt lgkmcnt(0)
	v_wmma_f32_16x16x16_f16 v[96:103], v[32:39], v[216:223], v[96:103]
	ds_load_b128 v[32:35], v254 offset:128
	ds_load_b128 v[36:39], v254 offset:144
	s_waitcnt lgkmcnt(0)
	v_wmma_f32_16x16x16_f16 v[96:103], v[32:39], v[200:207], v[96:103]
	ds_load_b128 v[32:35], v254 offset:160
	ds_load_b128 v[36:39], v254 offset:176
	s_waitcnt lgkmcnt(0)
	v_wmma_f32_16x16x16_f16 v[96:103], v[32:39], v[192:199], v[96:103]
	ds_load_b128 v[32:35], v254 offset:192
	ds_load_b128 v[36:39], v254 offset:208
	s_waitcnt lgkmcnt(0)
	v_wmma_f32_16x16x16_f16 v[96:103], v[32:39], v[184:191], v[96:103]
	ds_load_b128 v[32:35], v254 offset:224
	ds_load_b128 v[36:39], v254 offset:240
	s_waitcnt lgkmcnt(0)
	v_wmma_f32_16x16x16_f16 v[96:103], v[32:39], v[176:183], v[96:103]
	ds_load_b128 v[80:83], v254 offset:4352
	ds_load_b128 v[84:87], v254 offset:4368
	ds_load_b128 v[72:75], v254 offset:4384
	ds_load_b128 v[76:79], v254 offset:4400
	;; [unrolled: 1-line block ×36, first 2 shown]
	s_waitcnt lgkmcnt(0)
	s_clause 0x1
	scratch_store_b128 off, v[88:91], off offset:1016
	scratch_store_b128 off, v[92:95], off offset:1032
	ds_load_b128 v[88:91], v254 offset:13152
	ds_load_b128 v[92:95], v254 offset:13168
	s_waitcnt lgkmcnt(0)
	s_clause 0x1
	scratch_store_b128 off, v[88:91], off offset:984
	scratch_store_b128 off, v[92:95], off offset:1000
	ds_load_b128 v[88:91], v254 offset:13184
	ds_load_b128 v[92:95], v254 offset:13200
	;; [unrolled: 6-line block ×5, first 2 shown]
	v_cmp_ngt_f32_e64 s1, 0x3f200000, |v96|
	s_waitcnt lgkmcnt(0)
	s_clause 0x1
	scratch_store_b128 off, v[88:91], off offset:856
	scratch_store_b128 off, v[92:95], off offset:872
	s_waitcnt_vscnt null, 0x0
	s_barrier
	buffer_gl0_inv
                                        ; implicit-def: $vgpr88
                                        ; kill: killed $vgpr88
	s_and_saveexec_b32 s2, s1
	s_delay_alu instid0(SALU_CYCLE_1)
	s_xor_b32 s1, exec_lo, s2
	s_cbranch_execz .LBB25_513
; %bb.512:                              ;   in Loop: Header=BB25_511 Depth=2
	v_add_f32_e64 v88, |v96|, |v96|
	s_delay_alu instid0(VALU_DEP_1) | instskip(SKIP_1) | instid1(VALU_DEP_2)
	v_mul_f32_e32 v89, 0x3fb8aa3b, v88
	v_cmp_ngt_f32_e32 vcc_lo, 0xc2ce8ed0, v88
	v_rndne_f32_e32 v90, v89
	v_fma_f32 v91, 0x3fb8aa3b, v88, -v89
	s_delay_alu instid0(VALU_DEP_2) | instskip(NEXT) | instid1(VALU_DEP_2)
	v_sub_f32_e32 v89, v89, v90
	v_fmac_f32_e32 v91, 0x32a5705f, v88
	v_cvt_i32_f32_e32 v90, v90
	s_delay_alu instid0(VALU_DEP_2) | instskip(NEXT) | instid1(VALU_DEP_1)
	v_add_f32_e32 v89, v89, v91
	v_exp_f32_e32 v89, v89
	s_waitcnt_depctr 0xfff
	v_ldexp_f32 v89, v89, v90
	s_delay_alu instid0(VALU_DEP_1) | instskip(SKIP_1) | instid1(VALU_DEP_2)
	v_cndmask_b32_e32 v89, 0, v89, vcc_lo
	v_cmp_nlt_f32_e32 vcc_lo, 0x42b17218, v88
	v_cndmask_b32_e32 v88, 0x7f800000, v89, vcc_lo
	s_delay_alu instid0(VALU_DEP_1) | instskip(NEXT) | instid1(VALU_DEP_1)
	v_add_f32_e32 v88, 1.0, v88
	v_rcp_f32_e32 v88, v88
	s_waitcnt_depctr 0xfff
	v_fma_f32 v88, v88, -2.0, 1.0
	scratch_store_b32 off, v88, off offset:828 ; 4-byte Folded Spill
.LBB25_513:                             ;   in Loop: Header=BB25_511 Depth=2
	s_and_not1_saveexec_b32 s1, s1
	s_cbranch_execz .LBB25_515
; %bb.514:                              ;   in Loop: Header=BB25_511 Depth=2
	v_mul_f32_e32 v88, v96, v96
	s_delay_alu instid0(VALU_DEP_1) | instskip(NEXT) | instid1(VALU_DEP_1)
	v_fmaak_f32 v89, s51, v88, 0x3ca908c9
	v_fmaak_f32 v89, v88, v89, 0xbd5c1c4e
	s_delay_alu instid0(VALU_DEP_1) | instskip(NEXT) | instid1(VALU_DEP_1)
	v_fmaak_f32 v89, v88, v89, 0x3e088382
	v_fmaak_f32 v89, v88, v89, 0xbeaaaa99
	s_delay_alu instid0(VALU_DEP_1) | instskip(NEXT) | instid1(VALU_DEP_1)
	v_mul_f32_e64 v89, |v96|, v89
	v_fma_f32 v88, v88, v89, |v96|
	scratch_store_b32 off, v88, off offset:828 ; 4-byte Folded Spill
.LBB25_515:                             ;   in Loop: Header=BB25_511 Depth=2
	s_or_b32 exec_lo, exec_lo, s1
	v_cmp_ngt_f32_e64 s1, 0x3f200000, |v97|
                                        ; implicit-def: $vgpr88
                                        ; kill: killed $vgpr88
	s_delay_alu instid0(VALU_DEP_1) | instskip(NEXT) | instid1(SALU_CYCLE_1)
	s_and_saveexec_b32 s2, s1
	s_xor_b32 s1, exec_lo, s2
	s_cbranch_execz .LBB25_517
; %bb.516:                              ;   in Loop: Header=BB25_511 Depth=2
	v_add_f32_e64 v88, |v97|, |v97|
	s_delay_alu instid0(VALU_DEP_1) | instskip(SKIP_1) | instid1(VALU_DEP_2)
	v_mul_f32_e32 v89, 0x3fb8aa3b, v88
	v_cmp_ngt_f32_e32 vcc_lo, 0xc2ce8ed0, v88
	v_rndne_f32_e32 v90, v89
	v_fma_f32 v91, 0x3fb8aa3b, v88, -v89
	s_delay_alu instid0(VALU_DEP_2) | instskip(NEXT) | instid1(VALU_DEP_2)
	v_sub_f32_e32 v89, v89, v90
	v_fmac_f32_e32 v91, 0x32a5705f, v88
	v_cvt_i32_f32_e32 v90, v90
	s_delay_alu instid0(VALU_DEP_2) | instskip(NEXT) | instid1(VALU_DEP_1)
	v_add_f32_e32 v89, v89, v91
	v_exp_f32_e32 v89, v89
	s_waitcnt_depctr 0xfff
	v_ldexp_f32 v89, v89, v90
	s_delay_alu instid0(VALU_DEP_1) | instskip(SKIP_1) | instid1(VALU_DEP_2)
	v_cndmask_b32_e32 v89, 0, v89, vcc_lo
	v_cmp_nlt_f32_e32 vcc_lo, 0x42b17218, v88
	v_cndmask_b32_e32 v88, 0x7f800000, v89, vcc_lo
	s_delay_alu instid0(VALU_DEP_1) | instskip(NEXT) | instid1(VALU_DEP_1)
	v_add_f32_e32 v88, 1.0, v88
	v_rcp_f32_e32 v88, v88
	s_waitcnt_depctr 0xfff
	v_fma_f32 v88, v88, -2.0, 1.0
	scratch_store_b32 off, v88, off offset:832 ; 4-byte Folded Spill
.LBB25_517:                             ;   in Loop: Header=BB25_511 Depth=2
	s_and_not1_saveexec_b32 s1, s1
	s_cbranch_execz .LBB25_519
; %bb.518:                              ;   in Loop: Header=BB25_511 Depth=2
	v_mul_f32_e32 v88, v97, v97
	s_delay_alu instid0(VALU_DEP_1) | instskip(NEXT) | instid1(VALU_DEP_1)
	v_fmaak_f32 v89, s51, v88, 0x3ca908c9
	v_fmaak_f32 v89, v88, v89, 0xbd5c1c4e
	s_delay_alu instid0(VALU_DEP_1) | instskip(NEXT) | instid1(VALU_DEP_1)
	v_fmaak_f32 v89, v88, v89, 0x3e088382
	v_fmaak_f32 v89, v88, v89, 0xbeaaaa99
	s_delay_alu instid0(VALU_DEP_1) | instskip(NEXT) | instid1(VALU_DEP_1)
	v_mul_f32_e64 v89, |v97|, v89
	v_fma_f32 v88, v88, v89, |v97|
	scratch_store_b32 off, v88, off offset:832 ; 4-byte Folded Spill
.LBB25_519:                             ;   in Loop: Header=BB25_511 Depth=2
	s_or_b32 exec_lo, exec_lo, s1
	v_cmp_ngt_f32_e64 s1, 0x3f200000, |v98|
                                        ; implicit-def: $vgpr88
                                        ; kill: killed $vgpr88
	s_delay_alu instid0(VALU_DEP_1) | instskip(NEXT) | instid1(SALU_CYCLE_1)
	s_and_saveexec_b32 s2, s1
	s_xor_b32 s1, exec_lo, s2
	s_cbranch_execz .LBB25_521
; %bb.520:                              ;   in Loop: Header=BB25_511 Depth=2
	v_add_f32_e64 v88, |v98|, |v98|
	s_delay_alu instid0(VALU_DEP_1) | instskip(SKIP_1) | instid1(VALU_DEP_2)
	v_mul_f32_e32 v89, 0x3fb8aa3b, v88
	v_cmp_ngt_f32_e32 vcc_lo, 0xc2ce8ed0, v88
	v_rndne_f32_e32 v90, v89
	v_fma_f32 v91, 0x3fb8aa3b, v88, -v89
	s_delay_alu instid0(VALU_DEP_2) | instskip(NEXT) | instid1(VALU_DEP_2)
	v_sub_f32_e32 v89, v89, v90
	v_fmac_f32_e32 v91, 0x32a5705f, v88
	v_cvt_i32_f32_e32 v90, v90
	s_delay_alu instid0(VALU_DEP_2) | instskip(NEXT) | instid1(VALU_DEP_1)
	v_add_f32_e32 v89, v89, v91
	v_exp_f32_e32 v89, v89
	s_waitcnt_depctr 0xfff
	v_ldexp_f32 v89, v89, v90
	s_delay_alu instid0(VALU_DEP_1) | instskip(SKIP_1) | instid1(VALU_DEP_2)
	v_cndmask_b32_e32 v89, 0, v89, vcc_lo
	v_cmp_nlt_f32_e32 vcc_lo, 0x42b17218, v88
	v_cndmask_b32_e32 v88, 0x7f800000, v89, vcc_lo
	s_delay_alu instid0(VALU_DEP_1) | instskip(NEXT) | instid1(VALU_DEP_1)
	v_add_f32_e32 v88, 1.0, v88
	v_rcp_f32_e32 v88, v88
	s_waitcnt_depctr 0xfff
	v_fma_f32 v88, v88, -2.0, 1.0
	scratch_store_b32 off, v88, off offset:836 ; 4-byte Folded Spill
.LBB25_521:                             ;   in Loop: Header=BB25_511 Depth=2
	s_and_not1_saveexec_b32 s1, s1
	s_cbranch_execz .LBB25_523
; %bb.522:                              ;   in Loop: Header=BB25_511 Depth=2
	v_mul_f32_e32 v88, v98, v98
	s_delay_alu instid0(VALU_DEP_1) | instskip(NEXT) | instid1(VALU_DEP_1)
	v_fmaak_f32 v89, s51, v88, 0x3ca908c9
	v_fmaak_f32 v89, v88, v89, 0xbd5c1c4e
	s_delay_alu instid0(VALU_DEP_1) | instskip(NEXT) | instid1(VALU_DEP_1)
	v_fmaak_f32 v89, v88, v89, 0x3e088382
	v_fmaak_f32 v89, v88, v89, 0xbeaaaa99
	s_delay_alu instid0(VALU_DEP_1) | instskip(NEXT) | instid1(VALU_DEP_1)
	v_mul_f32_e64 v89, |v98|, v89
	v_fma_f32 v88, v88, v89, |v98|
	scratch_store_b32 off, v88, off offset:836 ; 4-byte Folded Spill
.LBB25_523:                             ;   in Loop: Header=BB25_511 Depth=2
	s_or_b32 exec_lo, exec_lo, s1
	v_cmp_ngt_f32_e64 s1, 0x3f200000, |v99|
                                        ; implicit-def: $vgpr251
	s_delay_alu instid0(VALU_DEP_1) | instskip(NEXT) | instid1(SALU_CYCLE_1)
	s_and_saveexec_b32 s2, s1
	s_xor_b32 s1, exec_lo, s2
	s_cbranch_execz .LBB25_525
; %bb.524:                              ;   in Loop: Header=BB25_511 Depth=2
	v_add_f32_e64 v88, |v99|, |v99|
	s_delay_alu instid0(VALU_DEP_1) | instskip(SKIP_1) | instid1(VALU_DEP_2)
	v_mul_f32_e32 v89, 0x3fb8aa3b, v88
	v_cmp_ngt_f32_e32 vcc_lo, 0xc2ce8ed0, v88
	v_rndne_f32_e32 v90, v89
	v_fma_f32 v91, 0x3fb8aa3b, v88, -v89
	s_delay_alu instid0(VALU_DEP_2) | instskip(NEXT) | instid1(VALU_DEP_2)
	v_sub_f32_e32 v89, v89, v90
	v_fmac_f32_e32 v91, 0x32a5705f, v88
	v_cvt_i32_f32_e32 v90, v90
	s_delay_alu instid0(VALU_DEP_2) | instskip(NEXT) | instid1(VALU_DEP_1)
	v_add_f32_e32 v89, v89, v91
	v_exp_f32_e32 v89, v89
	s_waitcnt_depctr 0xfff
	v_ldexp_f32 v89, v89, v90
	s_delay_alu instid0(VALU_DEP_1) | instskip(SKIP_1) | instid1(VALU_DEP_2)
	v_cndmask_b32_e32 v89, 0, v89, vcc_lo
	v_cmp_nlt_f32_e32 vcc_lo, 0x42b17218, v88
	v_cndmask_b32_e32 v88, 0x7f800000, v89, vcc_lo
	s_delay_alu instid0(VALU_DEP_1) | instskip(NEXT) | instid1(VALU_DEP_1)
	v_add_f32_e32 v88, 1.0, v88
	v_rcp_f32_e32 v88, v88
	s_waitcnt_depctr 0xfff
	v_fma_f32 v251, v88, -2.0, 1.0
.LBB25_525:                             ;   in Loop: Header=BB25_511 Depth=2
	s_and_not1_saveexec_b32 s1, s1
; %bb.526:                              ;   in Loop: Header=BB25_511 Depth=2
	v_mul_f32_e32 v88, v99, v99
	s_delay_alu instid0(VALU_DEP_1) | instskip(NEXT) | instid1(VALU_DEP_1)
	v_fmaak_f32 v89, s51, v88, 0x3ca908c9
	v_fmaak_f32 v89, v88, v89, 0xbd5c1c4e
	s_delay_alu instid0(VALU_DEP_1) | instskip(NEXT) | instid1(VALU_DEP_1)
	v_fmaak_f32 v89, v88, v89, 0x3e088382
	v_fmaak_f32 v89, v88, v89, 0xbeaaaa99
	s_delay_alu instid0(VALU_DEP_1) | instskip(NEXT) | instid1(VALU_DEP_1)
	v_mul_f32_e64 v89, |v99|, v89
	v_fma_f32 v251, v88, v89, |v99|
; %bb.527:                              ;   in Loop: Header=BB25_511 Depth=2
	s_or_b32 exec_lo, exec_lo, s1
	v_cmp_ngt_f32_e64 s1, 0x3f200000, |v100|
                                        ; implicit-def: $vgpr88
                                        ; kill: killed $vgpr88
	s_delay_alu instid0(VALU_DEP_1) | instskip(NEXT) | instid1(SALU_CYCLE_1)
	s_and_saveexec_b32 s2, s1
	s_xor_b32 s1, exec_lo, s2
	s_cbranch_execz .LBB25_529
; %bb.528:                              ;   in Loop: Header=BB25_511 Depth=2
	v_add_f32_e64 v88, |v100|, |v100|
	s_delay_alu instid0(VALU_DEP_1) | instskip(SKIP_1) | instid1(VALU_DEP_2)
	v_mul_f32_e32 v89, 0x3fb8aa3b, v88
	v_cmp_ngt_f32_e32 vcc_lo, 0xc2ce8ed0, v88
	v_rndne_f32_e32 v90, v89
	v_fma_f32 v91, 0x3fb8aa3b, v88, -v89
	s_delay_alu instid0(VALU_DEP_2) | instskip(NEXT) | instid1(VALU_DEP_2)
	v_sub_f32_e32 v89, v89, v90
	v_fmac_f32_e32 v91, 0x32a5705f, v88
	v_cvt_i32_f32_e32 v90, v90
	s_delay_alu instid0(VALU_DEP_2) | instskip(NEXT) | instid1(VALU_DEP_1)
	v_add_f32_e32 v89, v89, v91
	v_exp_f32_e32 v89, v89
	s_waitcnt_depctr 0xfff
	v_ldexp_f32 v89, v89, v90
	s_delay_alu instid0(VALU_DEP_1) | instskip(SKIP_1) | instid1(VALU_DEP_2)
	v_cndmask_b32_e32 v89, 0, v89, vcc_lo
	v_cmp_nlt_f32_e32 vcc_lo, 0x42b17218, v88
	v_cndmask_b32_e32 v88, 0x7f800000, v89, vcc_lo
	s_delay_alu instid0(VALU_DEP_1) | instskip(NEXT) | instid1(VALU_DEP_1)
	v_add_f32_e32 v88, 1.0, v88
	v_rcp_f32_e32 v88, v88
	s_waitcnt_depctr 0xfff
	v_fma_f32 v88, v88, -2.0, 1.0
	scratch_store_b32 off, v88, off offset:840 ; 4-byte Folded Spill
.LBB25_529:                             ;   in Loop: Header=BB25_511 Depth=2
	s_and_not1_saveexec_b32 s1, s1
	s_cbranch_execz .LBB25_531
; %bb.530:                              ;   in Loop: Header=BB25_511 Depth=2
	v_mul_f32_e32 v88, v100, v100
	s_delay_alu instid0(VALU_DEP_1) | instskip(NEXT) | instid1(VALU_DEP_1)
	v_fmaak_f32 v89, s51, v88, 0x3ca908c9
	v_fmaak_f32 v89, v88, v89, 0xbd5c1c4e
	s_delay_alu instid0(VALU_DEP_1) | instskip(NEXT) | instid1(VALU_DEP_1)
	v_fmaak_f32 v89, v88, v89, 0x3e088382
	v_fmaak_f32 v89, v88, v89, 0xbeaaaa99
	s_delay_alu instid0(VALU_DEP_1) | instskip(NEXT) | instid1(VALU_DEP_1)
	v_mul_f32_e64 v89, |v100|, v89
	v_fma_f32 v88, v88, v89, |v100|
	scratch_store_b32 off, v88, off offset:840 ; 4-byte Folded Spill
.LBB25_531:                             ;   in Loop: Header=BB25_511 Depth=2
	s_or_b32 exec_lo, exec_lo, s1
	v_cmp_ngt_f32_e64 s1, 0x3f200000, |v101|
                                        ; implicit-def: $vgpr88
                                        ; kill: killed $vgpr88
	s_delay_alu instid0(VALU_DEP_1) | instskip(NEXT) | instid1(SALU_CYCLE_1)
	s_and_saveexec_b32 s2, s1
	s_xor_b32 s1, exec_lo, s2
	s_cbranch_execz .LBB25_533
; %bb.532:                              ;   in Loop: Header=BB25_511 Depth=2
	v_add_f32_e64 v88, |v101|, |v101|
	s_delay_alu instid0(VALU_DEP_1) | instskip(SKIP_1) | instid1(VALU_DEP_2)
	v_mul_f32_e32 v89, 0x3fb8aa3b, v88
	v_cmp_ngt_f32_e32 vcc_lo, 0xc2ce8ed0, v88
	v_rndne_f32_e32 v90, v89
	v_fma_f32 v91, 0x3fb8aa3b, v88, -v89
	s_delay_alu instid0(VALU_DEP_2) | instskip(NEXT) | instid1(VALU_DEP_2)
	v_sub_f32_e32 v89, v89, v90
	v_fmac_f32_e32 v91, 0x32a5705f, v88
	v_cvt_i32_f32_e32 v90, v90
	s_delay_alu instid0(VALU_DEP_2) | instskip(NEXT) | instid1(VALU_DEP_1)
	v_add_f32_e32 v89, v89, v91
	v_exp_f32_e32 v89, v89
	s_waitcnt_depctr 0xfff
	v_ldexp_f32 v89, v89, v90
	s_delay_alu instid0(VALU_DEP_1) | instskip(SKIP_1) | instid1(VALU_DEP_2)
	v_cndmask_b32_e32 v89, 0, v89, vcc_lo
	v_cmp_nlt_f32_e32 vcc_lo, 0x42b17218, v88
	v_cndmask_b32_e32 v88, 0x7f800000, v89, vcc_lo
	s_delay_alu instid0(VALU_DEP_1) | instskip(NEXT) | instid1(VALU_DEP_1)
	v_add_f32_e32 v88, 1.0, v88
	v_rcp_f32_e32 v88, v88
	s_waitcnt_depctr 0xfff
	v_fma_f32 v88, v88, -2.0, 1.0
	scratch_store_b32 off, v88, off offset:844 ; 4-byte Folded Spill
.LBB25_533:                             ;   in Loop: Header=BB25_511 Depth=2
	s_and_not1_saveexec_b32 s1, s1
	s_cbranch_execz .LBB25_535
; %bb.534:                              ;   in Loop: Header=BB25_511 Depth=2
	v_mul_f32_e32 v88, v101, v101
	s_delay_alu instid0(VALU_DEP_1) | instskip(NEXT) | instid1(VALU_DEP_1)
	v_fmaak_f32 v89, s51, v88, 0x3ca908c9
	v_fmaak_f32 v89, v88, v89, 0xbd5c1c4e
	s_delay_alu instid0(VALU_DEP_1) | instskip(NEXT) | instid1(VALU_DEP_1)
	v_fmaak_f32 v89, v88, v89, 0x3e088382
	v_fmaak_f32 v89, v88, v89, 0xbeaaaa99
	s_delay_alu instid0(VALU_DEP_1) | instskip(NEXT) | instid1(VALU_DEP_1)
	v_mul_f32_e64 v89, |v101|, v89
	v_fma_f32 v88, v88, v89, |v101|
	scratch_store_b32 off, v88, off offset:844 ; 4-byte Folded Spill
.LBB25_535:                             ;   in Loop: Header=BB25_511 Depth=2
	;; [unrolled: 50-line block ×4, first 2 shown]
	s_or_b32 exec_lo, exec_lo, s1
	s_clause 0x1
	scratch_load_b128 v[120:123], off, off offset:32
	scratch_load_b128 v[124:127], off, off offset:48
	v_dual_mov_b32 v95, s43 :: v_dual_mov_b32 v94, s42
	v_dual_mov_b32 v93, s41 :: v_dual_mov_b32 v92, s40
	;; [unrolled: 1-line block ×4, first 2 shown]
	s_waitcnt vmcnt(0)
	s_delay_alu instid0(VALU_DEP_1) | instskip(NEXT) | instid1(VALU_DEP_1)
	v_wmma_f32_16x16x16_f16 v[104:111], v[80:87], v[120:127], v[88:95]
	v_wmma_f32_16x16x16_f16 v[104:111], v[72:79], v[112:119], v[104:111]
	s_delay_alu instid0(VALU_DEP_1) | instskip(NEXT) | instid1(VALU_DEP_1)
	v_wmma_f32_16x16x16_f16 v[104:111], v[64:71], v[128:135], v[104:111]
	v_wmma_f32_16x16x16_f16 v[104:111], v[56:63], v[136:143], v[104:111]
	s_delay_alu instid0(VALU_DEP_1) | instskip(NEXT) | instid1(VALU_DEP_1)
	v_wmma_f32_16x16x16_f16 v[104:111], v[48:55], v[144:151], v[104:111]
	v_wmma_f32_16x16x16_f16 v[104:111], v[40:47], v[152:159], v[104:111]
	s_clause 0x1
	scratch_load_b128 v[40:43], off, off offset:64
	scratch_load_b128 v[44:47], off, off offset:80
	s_waitcnt vmcnt(0)
	v_wmma_f32_16x16x16_f16 v[104:111], v[32:39], v[40:47], v[104:111]
	s_clause 0x1
	scratch_load_b128 v[32:35], off, off offset:96
	scratch_load_b128 v[36:39], off, off offset:112
                                        ; implicit-def: $vgpr46
	s_waitcnt vmcnt(0)
	v_wmma_f32_16x16x16_f16 v[104:111], v[208:215], v[32:39], v[104:111]
	s_delay_alu instid0(VALU_DEP_1) | instskip(NEXT) | instid1(VALU_DEP_1)
	v_cmp_ngt_f32_e64 s1, 0x3f200000, |v104|
	s_and_saveexec_b32 s2, s1
	s_delay_alu instid0(SALU_CYCLE_1)
	s_xor_b32 s1, exec_lo, s2
	s_cbranch_execz .LBB25_545
; %bb.544:                              ;   in Loop: Header=BB25_511 Depth=2
	v_add_f32_e64 v32, |v104|, |v104|
	s_delay_alu instid0(VALU_DEP_1) | instskip(SKIP_1) | instid1(VALU_DEP_2)
	v_mul_f32_e32 v33, 0x3fb8aa3b, v32
	v_cmp_ngt_f32_e32 vcc_lo, 0xc2ce8ed0, v32
	v_rndne_f32_e32 v34, v33
	v_fma_f32 v35, 0x3fb8aa3b, v32, -v33
	s_delay_alu instid0(VALU_DEP_2) | instskip(NEXT) | instid1(VALU_DEP_2)
	v_sub_f32_e32 v33, v33, v34
	v_fmac_f32_e32 v35, 0x32a5705f, v32
	v_cvt_i32_f32_e32 v34, v34
	s_delay_alu instid0(VALU_DEP_2) | instskip(NEXT) | instid1(VALU_DEP_1)
	v_add_f32_e32 v33, v33, v35
	v_exp_f32_e32 v33, v33
	s_waitcnt_depctr 0xfff
	v_ldexp_f32 v33, v33, v34
	s_delay_alu instid0(VALU_DEP_1) | instskip(SKIP_1) | instid1(VALU_DEP_2)
	v_cndmask_b32_e32 v33, 0, v33, vcc_lo
	v_cmp_nlt_f32_e32 vcc_lo, 0x42b17218, v32
	v_cndmask_b32_e32 v32, 0x7f800000, v33, vcc_lo
	s_delay_alu instid0(VALU_DEP_1) | instskip(NEXT) | instid1(VALU_DEP_1)
	v_add_f32_e32 v32, 1.0, v32
	v_rcp_f32_e32 v32, v32
	s_waitcnt_depctr 0xfff
	v_fma_f32 v46, v32, -2.0, 1.0
.LBB25_545:                             ;   in Loop: Header=BB25_511 Depth=2
	s_and_not1_saveexec_b32 s1, s1
; %bb.546:                              ;   in Loop: Header=BB25_511 Depth=2
	v_mul_f32_e32 v32, v104, v104
	s_delay_alu instid0(VALU_DEP_1) | instskip(NEXT) | instid1(VALU_DEP_1)
	v_fmaak_f32 v33, s51, v32, 0x3ca908c9
	v_fmaak_f32 v33, v32, v33, 0xbd5c1c4e
	s_delay_alu instid0(VALU_DEP_1) | instskip(NEXT) | instid1(VALU_DEP_1)
	v_fmaak_f32 v33, v32, v33, 0x3e088382
	v_fmaak_f32 v33, v32, v33, 0xbeaaaa99
	s_delay_alu instid0(VALU_DEP_1) | instskip(NEXT) | instid1(VALU_DEP_1)
	v_mul_f32_e64 v33, |v104|, v33
	v_fma_f32 v46, v32, v33, |v104|
; %bb.547:                              ;   in Loop: Header=BB25_511 Depth=2
	s_or_b32 exec_lo, exec_lo, s1
	v_cmp_ngt_f32_e64 s1, 0x3f200000, |v105|
                                        ; implicit-def: $vgpr47
	s_delay_alu instid0(VALU_DEP_1) | instskip(NEXT) | instid1(SALU_CYCLE_1)
	s_and_saveexec_b32 s2, s1
	s_xor_b32 s1, exec_lo, s2
	s_cbranch_execz .LBB25_549
; %bb.548:                              ;   in Loop: Header=BB25_511 Depth=2
	v_add_f32_e64 v32, |v105|, |v105|
	s_delay_alu instid0(VALU_DEP_1) | instskip(SKIP_1) | instid1(VALU_DEP_2)
	v_mul_f32_e32 v33, 0x3fb8aa3b, v32
	v_cmp_ngt_f32_e32 vcc_lo, 0xc2ce8ed0, v32
	v_rndne_f32_e32 v34, v33
	v_fma_f32 v35, 0x3fb8aa3b, v32, -v33
	s_delay_alu instid0(VALU_DEP_2) | instskip(NEXT) | instid1(VALU_DEP_2)
	v_sub_f32_e32 v33, v33, v34
	v_fmac_f32_e32 v35, 0x32a5705f, v32
	v_cvt_i32_f32_e32 v34, v34
	s_delay_alu instid0(VALU_DEP_2) | instskip(NEXT) | instid1(VALU_DEP_1)
	v_add_f32_e32 v33, v33, v35
	v_exp_f32_e32 v33, v33
	s_waitcnt_depctr 0xfff
	v_ldexp_f32 v33, v33, v34
	s_delay_alu instid0(VALU_DEP_1) | instskip(SKIP_1) | instid1(VALU_DEP_2)
	v_cndmask_b32_e32 v33, 0, v33, vcc_lo
	v_cmp_nlt_f32_e32 vcc_lo, 0x42b17218, v32
	v_cndmask_b32_e32 v32, 0x7f800000, v33, vcc_lo
	s_delay_alu instid0(VALU_DEP_1) | instskip(NEXT) | instid1(VALU_DEP_1)
	v_add_f32_e32 v32, 1.0, v32
	v_rcp_f32_e32 v32, v32
	s_waitcnt_depctr 0xfff
	v_fma_f32 v47, v32, -2.0, 1.0
.LBB25_549:                             ;   in Loop: Header=BB25_511 Depth=2
	s_and_not1_saveexec_b32 s1, s1
; %bb.550:                              ;   in Loop: Header=BB25_511 Depth=2
	v_mul_f32_e32 v32, v105, v105
	s_delay_alu instid0(VALU_DEP_1) | instskip(NEXT) | instid1(VALU_DEP_1)
	v_fmaak_f32 v33, s51, v32, 0x3ca908c9
	v_fmaak_f32 v33, v32, v33, 0xbd5c1c4e
	s_delay_alu instid0(VALU_DEP_1) | instskip(NEXT) | instid1(VALU_DEP_1)
	v_fmaak_f32 v33, v32, v33, 0x3e088382
	v_fmaak_f32 v33, v32, v33, 0xbeaaaa99
	s_delay_alu instid0(VALU_DEP_1) | instskip(NEXT) | instid1(VALU_DEP_1)
	v_mul_f32_e64 v33, |v105|, v33
	v_fma_f32 v47, v32, v33, |v105|
; %bb.551:                              ;   in Loop: Header=BB25_511 Depth=2
	s_or_b32 exec_lo, exec_lo, s1
	v_cmp_ngt_f32_e64 s1, 0x3f200000, |v106|
                                        ; implicit-def: $vgpr50
	s_delay_alu instid0(VALU_DEP_1) | instskip(NEXT) | instid1(SALU_CYCLE_1)
	s_and_saveexec_b32 s2, s1
	s_xor_b32 s1, exec_lo, s2
	s_cbranch_execz .LBB25_553
; %bb.552:                              ;   in Loop: Header=BB25_511 Depth=2
	v_add_f32_e64 v32, |v106|, |v106|
	s_delay_alu instid0(VALU_DEP_1) | instskip(SKIP_1) | instid1(VALU_DEP_2)
	v_mul_f32_e32 v33, 0x3fb8aa3b, v32
	v_cmp_ngt_f32_e32 vcc_lo, 0xc2ce8ed0, v32
	v_rndne_f32_e32 v34, v33
	v_fma_f32 v35, 0x3fb8aa3b, v32, -v33
	s_delay_alu instid0(VALU_DEP_2) | instskip(NEXT) | instid1(VALU_DEP_2)
	v_sub_f32_e32 v33, v33, v34
	v_fmac_f32_e32 v35, 0x32a5705f, v32
	v_cvt_i32_f32_e32 v34, v34
	s_delay_alu instid0(VALU_DEP_2) | instskip(NEXT) | instid1(VALU_DEP_1)
	v_add_f32_e32 v33, v33, v35
	v_exp_f32_e32 v33, v33
	s_waitcnt_depctr 0xfff
	v_ldexp_f32 v33, v33, v34
	s_delay_alu instid0(VALU_DEP_1) | instskip(SKIP_1) | instid1(VALU_DEP_2)
	v_cndmask_b32_e32 v33, 0, v33, vcc_lo
	v_cmp_nlt_f32_e32 vcc_lo, 0x42b17218, v32
	v_cndmask_b32_e32 v32, 0x7f800000, v33, vcc_lo
	s_delay_alu instid0(VALU_DEP_1) | instskip(NEXT) | instid1(VALU_DEP_1)
	v_add_f32_e32 v32, 1.0, v32
	v_rcp_f32_e32 v32, v32
	s_waitcnt_depctr 0xfff
	v_fma_f32 v50, v32, -2.0, 1.0
.LBB25_553:                             ;   in Loop: Header=BB25_511 Depth=2
	s_and_not1_saveexec_b32 s1, s1
; %bb.554:                              ;   in Loop: Header=BB25_511 Depth=2
	v_mul_f32_e32 v32, v106, v106
	s_delay_alu instid0(VALU_DEP_1) | instskip(NEXT) | instid1(VALU_DEP_1)
	v_fmaak_f32 v33, s51, v32, 0x3ca908c9
	v_fmaak_f32 v33, v32, v33, 0xbd5c1c4e
	s_delay_alu instid0(VALU_DEP_1) | instskip(NEXT) | instid1(VALU_DEP_1)
	v_fmaak_f32 v33, v32, v33, 0x3e088382
	v_fmaak_f32 v33, v32, v33, 0xbeaaaa99
	s_delay_alu instid0(VALU_DEP_1) | instskip(NEXT) | instid1(VALU_DEP_1)
	v_mul_f32_e64 v33, |v106|, v33
	v_fma_f32 v50, v32, v33, |v106|
; %bb.555:                              ;   in Loop: Header=BB25_511 Depth=2
	s_or_b32 exec_lo, exec_lo, s1
	v_cmp_ngt_f32_e64 s1, 0x3f200000, |v107|
                                        ; implicit-def: $vgpr51
	s_delay_alu instid0(VALU_DEP_1) | instskip(NEXT) | instid1(SALU_CYCLE_1)
	s_and_saveexec_b32 s2, s1
	s_xor_b32 s1, exec_lo, s2
	s_cbranch_execz .LBB25_557
; %bb.556:                              ;   in Loop: Header=BB25_511 Depth=2
	v_add_f32_e64 v32, |v107|, |v107|
	s_delay_alu instid0(VALU_DEP_1) | instskip(SKIP_1) | instid1(VALU_DEP_2)
	v_mul_f32_e32 v33, 0x3fb8aa3b, v32
	v_cmp_ngt_f32_e32 vcc_lo, 0xc2ce8ed0, v32
	v_rndne_f32_e32 v34, v33
	v_fma_f32 v35, 0x3fb8aa3b, v32, -v33
	s_delay_alu instid0(VALU_DEP_2) | instskip(NEXT) | instid1(VALU_DEP_2)
	v_sub_f32_e32 v33, v33, v34
	v_fmac_f32_e32 v35, 0x32a5705f, v32
	v_cvt_i32_f32_e32 v34, v34
	s_delay_alu instid0(VALU_DEP_2) | instskip(NEXT) | instid1(VALU_DEP_1)
	v_add_f32_e32 v33, v33, v35
	v_exp_f32_e32 v33, v33
	s_waitcnt_depctr 0xfff
	v_ldexp_f32 v33, v33, v34
	s_delay_alu instid0(VALU_DEP_1) | instskip(SKIP_1) | instid1(VALU_DEP_2)
	v_cndmask_b32_e32 v33, 0, v33, vcc_lo
	v_cmp_nlt_f32_e32 vcc_lo, 0x42b17218, v32
	v_cndmask_b32_e32 v32, 0x7f800000, v33, vcc_lo
	s_delay_alu instid0(VALU_DEP_1) | instskip(NEXT) | instid1(VALU_DEP_1)
	v_add_f32_e32 v32, 1.0, v32
	v_rcp_f32_e32 v32, v32
	s_waitcnt_depctr 0xfff
	v_fma_f32 v51, v32, -2.0, 1.0
.LBB25_557:                             ;   in Loop: Header=BB25_511 Depth=2
	s_and_not1_saveexec_b32 s1, s1
; %bb.558:                              ;   in Loop: Header=BB25_511 Depth=2
	v_mul_f32_e32 v32, v107, v107
	s_delay_alu instid0(VALU_DEP_1) | instskip(NEXT) | instid1(VALU_DEP_1)
	v_fmaak_f32 v33, s51, v32, 0x3ca908c9
	v_fmaak_f32 v33, v32, v33, 0xbd5c1c4e
	s_delay_alu instid0(VALU_DEP_1) | instskip(NEXT) | instid1(VALU_DEP_1)
	v_fmaak_f32 v33, v32, v33, 0x3e088382
	v_fmaak_f32 v33, v32, v33, 0xbeaaaa99
	s_delay_alu instid0(VALU_DEP_1) | instskip(NEXT) | instid1(VALU_DEP_1)
	v_mul_f32_e64 v33, |v107|, v33
	v_fma_f32 v51, v32, v33, |v107|
; %bb.559:                              ;   in Loop: Header=BB25_511 Depth=2
	s_or_b32 exec_lo, exec_lo, s1
	v_cmp_ngt_f32_e64 s1, 0x3f200000, |v108|
                                        ; implicit-def: $vgpr53
	s_delay_alu instid0(VALU_DEP_1) | instskip(NEXT) | instid1(SALU_CYCLE_1)
	s_and_saveexec_b32 s2, s1
	s_xor_b32 s1, exec_lo, s2
	s_cbranch_execz .LBB25_561
; %bb.560:                              ;   in Loop: Header=BB25_511 Depth=2
	v_add_f32_e64 v32, |v108|, |v108|
	s_delay_alu instid0(VALU_DEP_1) | instskip(SKIP_1) | instid1(VALU_DEP_2)
	v_mul_f32_e32 v33, 0x3fb8aa3b, v32
	v_cmp_ngt_f32_e32 vcc_lo, 0xc2ce8ed0, v32
	v_rndne_f32_e32 v34, v33
	v_fma_f32 v35, 0x3fb8aa3b, v32, -v33
	s_delay_alu instid0(VALU_DEP_2) | instskip(NEXT) | instid1(VALU_DEP_2)
	v_sub_f32_e32 v33, v33, v34
	v_fmac_f32_e32 v35, 0x32a5705f, v32
	v_cvt_i32_f32_e32 v34, v34
	s_delay_alu instid0(VALU_DEP_2) | instskip(NEXT) | instid1(VALU_DEP_1)
	v_add_f32_e32 v33, v33, v35
	v_exp_f32_e32 v33, v33
	s_waitcnt_depctr 0xfff
	v_ldexp_f32 v33, v33, v34
	s_delay_alu instid0(VALU_DEP_1) | instskip(SKIP_1) | instid1(VALU_DEP_2)
	v_cndmask_b32_e32 v33, 0, v33, vcc_lo
	v_cmp_nlt_f32_e32 vcc_lo, 0x42b17218, v32
	v_cndmask_b32_e32 v32, 0x7f800000, v33, vcc_lo
	s_delay_alu instid0(VALU_DEP_1) | instskip(NEXT) | instid1(VALU_DEP_1)
	v_add_f32_e32 v32, 1.0, v32
	v_rcp_f32_e32 v32, v32
	s_waitcnt_depctr 0xfff
	v_fma_f32 v53, v32, -2.0, 1.0
.LBB25_561:                             ;   in Loop: Header=BB25_511 Depth=2
	s_and_not1_saveexec_b32 s1, s1
; %bb.562:                              ;   in Loop: Header=BB25_511 Depth=2
	v_mul_f32_e32 v32, v108, v108
	s_delay_alu instid0(VALU_DEP_1) | instskip(NEXT) | instid1(VALU_DEP_1)
	v_fmaak_f32 v33, s51, v32, 0x3ca908c9
	v_fmaak_f32 v33, v32, v33, 0xbd5c1c4e
	s_delay_alu instid0(VALU_DEP_1) | instskip(NEXT) | instid1(VALU_DEP_1)
	v_fmaak_f32 v33, v32, v33, 0x3e088382
	v_fmaak_f32 v33, v32, v33, 0xbeaaaa99
	s_delay_alu instid0(VALU_DEP_1) | instskip(NEXT) | instid1(VALU_DEP_1)
	v_mul_f32_e64 v33, |v108|, v33
	v_fma_f32 v53, v32, v33, |v108|
; %bb.563:                              ;   in Loop: Header=BB25_511 Depth=2
	s_or_b32 exec_lo, exec_lo, s1
	v_cmp_ngt_f32_e64 s1, 0x3f200000, |v109|
                                        ; implicit-def: $vgpr55
	s_delay_alu instid0(VALU_DEP_1) | instskip(NEXT) | instid1(SALU_CYCLE_1)
	s_and_saveexec_b32 s2, s1
	s_xor_b32 s1, exec_lo, s2
	s_cbranch_execz .LBB25_565
; %bb.564:                              ;   in Loop: Header=BB25_511 Depth=2
	v_add_f32_e64 v32, |v109|, |v109|
	s_delay_alu instid0(VALU_DEP_1) | instskip(SKIP_1) | instid1(VALU_DEP_2)
	v_mul_f32_e32 v33, 0x3fb8aa3b, v32
	v_cmp_ngt_f32_e32 vcc_lo, 0xc2ce8ed0, v32
	v_rndne_f32_e32 v34, v33
	v_fma_f32 v35, 0x3fb8aa3b, v32, -v33
	s_delay_alu instid0(VALU_DEP_2) | instskip(NEXT) | instid1(VALU_DEP_2)
	v_sub_f32_e32 v33, v33, v34
	v_fmac_f32_e32 v35, 0x32a5705f, v32
	v_cvt_i32_f32_e32 v34, v34
	s_delay_alu instid0(VALU_DEP_2) | instskip(NEXT) | instid1(VALU_DEP_1)
	v_add_f32_e32 v33, v33, v35
	v_exp_f32_e32 v33, v33
	s_waitcnt_depctr 0xfff
	v_ldexp_f32 v33, v33, v34
	s_delay_alu instid0(VALU_DEP_1) | instskip(SKIP_1) | instid1(VALU_DEP_2)
	v_cndmask_b32_e32 v33, 0, v33, vcc_lo
	v_cmp_nlt_f32_e32 vcc_lo, 0x42b17218, v32
	v_cndmask_b32_e32 v32, 0x7f800000, v33, vcc_lo
	s_delay_alu instid0(VALU_DEP_1) | instskip(NEXT) | instid1(VALU_DEP_1)
	v_add_f32_e32 v32, 1.0, v32
	v_rcp_f32_e32 v32, v32
	s_waitcnt_depctr 0xfff
	v_fma_f32 v55, v32, -2.0, 1.0
.LBB25_565:                             ;   in Loop: Header=BB25_511 Depth=2
	s_and_not1_saveexec_b32 s1, s1
; %bb.566:                              ;   in Loop: Header=BB25_511 Depth=2
	v_mul_f32_e32 v32, v109, v109
	s_delay_alu instid0(VALU_DEP_1) | instskip(NEXT) | instid1(VALU_DEP_1)
	v_fmaak_f32 v33, s51, v32, 0x3ca908c9
	v_fmaak_f32 v33, v32, v33, 0xbd5c1c4e
	s_delay_alu instid0(VALU_DEP_1) | instskip(NEXT) | instid1(VALU_DEP_1)
	v_fmaak_f32 v33, v32, v33, 0x3e088382
	v_fmaak_f32 v33, v32, v33, 0xbeaaaa99
	s_delay_alu instid0(VALU_DEP_1) | instskip(NEXT) | instid1(VALU_DEP_1)
	v_mul_f32_e64 v33, |v109|, v33
	v_fma_f32 v55, v32, v33, |v109|
; %bb.567:                              ;   in Loop: Header=BB25_511 Depth=2
	s_or_b32 exec_lo, exec_lo, s1
	v_cmp_ngt_f32_e64 s1, 0x3f200000, |v110|
                                        ; implicit-def: $vgpr60
	s_delay_alu instid0(VALU_DEP_1) | instskip(NEXT) | instid1(SALU_CYCLE_1)
	s_and_saveexec_b32 s2, s1
	s_xor_b32 s1, exec_lo, s2
	s_cbranch_execz .LBB25_569
; %bb.568:                              ;   in Loop: Header=BB25_511 Depth=2
	v_add_f32_e64 v32, |v110|, |v110|
	s_delay_alu instid0(VALU_DEP_1) | instskip(SKIP_1) | instid1(VALU_DEP_2)
	v_mul_f32_e32 v33, 0x3fb8aa3b, v32
	v_cmp_ngt_f32_e32 vcc_lo, 0xc2ce8ed0, v32
	v_rndne_f32_e32 v34, v33
	v_fma_f32 v35, 0x3fb8aa3b, v32, -v33
	s_delay_alu instid0(VALU_DEP_2) | instskip(NEXT) | instid1(VALU_DEP_2)
	v_sub_f32_e32 v33, v33, v34
	v_fmac_f32_e32 v35, 0x32a5705f, v32
	v_cvt_i32_f32_e32 v34, v34
	s_delay_alu instid0(VALU_DEP_2) | instskip(NEXT) | instid1(VALU_DEP_1)
	v_add_f32_e32 v33, v33, v35
	v_exp_f32_e32 v33, v33
	s_waitcnt_depctr 0xfff
	v_ldexp_f32 v33, v33, v34
	s_delay_alu instid0(VALU_DEP_1) | instskip(SKIP_1) | instid1(VALU_DEP_2)
	v_cndmask_b32_e32 v33, 0, v33, vcc_lo
	v_cmp_nlt_f32_e32 vcc_lo, 0x42b17218, v32
	v_cndmask_b32_e32 v32, 0x7f800000, v33, vcc_lo
	s_delay_alu instid0(VALU_DEP_1) | instskip(NEXT) | instid1(VALU_DEP_1)
	v_add_f32_e32 v32, 1.0, v32
	v_rcp_f32_e32 v32, v32
	s_waitcnt_depctr 0xfff
	v_fma_f32 v60, v32, -2.0, 1.0
.LBB25_569:                             ;   in Loop: Header=BB25_511 Depth=2
	s_and_not1_saveexec_b32 s1, s1
; %bb.570:                              ;   in Loop: Header=BB25_511 Depth=2
	v_mul_f32_e32 v32, v110, v110
	s_delay_alu instid0(VALU_DEP_1) | instskip(NEXT) | instid1(VALU_DEP_1)
	v_fmaak_f32 v33, s51, v32, 0x3ca908c9
	v_fmaak_f32 v33, v32, v33, 0xbd5c1c4e
	s_delay_alu instid0(VALU_DEP_1) | instskip(NEXT) | instid1(VALU_DEP_1)
	v_fmaak_f32 v33, v32, v33, 0x3e088382
	v_fmaak_f32 v33, v32, v33, 0xbeaaaa99
	s_delay_alu instid0(VALU_DEP_1) | instskip(NEXT) | instid1(VALU_DEP_1)
	v_mul_f32_e64 v33, |v110|, v33
	v_fma_f32 v60, v32, v33, |v110|
; %bb.571:                              ;   in Loop: Header=BB25_511 Depth=2
	s_or_b32 exec_lo, exec_lo, s1
	v_cmp_ngt_f32_e64 s1, 0x3f200000, |v111|
                                        ; implicit-def: $vgpr52
	s_delay_alu instid0(VALU_DEP_1) | instskip(NEXT) | instid1(SALU_CYCLE_1)
	s_and_saveexec_b32 s2, s1
	s_xor_b32 s1, exec_lo, s2
	s_cbranch_execz .LBB25_573
; %bb.572:                              ;   in Loop: Header=BB25_511 Depth=2
	v_add_f32_e64 v32, |v111|, |v111|
	s_delay_alu instid0(VALU_DEP_1) | instskip(SKIP_1) | instid1(VALU_DEP_2)
	v_mul_f32_e32 v33, 0x3fb8aa3b, v32
	v_cmp_ngt_f32_e32 vcc_lo, 0xc2ce8ed0, v32
	v_rndne_f32_e32 v34, v33
	v_fma_f32 v35, 0x3fb8aa3b, v32, -v33
	s_delay_alu instid0(VALU_DEP_2) | instskip(NEXT) | instid1(VALU_DEP_2)
	v_sub_f32_e32 v33, v33, v34
	v_fmac_f32_e32 v35, 0x32a5705f, v32
	v_cvt_i32_f32_e32 v34, v34
	s_delay_alu instid0(VALU_DEP_2) | instskip(NEXT) | instid1(VALU_DEP_1)
	v_add_f32_e32 v33, v33, v35
	v_exp_f32_e32 v33, v33
	s_waitcnt_depctr 0xfff
	v_ldexp_f32 v33, v33, v34
	s_delay_alu instid0(VALU_DEP_1) | instskip(SKIP_1) | instid1(VALU_DEP_2)
	v_cndmask_b32_e32 v33, 0, v33, vcc_lo
	v_cmp_nlt_f32_e32 vcc_lo, 0x42b17218, v32
	v_cndmask_b32_e32 v32, 0x7f800000, v33, vcc_lo
	s_delay_alu instid0(VALU_DEP_1) | instskip(NEXT) | instid1(VALU_DEP_1)
	v_add_f32_e32 v32, 1.0, v32
	v_rcp_f32_e32 v32, v32
	s_waitcnt_depctr 0xfff
	v_fma_f32 v52, v32, -2.0, 1.0
.LBB25_573:                             ;   in Loop: Header=BB25_511 Depth=2
	s_and_not1_saveexec_b32 s1, s1
; %bb.574:                              ;   in Loop: Header=BB25_511 Depth=2
	v_mul_f32_e32 v32, v111, v111
	s_delay_alu instid0(VALU_DEP_1) | instskip(NEXT) | instid1(VALU_DEP_1)
	v_fmaak_f32 v33, s51, v32, 0x3ca908c9
	v_fmaak_f32 v33, v32, v33, 0xbd5c1c4e
	s_delay_alu instid0(VALU_DEP_1) | instskip(NEXT) | instid1(VALU_DEP_1)
	v_fmaak_f32 v33, v32, v33, 0x3e088382
	v_fmaak_f32 v33, v32, v33, 0xbeaaaa99
	s_delay_alu instid0(VALU_DEP_1) | instskip(NEXT) | instid1(VALU_DEP_1)
	v_mul_f32_e64 v33, |v111|, v33
	v_fma_f32 v52, v32, v33, |v111|
; %bb.575:                              ;   in Loop: Header=BB25_511 Depth=2
	s_or_b32 exec_lo, exec_lo, s1
	s_clause 0x1
	scratch_load_b128 v[61:64], off, off offset:32
	scratch_load_b128 v[65:68], off, off offset:48
	v_dual_mov_b32 v32, s36 :: v_dual_mov_b32 v33, s37
	v_dual_mov_b32 v34, s38 :: v_dual_mov_b32 v35, s39
	;; [unrolled: 1-line block ×4, first 2 shown]
                                        ; implicit-def: $vgpr41
	s_waitcnt vmcnt(0)
	s_delay_alu instid0(VALU_DEP_1)
	v_wmma_f32_16x16x16_f16 v[208:215], v[240:247], v[61:68], v[32:39]
	s_clause 0x1
	scratch_load_b128 v[32:35], off, off offset:64
	scratch_load_b128 v[36:39], off, off offset:80
	v_dual_mov_b32 v247, v68 :: v_dual_mov_b32 v246, v67
	v_wmma_f32_16x16x16_f16 v[208:215], v[232:239], v[112:119], v[208:215]
	v_dual_mov_b32 v239, v119 :: v_dual_mov_b32 v238, v118
	v_dual_mov_b32 v245, v66 :: v_dual_mov_b32 v244, v65
	s_delay_alu instid0(VALU_DEP_3) | instskip(SKIP_2) | instid1(VALU_DEP_3)
	v_wmma_f32_16x16x16_f16 v[208:215], v[224:231], v[128:135], v[208:215]
	v_dual_mov_b32 v231, v135 :: v_dual_mov_b32 v230, v134
	v_dual_mov_b32 v243, v64 :: v_dual_mov_b32 v242, v63
	v_wmma_f32_16x16x16_f16 v[208:215], v[216:223], v[136:143], v[208:215]
	v_dual_mov_b32 v223, v143 :: v_dual_mov_b32 v222, v142
	v_dual_mov_b32 v241, v62 :: v_dual_mov_b32 v240, v61
	s_delay_alu instid0(VALU_DEP_3) | instskip(SKIP_2) | instid1(VALU_DEP_3)
	v_wmma_f32_16x16x16_f16 v[208:215], v[200:207], v[144:151], v[208:215]
	v_dual_mov_b32 v207, v151 :: v_dual_mov_b32 v206, v150
	v_dual_mov_b32 v237, v117 :: v_dual_mov_b32 v236, v116
	v_wmma_f32_16x16x16_f16 v[208:215], v[192:199], v[152:159], v[208:215]
	v_dual_mov_b32 v199, v159 :: v_dual_mov_b32 v198, v158
	v_dual_mov_b32 v235, v115 :: v_dual_mov_b32 v234, v114
	;; [unrolled: 1-line block ×15, first 2 shown]
	s_waitcnt vmcnt(0)
	v_wmma_f32_16x16x16_f16 v[208:215], v[184:191], v[32:39], v[208:215]
	v_dual_mov_b32 v191, v39 :: v_dual_mov_b32 v190, v38
	v_dual_mov_b32 v189, v37 :: v_dual_mov_b32 v188, v36
	;; [unrolled: 1-line block ×4, first 2 shown]
	s_clause 0x1
	scratch_load_b128 v[32:35], off, off offset:96
	scratch_load_b128 v[36:39], off, off offset:112
	s_waitcnt vmcnt(0)
	v_wmma_f32_16x16x16_f16 v[208:215], v[176:183], v[32:39], v[208:215]
	v_dual_mov_b32 v183, v39 :: v_dual_mov_b32 v182, v38
	v_dual_mov_b32 v181, v37 :: v_dual_mov_b32 v180, v36
	;; [unrolled: 1-line block ×4, first 2 shown]
	v_cmp_ngt_f32_e64 s1, 0x3f200000, |v208|
	s_delay_alu instid0(VALU_DEP_1) | instskip(NEXT) | instid1(SALU_CYCLE_1)
	s_and_saveexec_b32 s2, s1
	s_xor_b32 s1, exec_lo, s2
	s_cbranch_execz .LBB25_577
; %bb.576:                              ;   in Loop: Header=BB25_511 Depth=2
	v_add_f32_e64 v32, |v208|, |v208|
	s_delay_alu instid0(VALU_DEP_1) | instskip(SKIP_1) | instid1(VALU_DEP_2)
	v_mul_f32_e32 v33, 0x3fb8aa3b, v32
	v_cmp_ngt_f32_e32 vcc_lo, 0xc2ce8ed0, v32
	v_rndne_f32_e32 v34, v33
	v_fma_f32 v35, 0x3fb8aa3b, v32, -v33
	s_delay_alu instid0(VALU_DEP_2) | instskip(NEXT) | instid1(VALU_DEP_2)
	v_sub_f32_e32 v33, v33, v34
	v_fmac_f32_e32 v35, 0x32a5705f, v32
	v_cvt_i32_f32_e32 v34, v34
	s_delay_alu instid0(VALU_DEP_2) | instskip(NEXT) | instid1(VALU_DEP_1)
	v_add_f32_e32 v33, v33, v35
	v_exp_f32_e32 v33, v33
	s_waitcnt_depctr 0xfff
	v_ldexp_f32 v33, v33, v34
	s_delay_alu instid0(VALU_DEP_1) | instskip(SKIP_1) | instid1(VALU_DEP_2)
	v_cndmask_b32_e32 v33, 0, v33, vcc_lo
	v_cmp_nlt_f32_e32 vcc_lo, 0x42b17218, v32
	v_cndmask_b32_e32 v32, 0x7f800000, v33, vcc_lo
	s_delay_alu instid0(VALU_DEP_1) | instskip(NEXT) | instid1(VALU_DEP_1)
	v_add_f32_e32 v32, 1.0, v32
	v_rcp_f32_e32 v32, v32
	s_waitcnt_depctr 0xfff
	v_fma_f32 v41, v32, -2.0, 1.0
.LBB25_577:                             ;   in Loop: Header=BB25_511 Depth=2
	s_and_not1_saveexec_b32 s1, s1
; %bb.578:                              ;   in Loop: Header=BB25_511 Depth=2
	v_mul_f32_e32 v32, v208, v208
	s_delay_alu instid0(VALU_DEP_1) | instskip(NEXT) | instid1(VALU_DEP_1)
	v_fmaak_f32 v33, s51, v32, 0x3ca908c9
	v_fmaak_f32 v33, v32, v33, 0xbd5c1c4e
	s_delay_alu instid0(VALU_DEP_1) | instskip(NEXT) | instid1(VALU_DEP_1)
	v_fmaak_f32 v33, v32, v33, 0x3e088382
	v_fmaak_f32 v33, v32, v33, 0xbeaaaa99
	s_delay_alu instid0(VALU_DEP_1) | instskip(NEXT) | instid1(VALU_DEP_1)
	v_mul_f32_e64 v33, |v208|, v33
	v_fma_f32 v41, v32, v33, |v208|
; %bb.579:                              ;   in Loop: Header=BB25_511 Depth=2
	s_or_b32 exec_lo, exec_lo, s1
	v_cmp_ngt_f32_e64 s1, 0x3f200000, |v209|
                                        ; implicit-def: $vgpr42
	s_delay_alu instid0(VALU_DEP_1) | instskip(NEXT) | instid1(SALU_CYCLE_1)
	s_and_saveexec_b32 s2, s1
	s_xor_b32 s1, exec_lo, s2
	s_cbranch_execz .LBB25_581
; %bb.580:                              ;   in Loop: Header=BB25_511 Depth=2
	v_add_f32_e64 v32, |v209|, |v209|
	s_delay_alu instid0(VALU_DEP_1) | instskip(SKIP_1) | instid1(VALU_DEP_2)
	v_mul_f32_e32 v33, 0x3fb8aa3b, v32
	v_cmp_ngt_f32_e32 vcc_lo, 0xc2ce8ed0, v32
	v_rndne_f32_e32 v34, v33
	v_fma_f32 v35, 0x3fb8aa3b, v32, -v33
	s_delay_alu instid0(VALU_DEP_2) | instskip(NEXT) | instid1(VALU_DEP_2)
	v_sub_f32_e32 v33, v33, v34
	v_fmac_f32_e32 v35, 0x32a5705f, v32
	v_cvt_i32_f32_e32 v34, v34
	s_delay_alu instid0(VALU_DEP_2) | instskip(NEXT) | instid1(VALU_DEP_1)
	v_add_f32_e32 v33, v33, v35
	v_exp_f32_e32 v33, v33
	s_waitcnt_depctr 0xfff
	v_ldexp_f32 v33, v33, v34
	s_delay_alu instid0(VALU_DEP_1) | instskip(SKIP_1) | instid1(VALU_DEP_2)
	v_cndmask_b32_e32 v33, 0, v33, vcc_lo
	v_cmp_nlt_f32_e32 vcc_lo, 0x42b17218, v32
	v_cndmask_b32_e32 v32, 0x7f800000, v33, vcc_lo
	s_delay_alu instid0(VALU_DEP_1) | instskip(NEXT) | instid1(VALU_DEP_1)
	v_add_f32_e32 v32, 1.0, v32
	v_rcp_f32_e32 v32, v32
	s_waitcnt_depctr 0xfff
	v_fma_f32 v42, v32, -2.0, 1.0
.LBB25_581:                             ;   in Loop: Header=BB25_511 Depth=2
	s_and_not1_saveexec_b32 s1, s1
; %bb.582:                              ;   in Loop: Header=BB25_511 Depth=2
	v_mul_f32_e32 v32, v209, v209
	s_delay_alu instid0(VALU_DEP_1) | instskip(NEXT) | instid1(VALU_DEP_1)
	v_fmaak_f32 v33, s51, v32, 0x3ca908c9
	v_fmaak_f32 v33, v32, v33, 0xbd5c1c4e
	s_delay_alu instid0(VALU_DEP_1) | instskip(NEXT) | instid1(VALU_DEP_1)
	v_fmaak_f32 v33, v32, v33, 0x3e088382
	v_fmaak_f32 v33, v32, v33, 0xbeaaaa99
	s_delay_alu instid0(VALU_DEP_1) | instskip(NEXT) | instid1(VALU_DEP_1)
	v_mul_f32_e64 v33, |v209|, v33
	v_fma_f32 v42, v32, v33, |v209|
; %bb.583:                              ;   in Loop: Header=BB25_511 Depth=2
	s_or_b32 exec_lo, exec_lo, s1
	v_cmp_ngt_f32_e64 s1, 0x3f200000, |v210|
                                        ; implicit-def: $vgpr43
	s_delay_alu instid0(VALU_DEP_1) | instskip(NEXT) | instid1(SALU_CYCLE_1)
	s_and_saveexec_b32 s2, s1
	s_xor_b32 s1, exec_lo, s2
	s_cbranch_execz .LBB25_585
; %bb.584:                              ;   in Loop: Header=BB25_511 Depth=2
	v_add_f32_e64 v32, |v210|, |v210|
	s_delay_alu instid0(VALU_DEP_1) | instskip(SKIP_1) | instid1(VALU_DEP_2)
	v_mul_f32_e32 v33, 0x3fb8aa3b, v32
	v_cmp_ngt_f32_e32 vcc_lo, 0xc2ce8ed0, v32
	v_rndne_f32_e32 v34, v33
	v_fma_f32 v35, 0x3fb8aa3b, v32, -v33
	s_delay_alu instid0(VALU_DEP_2) | instskip(NEXT) | instid1(VALU_DEP_2)
	v_sub_f32_e32 v33, v33, v34
	v_fmac_f32_e32 v35, 0x32a5705f, v32
	v_cvt_i32_f32_e32 v34, v34
	s_delay_alu instid0(VALU_DEP_2) | instskip(NEXT) | instid1(VALU_DEP_1)
	v_add_f32_e32 v33, v33, v35
	v_exp_f32_e32 v33, v33
	s_waitcnt_depctr 0xfff
	v_ldexp_f32 v33, v33, v34
	s_delay_alu instid0(VALU_DEP_1) | instskip(SKIP_1) | instid1(VALU_DEP_2)
	v_cndmask_b32_e32 v33, 0, v33, vcc_lo
	v_cmp_nlt_f32_e32 vcc_lo, 0x42b17218, v32
	v_cndmask_b32_e32 v32, 0x7f800000, v33, vcc_lo
	s_delay_alu instid0(VALU_DEP_1) | instskip(NEXT) | instid1(VALU_DEP_1)
	v_add_f32_e32 v32, 1.0, v32
	v_rcp_f32_e32 v32, v32
	s_waitcnt_depctr 0xfff
	v_fma_f32 v43, v32, -2.0, 1.0
.LBB25_585:                             ;   in Loop: Header=BB25_511 Depth=2
	s_and_not1_saveexec_b32 s1, s1
; %bb.586:                              ;   in Loop: Header=BB25_511 Depth=2
	v_mul_f32_e32 v32, v210, v210
	s_delay_alu instid0(VALU_DEP_1) | instskip(NEXT) | instid1(VALU_DEP_1)
	v_fmaak_f32 v33, s51, v32, 0x3ca908c9
	v_fmaak_f32 v33, v32, v33, 0xbd5c1c4e
	s_delay_alu instid0(VALU_DEP_1) | instskip(NEXT) | instid1(VALU_DEP_1)
	v_fmaak_f32 v33, v32, v33, 0x3e088382
	v_fmaak_f32 v33, v32, v33, 0xbeaaaa99
	s_delay_alu instid0(VALU_DEP_1) | instskip(NEXT) | instid1(VALU_DEP_1)
	v_mul_f32_e64 v33, |v210|, v33
	v_fma_f32 v43, v32, v33, |v210|
; %bb.587:                              ;   in Loop: Header=BB25_511 Depth=2
	s_or_b32 exec_lo, exec_lo, s1
	v_cmp_ngt_f32_e64 s1, 0x3f200000, |v211|
                                        ; implicit-def: $vgpr45
	s_delay_alu instid0(VALU_DEP_1) | instskip(NEXT) | instid1(SALU_CYCLE_1)
	s_and_saveexec_b32 s2, s1
	s_xor_b32 s1, exec_lo, s2
	s_cbranch_execz .LBB25_589
; %bb.588:                              ;   in Loop: Header=BB25_511 Depth=2
	v_add_f32_e64 v32, |v211|, |v211|
	s_delay_alu instid0(VALU_DEP_1) | instskip(SKIP_1) | instid1(VALU_DEP_2)
	v_mul_f32_e32 v33, 0x3fb8aa3b, v32
	v_cmp_ngt_f32_e32 vcc_lo, 0xc2ce8ed0, v32
	v_rndne_f32_e32 v34, v33
	v_fma_f32 v35, 0x3fb8aa3b, v32, -v33
	s_delay_alu instid0(VALU_DEP_2) | instskip(NEXT) | instid1(VALU_DEP_2)
	v_sub_f32_e32 v33, v33, v34
	v_fmac_f32_e32 v35, 0x32a5705f, v32
	v_cvt_i32_f32_e32 v34, v34
	s_delay_alu instid0(VALU_DEP_2) | instskip(NEXT) | instid1(VALU_DEP_1)
	v_add_f32_e32 v33, v33, v35
	v_exp_f32_e32 v33, v33
	s_waitcnt_depctr 0xfff
	v_ldexp_f32 v33, v33, v34
	s_delay_alu instid0(VALU_DEP_1) | instskip(SKIP_1) | instid1(VALU_DEP_2)
	v_cndmask_b32_e32 v33, 0, v33, vcc_lo
	v_cmp_nlt_f32_e32 vcc_lo, 0x42b17218, v32
	v_cndmask_b32_e32 v32, 0x7f800000, v33, vcc_lo
	s_delay_alu instid0(VALU_DEP_1) | instskip(NEXT) | instid1(VALU_DEP_1)
	v_add_f32_e32 v32, 1.0, v32
	v_rcp_f32_e32 v32, v32
	s_waitcnt_depctr 0xfff
	v_fma_f32 v45, v32, -2.0, 1.0
.LBB25_589:                             ;   in Loop: Header=BB25_511 Depth=2
	s_and_not1_saveexec_b32 s1, s1
; %bb.590:                              ;   in Loop: Header=BB25_511 Depth=2
	v_mul_f32_e32 v32, v211, v211
	s_delay_alu instid0(VALU_DEP_1) | instskip(NEXT) | instid1(VALU_DEP_1)
	v_fmaak_f32 v33, s51, v32, 0x3ca908c9
	v_fmaak_f32 v33, v32, v33, 0xbd5c1c4e
	s_delay_alu instid0(VALU_DEP_1) | instskip(NEXT) | instid1(VALU_DEP_1)
	v_fmaak_f32 v33, v32, v33, 0x3e088382
	v_fmaak_f32 v33, v32, v33, 0xbeaaaa99
	s_delay_alu instid0(VALU_DEP_1) | instskip(NEXT) | instid1(VALU_DEP_1)
	v_mul_f32_e64 v33, |v211|, v33
	v_fma_f32 v45, v32, v33, |v211|
; %bb.591:                              ;   in Loop: Header=BB25_511 Depth=2
	s_or_b32 exec_lo, exec_lo, s1
	v_cmp_ngt_f32_e64 s1, 0x3f200000, |v212|
                                        ; implicit-def: $vgpr54
	s_delay_alu instid0(VALU_DEP_1) | instskip(NEXT) | instid1(SALU_CYCLE_1)
	s_and_saveexec_b32 s2, s1
	s_xor_b32 s1, exec_lo, s2
	s_cbranch_execz .LBB25_593
; %bb.592:                              ;   in Loop: Header=BB25_511 Depth=2
	v_add_f32_e64 v32, |v212|, |v212|
	s_delay_alu instid0(VALU_DEP_1) | instskip(SKIP_1) | instid1(VALU_DEP_2)
	v_mul_f32_e32 v33, 0x3fb8aa3b, v32
	v_cmp_ngt_f32_e32 vcc_lo, 0xc2ce8ed0, v32
	v_rndne_f32_e32 v34, v33
	v_fma_f32 v35, 0x3fb8aa3b, v32, -v33
	s_delay_alu instid0(VALU_DEP_2) | instskip(NEXT) | instid1(VALU_DEP_2)
	v_sub_f32_e32 v33, v33, v34
	v_fmac_f32_e32 v35, 0x32a5705f, v32
	v_cvt_i32_f32_e32 v34, v34
	s_delay_alu instid0(VALU_DEP_2) | instskip(NEXT) | instid1(VALU_DEP_1)
	v_add_f32_e32 v33, v33, v35
	v_exp_f32_e32 v33, v33
	s_waitcnt_depctr 0xfff
	v_ldexp_f32 v33, v33, v34
	s_delay_alu instid0(VALU_DEP_1) | instskip(SKIP_1) | instid1(VALU_DEP_2)
	v_cndmask_b32_e32 v33, 0, v33, vcc_lo
	v_cmp_nlt_f32_e32 vcc_lo, 0x42b17218, v32
	v_cndmask_b32_e32 v32, 0x7f800000, v33, vcc_lo
	s_delay_alu instid0(VALU_DEP_1) | instskip(NEXT) | instid1(VALU_DEP_1)
	v_add_f32_e32 v32, 1.0, v32
	v_rcp_f32_e32 v32, v32
	s_waitcnt_depctr 0xfff
	v_fma_f32 v54, v32, -2.0, 1.0
.LBB25_593:                             ;   in Loop: Header=BB25_511 Depth=2
	s_and_not1_saveexec_b32 s1, s1
; %bb.594:                              ;   in Loop: Header=BB25_511 Depth=2
	v_mul_f32_e32 v32, v212, v212
	s_delay_alu instid0(VALU_DEP_1) | instskip(NEXT) | instid1(VALU_DEP_1)
	v_fmaak_f32 v33, s51, v32, 0x3ca908c9
	v_fmaak_f32 v33, v32, v33, 0xbd5c1c4e
	s_delay_alu instid0(VALU_DEP_1) | instskip(NEXT) | instid1(VALU_DEP_1)
	v_fmaak_f32 v33, v32, v33, 0x3e088382
	v_fmaak_f32 v33, v32, v33, 0xbeaaaa99
	s_delay_alu instid0(VALU_DEP_1) | instskip(NEXT) | instid1(VALU_DEP_1)
	v_mul_f32_e64 v33, |v212|, v33
	v_fma_f32 v54, v32, v33, |v212|
; %bb.595:                              ;   in Loop: Header=BB25_511 Depth=2
	s_or_b32 exec_lo, exec_lo, s1
	v_cmp_ngt_f32_e64 s1, 0x3f200000, |v213|
                                        ; implicit-def: $vgpr56
	s_delay_alu instid0(VALU_DEP_1) | instskip(NEXT) | instid1(SALU_CYCLE_1)
	s_and_saveexec_b32 s2, s1
	s_xor_b32 s1, exec_lo, s2
	s_cbranch_execz .LBB25_597
; %bb.596:                              ;   in Loop: Header=BB25_511 Depth=2
	v_add_f32_e64 v32, |v213|, |v213|
	s_delay_alu instid0(VALU_DEP_1) | instskip(SKIP_1) | instid1(VALU_DEP_2)
	v_mul_f32_e32 v33, 0x3fb8aa3b, v32
	v_cmp_ngt_f32_e32 vcc_lo, 0xc2ce8ed0, v32
	v_rndne_f32_e32 v34, v33
	v_fma_f32 v35, 0x3fb8aa3b, v32, -v33
	s_delay_alu instid0(VALU_DEP_2) | instskip(NEXT) | instid1(VALU_DEP_2)
	v_sub_f32_e32 v33, v33, v34
	v_fmac_f32_e32 v35, 0x32a5705f, v32
	v_cvt_i32_f32_e32 v34, v34
	s_delay_alu instid0(VALU_DEP_2) | instskip(NEXT) | instid1(VALU_DEP_1)
	v_add_f32_e32 v33, v33, v35
	v_exp_f32_e32 v33, v33
	s_waitcnt_depctr 0xfff
	v_ldexp_f32 v33, v33, v34
	s_delay_alu instid0(VALU_DEP_1) | instskip(SKIP_1) | instid1(VALU_DEP_2)
	v_cndmask_b32_e32 v33, 0, v33, vcc_lo
	v_cmp_nlt_f32_e32 vcc_lo, 0x42b17218, v32
	v_cndmask_b32_e32 v32, 0x7f800000, v33, vcc_lo
	s_delay_alu instid0(VALU_DEP_1) | instskip(NEXT) | instid1(VALU_DEP_1)
	v_add_f32_e32 v32, 1.0, v32
	v_rcp_f32_e32 v32, v32
	s_waitcnt_depctr 0xfff
	v_fma_f32 v56, v32, -2.0, 1.0
.LBB25_597:                             ;   in Loop: Header=BB25_511 Depth=2
	s_and_not1_saveexec_b32 s1, s1
; %bb.598:                              ;   in Loop: Header=BB25_511 Depth=2
	v_mul_f32_e32 v32, v213, v213
	s_delay_alu instid0(VALU_DEP_1) | instskip(NEXT) | instid1(VALU_DEP_1)
	v_fmaak_f32 v33, s51, v32, 0x3ca908c9
	v_fmaak_f32 v33, v32, v33, 0xbd5c1c4e
	s_delay_alu instid0(VALU_DEP_1) | instskip(NEXT) | instid1(VALU_DEP_1)
	v_fmaak_f32 v33, v32, v33, 0x3e088382
	v_fmaak_f32 v33, v32, v33, 0xbeaaaa99
	s_delay_alu instid0(VALU_DEP_1) | instskip(NEXT) | instid1(VALU_DEP_1)
	v_mul_f32_e64 v33, |v213|, v33
	v_fma_f32 v56, v32, v33, |v213|
; %bb.599:                              ;   in Loop: Header=BB25_511 Depth=2
	s_or_b32 exec_lo, exec_lo, s1
	v_cmp_ngt_f32_e64 s1, 0x3f200000, |v214|
                                        ; implicit-def: $vgpr57
	s_delay_alu instid0(VALU_DEP_1) | instskip(NEXT) | instid1(SALU_CYCLE_1)
	s_and_saveexec_b32 s2, s1
	s_xor_b32 s1, exec_lo, s2
	s_cbranch_execz .LBB25_601
; %bb.600:                              ;   in Loop: Header=BB25_511 Depth=2
	v_add_f32_e64 v32, |v214|, |v214|
	s_delay_alu instid0(VALU_DEP_1) | instskip(SKIP_1) | instid1(VALU_DEP_2)
	v_mul_f32_e32 v33, 0x3fb8aa3b, v32
	v_cmp_ngt_f32_e32 vcc_lo, 0xc2ce8ed0, v32
	v_rndne_f32_e32 v34, v33
	v_fma_f32 v35, 0x3fb8aa3b, v32, -v33
	s_delay_alu instid0(VALU_DEP_2) | instskip(NEXT) | instid1(VALU_DEP_2)
	v_sub_f32_e32 v33, v33, v34
	v_fmac_f32_e32 v35, 0x32a5705f, v32
	v_cvt_i32_f32_e32 v34, v34
	s_delay_alu instid0(VALU_DEP_2) | instskip(NEXT) | instid1(VALU_DEP_1)
	v_add_f32_e32 v33, v33, v35
	v_exp_f32_e32 v33, v33
	s_waitcnt_depctr 0xfff
	v_ldexp_f32 v33, v33, v34
	s_delay_alu instid0(VALU_DEP_1) | instskip(SKIP_1) | instid1(VALU_DEP_2)
	v_cndmask_b32_e32 v33, 0, v33, vcc_lo
	v_cmp_nlt_f32_e32 vcc_lo, 0x42b17218, v32
	v_cndmask_b32_e32 v32, 0x7f800000, v33, vcc_lo
	s_delay_alu instid0(VALU_DEP_1) | instskip(NEXT) | instid1(VALU_DEP_1)
	v_add_f32_e32 v32, 1.0, v32
	v_rcp_f32_e32 v32, v32
	s_waitcnt_depctr 0xfff
	v_fma_f32 v57, v32, -2.0, 1.0
.LBB25_601:                             ;   in Loop: Header=BB25_511 Depth=2
	s_and_not1_saveexec_b32 s1, s1
; %bb.602:                              ;   in Loop: Header=BB25_511 Depth=2
	v_mul_f32_e32 v32, v214, v214
	s_delay_alu instid0(VALU_DEP_1) | instskip(NEXT) | instid1(VALU_DEP_1)
	v_fmaak_f32 v33, s51, v32, 0x3ca908c9
	v_fmaak_f32 v33, v32, v33, 0xbd5c1c4e
	s_delay_alu instid0(VALU_DEP_1) | instskip(NEXT) | instid1(VALU_DEP_1)
	v_fmaak_f32 v33, v32, v33, 0x3e088382
	v_fmaak_f32 v33, v32, v33, 0xbeaaaa99
	s_delay_alu instid0(VALU_DEP_1) | instskip(NEXT) | instid1(VALU_DEP_1)
	v_mul_f32_e64 v33, |v214|, v33
	v_fma_f32 v57, v32, v33, |v214|
; %bb.603:                              ;   in Loop: Header=BB25_511 Depth=2
	s_or_b32 exec_lo, exec_lo, s1
	v_cmp_ngt_f32_e64 s1, 0x3f200000, |v215|
                                        ; implicit-def: $vgpr40
	s_delay_alu instid0(VALU_DEP_1) | instskip(NEXT) | instid1(SALU_CYCLE_1)
	s_and_saveexec_b32 s2, s1
	s_xor_b32 s1, exec_lo, s2
	s_cbranch_execz .LBB25_605
; %bb.604:                              ;   in Loop: Header=BB25_511 Depth=2
	v_add_f32_e64 v32, |v215|, |v215|
	s_delay_alu instid0(VALU_DEP_1) | instskip(SKIP_1) | instid1(VALU_DEP_2)
	v_mul_f32_e32 v33, 0x3fb8aa3b, v32
	v_cmp_ngt_f32_e32 vcc_lo, 0xc2ce8ed0, v32
	v_rndne_f32_e32 v34, v33
	v_fma_f32 v35, 0x3fb8aa3b, v32, -v33
	s_delay_alu instid0(VALU_DEP_2) | instskip(NEXT) | instid1(VALU_DEP_2)
	v_sub_f32_e32 v33, v33, v34
	v_fmac_f32_e32 v35, 0x32a5705f, v32
	v_cvt_i32_f32_e32 v34, v34
	s_delay_alu instid0(VALU_DEP_2) | instskip(NEXT) | instid1(VALU_DEP_1)
	v_add_f32_e32 v33, v33, v35
	v_exp_f32_e32 v33, v33
	s_waitcnt_depctr 0xfff
	v_ldexp_f32 v33, v33, v34
	s_delay_alu instid0(VALU_DEP_1) | instskip(SKIP_1) | instid1(VALU_DEP_2)
	v_cndmask_b32_e32 v33, 0, v33, vcc_lo
	v_cmp_nlt_f32_e32 vcc_lo, 0x42b17218, v32
	v_cndmask_b32_e32 v32, 0x7f800000, v33, vcc_lo
	s_delay_alu instid0(VALU_DEP_1) | instskip(NEXT) | instid1(VALU_DEP_1)
	v_add_f32_e32 v32, 1.0, v32
	v_rcp_f32_e32 v32, v32
	s_waitcnt_depctr 0xfff
	v_fma_f32 v40, v32, -2.0, 1.0
.LBB25_605:                             ;   in Loop: Header=BB25_511 Depth=2
	s_and_not1_saveexec_b32 s1, s1
; %bb.606:                              ;   in Loop: Header=BB25_511 Depth=2
	v_mul_f32_e32 v32, v215, v215
	s_delay_alu instid0(VALU_DEP_1) | instskip(NEXT) | instid1(VALU_DEP_1)
	v_fmaak_f32 v33, s51, v32, 0x3ca908c9
	v_fmaak_f32 v33, v32, v33, 0xbd5c1c4e
	s_delay_alu instid0(VALU_DEP_1) | instskip(NEXT) | instid1(VALU_DEP_1)
	v_fmaak_f32 v33, v32, v33, 0x3e088382
	v_fmaak_f32 v33, v32, v33, 0xbeaaaa99
	s_delay_alu instid0(VALU_DEP_1) | instskip(NEXT) | instid1(VALU_DEP_1)
	v_mul_f32_e64 v33, |v215|, v33
	v_fma_f32 v40, v32, v33, |v215|
; %bb.607:                              ;   in Loop: Header=BB25_511 Depth=2
	s_or_b32 exec_lo, exec_lo, s1
	v_dual_mov_b32 v68, s43 :: v_dual_mov_b32 v67, s42
	v_dual_mov_b32 v66, s41 :: v_dual_mov_b32 v65, s40
	;; [unrolled: 1-line block ×4, first 2 shown]
	s_delay_alu instid0(VALU_DEP_1)
	v_wmma_f32_16x16x16_f16 v[32:39], v[168:175], v[240:247], v[61:68]
	s_clause 0x1
	scratch_load_b128 v[61:64], off, off offset:1016
	scratch_load_b128 v[65:68], off, off offset:1032
	v_wmma_f32_16x16x16_f16 v[32:39], v[160:167], v[232:239], v[32:39]
	s_waitcnt vmcnt(0)
	s_delay_alu instid0(VALU_DEP_1)
	v_wmma_f32_16x16x16_f16 v[32:39], v[61:68], v[224:231], v[32:39]
	s_clause 0x1
	scratch_load_b128 v[61:64], off, off offset:984
	scratch_load_b128 v[65:68], off, off offset:1000
	s_waitcnt vmcnt(0)
	v_wmma_f32_16x16x16_f16 v[32:39], v[61:68], v[216:223], v[32:39]
	s_clause 0x1
	scratch_load_b128 v[61:64], off, off offset:952
	scratch_load_b128 v[65:68], off, off offset:968
	s_waitcnt vmcnt(0)
	;; [unrolled: 5-line block ×5, first 2 shown]
	v_wmma_f32_16x16x16_f16 v[32:39], v[61:68], v[176:183], v[32:39]
                                        ; implicit-def: $vgpr68
	s_delay_alu instid0(VALU_DEP_1) | instskip(NEXT) | instid1(VALU_DEP_1)
	v_cmp_ngt_f32_e64 s1, 0x3f200000, |v32|
	s_and_saveexec_b32 s2, s1
	s_delay_alu instid0(SALU_CYCLE_1)
	s_xor_b32 s1, exec_lo, s2
	s_cbranch_execz .LBB25_609
; %bb.608:                              ;   in Loop: Header=BB25_511 Depth=2
	v_add_f32_e64 v44, |v32|, |v32|
	s_delay_alu instid0(VALU_DEP_1) | instskip(SKIP_1) | instid1(VALU_DEP_2)
	v_mul_f32_e32 v48, 0x3fb8aa3b, v44
	v_cmp_ngt_f32_e32 vcc_lo, 0xc2ce8ed0, v44
	v_rndne_f32_e32 v49, v48
	v_fma_f32 v58, 0x3fb8aa3b, v44, -v48
	s_delay_alu instid0(VALU_DEP_2) | instskip(NEXT) | instid1(VALU_DEP_2)
	v_sub_f32_e32 v48, v48, v49
	v_fmac_f32_e32 v58, 0x32a5705f, v44
	v_cvt_i32_f32_e32 v49, v49
	s_delay_alu instid0(VALU_DEP_2) | instskip(NEXT) | instid1(VALU_DEP_1)
	v_add_f32_e32 v48, v48, v58
	v_exp_f32_e32 v48, v48
	s_waitcnt_depctr 0xfff
	v_ldexp_f32 v48, v48, v49
	s_delay_alu instid0(VALU_DEP_1) | instskip(SKIP_1) | instid1(VALU_DEP_2)
	v_cndmask_b32_e32 v48, 0, v48, vcc_lo
	v_cmp_nlt_f32_e32 vcc_lo, 0x42b17218, v44
	v_cndmask_b32_e32 v44, 0x7f800000, v48, vcc_lo
	s_delay_alu instid0(VALU_DEP_1) | instskip(NEXT) | instid1(VALU_DEP_1)
	v_add_f32_e32 v44, 1.0, v44
	v_rcp_f32_e32 v44, v44
	s_waitcnt_depctr 0xfff
	v_fma_f32 v68, v44, -2.0, 1.0
.LBB25_609:                             ;   in Loop: Header=BB25_511 Depth=2
	s_and_not1_saveexec_b32 s1, s1
; %bb.610:                              ;   in Loop: Header=BB25_511 Depth=2
	v_mul_f32_e32 v44, v32, v32
	s_delay_alu instid0(VALU_DEP_1) | instskip(NEXT) | instid1(VALU_DEP_1)
	v_fmaak_f32 v48, s51, v44, 0x3ca908c9
	v_fmaak_f32 v48, v44, v48, 0xbd5c1c4e
	s_delay_alu instid0(VALU_DEP_1) | instskip(NEXT) | instid1(VALU_DEP_1)
	v_fmaak_f32 v48, v44, v48, 0x3e088382
	v_fmaak_f32 v48, v44, v48, 0xbeaaaa99
	s_delay_alu instid0(VALU_DEP_1) | instskip(NEXT) | instid1(VALU_DEP_1)
	v_mul_f32_e64 v48, |v32|, v48
	v_fma_f32 v68, v44, v48, |v32|
; %bb.611:                              ;   in Loop: Header=BB25_511 Depth=2
	s_or_b32 exec_lo, exec_lo, s1
	v_cmp_ngt_f32_e64 s1, 0x3f200000, |v33|
                                        ; implicit-def: $vgpr69
	s_delay_alu instid0(VALU_DEP_1) | instskip(NEXT) | instid1(SALU_CYCLE_1)
	s_and_saveexec_b32 s2, s1
	s_xor_b32 s1, exec_lo, s2
	s_cbranch_execz .LBB25_613
; %bb.612:                              ;   in Loop: Header=BB25_511 Depth=2
	v_add_f32_e64 v44, |v33|, |v33|
	s_delay_alu instid0(VALU_DEP_1) | instskip(SKIP_1) | instid1(VALU_DEP_2)
	v_mul_f32_e32 v48, 0x3fb8aa3b, v44
	v_cmp_ngt_f32_e32 vcc_lo, 0xc2ce8ed0, v44
	v_rndne_f32_e32 v49, v48
	v_fma_f32 v58, 0x3fb8aa3b, v44, -v48
	s_delay_alu instid0(VALU_DEP_2) | instskip(NEXT) | instid1(VALU_DEP_2)
	v_sub_f32_e32 v48, v48, v49
	v_fmac_f32_e32 v58, 0x32a5705f, v44
	v_cvt_i32_f32_e32 v49, v49
	s_delay_alu instid0(VALU_DEP_2) | instskip(NEXT) | instid1(VALU_DEP_1)
	v_add_f32_e32 v48, v48, v58
	v_exp_f32_e32 v48, v48
	s_waitcnt_depctr 0xfff
	v_ldexp_f32 v48, v48, v49
	s_delay_alu instid0(VALU_DEP_1) | instskip(SKIP_1) | instid1(VALU_DEP_2)
	v_cndmask_b32_e32 v48, 0, v48, vcc_lo
	v_cmp_nlt_f32_e32 vcc_lo, 0x42b17218, v44
	v_cndmask_b32_e32 v44, 0x7f800000, v48, vcc_lo
	s_delay_alu instid0(VALU_DEP_1) | instskip(NEXT) | instid1(VALU_DEP_1)
	v_add_f32_e32 v44, 1.0, v44
	v_rcp_f32_e32 v44, v44
	s_waitcnt_depctr 0xfff
	v_fma_f32 v69, v44, -2.0, 1.0
.LBB25_613:                             ;   in Loop: Header=BB25_511 Depth=2
	s_and_not1_saveexec_b32 s1, s1
; %bb.614:                              ;   in Loop: Header=BB25_511 Depth=2
	v_mul_f32_e32 v44, v33, v33
	s_delay_alu instid0(VALU_DEP_1) | instskip(NEXT) | instid1(VALU_DEP_1)
	v_fmaak_f32 v48, s51, v44, 0x3ca908c9
	v_fmaak_f32 v48, v44, v48, 0xbd5c1c4e
	s_delay_alu instid0(VALU_DEP_1) | instskip(NEXT) | instid1(VALU_DEP_1)
	v_fmaak_f32 v48, v44, v48, 0x3e088382
	v_fmaak_f32 v48, v44, v48, 0xbeaaaa99
	s_delay_alu instid0(VALU_DEP_1) | instskip(NEXT) | instid1(VALU_DEP_1)
	v_mul_f32_e64 v48, |v33|, v48
	v_fma_f32 v69, v44, v48, |v33|
; %bb.615:                              ;   in Loop: Header=BB25_511 Depth=2
	s_or_b32 exec_lo, exec_lo, s1
	v_cmp_ngt_f32_e64 s1, 0x3f200000, |v34|
                                        ; implicit-def: $vgpr70
	s_delay_alu instid0(VALU_DEP_1) | instskip(NEXT) | instid1(SALU_CYCLE_1)
	s_and_saveexec_b32 s2, s1
	s_xor_b32 s1, exec_lo, s2
	s_cbranch_execz .LBB25_617
; %bb.616:                              ;   in Loop: Header=BB25_511 Depth=2
	v_add_f32_e64 v44, |v34|, |v34|
	s_delay_alu instid0(VALU_DEP_1) | instskip(SKIP_1) | instid1(VALU_DEP_2)
	v_mul_f32_e32 v48, 0x3fb8aa3b, v44
	v_cmp_ngt_f32_e32 vcc_lo, 0xc2ce8ed0, v44
	v_rndne_f32_e32 v49, v48
	v_fma_f32 v58, 0x3fb8aa3b, v44, -v48
	s_delay_alu instid0(VALU_DEP_2) | instskip(NEXT) | instid1(VALU_DEP_2)
	v_sub_f32_e32 v48, v48, v49
	v_fmac_f32_e32 v58, 0x32a5705f, v44
	v_cvt_i32_f32_e32 v49, v49
	s_delay_alu instid0(VALU_DEP_2) | instskip(NEXT) | instid1(VALU_DEP_1)
	v_add_f32_e32 v48, v48, v58
	v_exp_f32_e32 v48, v48
	s_waitcnt_depctr 0xfff
	v_ldexp_f32 v48, v48, v49
	s_delay_alu instid0(VALU_DEP_1) | instskip(SKIP_1) | instid1(VALU_DEP_2)
	v_cndmask_b32_e32 v48, 0, v48, vcc_lo
	v_cmp_nlt_f32_e32 vcc_lo, 0x42b17218, v44
	v_cndmask_b32_e32 v44, 0x7f800000, v48, vcc_lo
	s_delay_alu instid0(VALU_DEP_1) | instskip(NEXT) | instid1(VALU_DEP_1)
	v_add_f32_e32 v44, 1.0, v44
	v_rcp_f32_e32 v44, v44
	s_waitcnt_depctr 0xfff
	v_fma_f32 v70, v44, -2.0, 1.0
.LBB25_617:                             ;   in Loop: Header=BB25_511 Depth=2
	s_and_not1_saveexec_b32 s1, s1
; %bb.618:                              ;   in Loop: Header=BB25_511 Depth=2
	v_mul_f32_e32 v44, v34, v34
	s_delay_alu instid0(VALU_DEP_1) | instskip(NEXT) | instid1(VALU_DEP_1)
	v_fmaak_f32 v48, s51, v44, 0x3ca908c9
	v_fmaak_f32 v48, v44, v48, 0xbd5c1c4e
	s_delay_alu instid0(VALU_DEP_1) | instskip(NEXT) | instid1(VALU_DEP_1)
	v_fmaak_f32 v48, v44, v48, 0x3e088382
	v_fmaak_f32 v48, v44, v48, 0xbeaaaa99
	s_delay_alu instid0(VALU_DEP_1) | instskip(NEXT) | instid1(VALU_DEP_1)
	v_mul_f32_e64 v48, |v34|, v48
	v_fma_f32 v70, v44, v48, |v34|
; %bb.619:                              ;   in Loop: Header=BB25_511 Depth=2
	s_or_b32 exec_lo, exec_lo, s1
	v_cmp_ngt_f32_e64 s1, 0x3f200000, |v35|
                                        ; implicit-def: $vgpr71
	s_delay_alu instid0(VALU_DEP_1) | instskip(NEXT) | instid1(SALU_CYCLE_1)
	s_and_saveexec_b32 s2, s1
	s_xor_b32 s1, exec_lo, s2
	s_cbranch_execz .LBB25_621
; %bb.620:                              ;   in Loop: Header=BB25_511 Depth=2
	v_add_f32_e64 v44, |v35|, |v35|
	s_delay_alu instid0(VALU_DEP_1) | instskip(SKIP_1) | instid1(VALU_DEP_2)
	v_mul_f32_e32 v48, 0x3fb8aa3b, v44
	v_cmp_ngt_f32_e32 vcc_lo, 0xc2ce8ed0, v44
	v_rndne_f32_e32 v49, v48
	v_fma_f32 v58, 0x3fb8aa3b, v44, -v48
	s_delay_alu instid0(VALU_DEP_2) | instskip(NEXT) | instid1(VALU_DEP_2)
	v_sub_f32_e32 v48, v48, v49
	v_fmac_f32_e32 v58, 0x32a5705f, v44
	v_cvt_i32_f32_e32 v49, v49
	s_delay_alu instid0(VALU_DEP_2) | instskip(NEXT) | instid1(VALU_DEP_1)
	v_add_f32_e32 v48, v48, v58
	v_exp_f32_e32 v48, v48
	s_waitcnt_depctr 0xfff
	v_ldexp_f32 v48, v48, v49
	s_delay_alu instid0(VALU_DEP_1) | instskip(SKIP_1) | instid1(VALU_DEP_2)
	v_cndmask_b32_e32 v48, 0, v48, vcc_lo
	v_cmp_nlt_f32_e32 vcc_lo, 0x42b17218, v44
	v_cndmask_b32_e32 v44, 0x7f800000, v48, vcc_lo
	s_delay_alu instid0(VALU_DEP_1) | instskip(NEXT) | instid1(VALU_DEP_1)
	v_add_f32_e32 v44, 1.0, v44
	v_rcp_f32_e32 v44, v44
	s_waitcnt_depctr 0xfff
	v_fma_f32 v71, v44, -2.0, 1.0
.LBB25_621:                             ;   in Loop: Header=BB25_511 Depth=2
	s_and_not1_saveexec_b32 s1, s1
; %bb.622:                              ;   in Loop: Header=BB25_511 Depth=2
	v_mul_f32_e32 v44, v35, v35
	s_delay_alu instid0(VALU_DEP_1) | instskip(NEXT) | instid1(VALU_DEP_1)
	v_fmaak_f32 v48, s51, v44, 0x3ca908c9
	v_fmaak_f32 v48, v44, v48, 0xbd5c1c4e
	s_delay_alu instid0(VALU_DEP_1) | instskip(NEXT) | instid1(VALU_DEP_1)
	v_fmaak_f32 v48, v44, v48, 0x3e088382
	v_fmaak_f32 v48, v44, v48, 0xbeaaaa99
	s_delay_alu instid0(VALU_DEP_1) | instskip(NEXT) | instid1(VALU_DEP_1)
	v_mul_f32_e64 v48, |v35|, v48
	v_fma_f32 v71, v44, v48, |v35|
; %bb.623:                              ;   in Loop: Header=BB25_511 Depth=2
	s_or_b32 exec_lo, exec_lo, s1
	v_cmp_ngt_f32_e64 s1, 0x3f200000, |v36|
                                        ; implicit-def: $vgpr72
	s_delay_alu instid0(VALU_DEP_1) | instskip(NEXT) | instid1(SALU_CYCLE_1)
	s_and_saveexec_b32 s2, s1
	s_xor_b32 s1, exec_lo, s2
	s_cbranch_execz .LBB25_625
; %bb.624:                              ;   in Loop: Header=BB25_511 Depth=2
	v_add_f32_e64 v44, |v36|, |v36|
	s_delay_alu instid0(VALU_DEP_1) | instskip(SKIP_1) | instid1(VALU_DEP_2)
	v_mul_f32_e32 v48, 0x3fb8aa3b, v44
	v_cmp_ngt_f32_e32 vcc_lo, 0xc2ce8ed0, v44
	v_rndne_f32_e32 v49, v48
	v_fma_f32 v58, 0x3fb8aa3b, v44, -v48
	s_delay_alu instid0(VALU_DEP_2) | instskip(NEXT) | instid1(VALU_DEP_2)
	v_sub_f32_e32 v48, v48, v49
	v_fmac_f32_e32 v58, 0x32a5705f, v44
	v_cvt_i32_f32_e32 v49, v49
	s_delay_alu instid0(VALU_DEP_2) | instskip(NEXT) | instid1(VALU_DEP_1)
	v_add_f32_e32 v48, v48, v58
	v_exp_f32_e32 v48, v48
	s_waitcnt_depctr 0xfff
	v_ldexp_f32 v48, v48, v49
	s_delay_alu instid0(VALU_DEP_1) | instskip(SKIP_1) | instid1(VALU_DEP_2)
	v_cndmask_b32_e32 v48, 0, v48, vcc_lo
	v_cmp_nlt_f32_e32 vcc_lo, 0x42b17218, v44
	v_cndmask_b32_e32 v44, 0x7f800000, v48, vcc_lo
	s_delay_alu instid0(VALU_DEP_1) | instskip(NEXT) | instid1(VALU_DEP_1)
	v_add_f32_e32 v44, 1.0, v44
	v_rcp_f32_e32 v44, v44
	s_waitcnt_depctr 0xfff
	v_fma_f32 v72, v44, -2.0, 1.0
.LBB25_625:                             ;   in Loop: Header=BB25_511 Depth=2
	s_and_not1_saveexec_b32 s1, s1
; %bb.626:                              ;   in Loop: Header=BB25_511 Depth=2
	v_mul_f32_e32 v44, v36, v36
	s_delay_alu instid0(VALU_DEP_1) | instskip(NEXT) | instid1(VALU_DEP_1)
	v_fmaak_f32 v48, s51, v44, 0x3ca908c9
	v_fmaak_f32 v48, v44, v48, 0xbd5c1c4e
	s_delay_alu instid0(VALU_DEP_1) | instskip(NEXT) | instid1(VALU_DEP_1)
	v_fmaak_f32 v48, v44, v48, 0x3e088382
	v_fmaak_f32 v48, v44, v48, 0xbeaaaa99
	s_delay_alu instid0(VALU_DEP_1) | instskip(NEXT) | instid1(VALU_DEP_1)
	v_mul_f32_e64 v48, |v36|, v48
	v_fma_f32 v72, v44, v48, |v36|
; %bb.627:                              ;   in Loop: Header=BB25_511 Depth=2
	s_or_b32 exec_lo, exec_lo, s1
	v_cmp_ngt_f32_e64 s1, 0x3f200000, |v37|
                                        ; implicit-def: $vgpr73
	s_delay_alu instid0(VALU_DEP_1) | instskip(NEXT) | instid1(SALU_CYCLE_1)
	s_and_saveexec_b32 s2, s1
	s_xor_b32 s1, exec_lo, s2
	s_cbranch_execz .LBB25_629
; %bb.628:                              ;   in Loop: Header=BB25_511 Depth=2
	v_add_f32_e64 v44, |v37|, |v37|
	s_delay_alu instid0(VALU_DEP_1) | instskip(SKIP_1) | instid1(VALU_DEP_2)
	v_mul_f32_e32 v48, 0x3fb8aa3b, v44
	v_cmp_ngt_f32_e32 vcc_lo, 0xc2ce8ed0, v44
	v_rndne_f32_e32 v49, v48
	v_fma_f32 v58, 0x3fb8aa3b, v44, -v48
	s_delay_alu instid0(VALU_DEP_2) | instskip(NEXT) | instid1(VALU_DEP_2)
	v_sub_f32_e32 v48, v48, v49
	v_fmac_f32_e32 v58, 0x32a5705f, v44
	v_cvt_i32_f32_e32 v49, v49
	s_delay_alu instid0(VALU_DEP_2) | instskip(NEXT) | instid1(VALU_DEP_1)
	v_add_f32_e32 v48, v48, v58
	v_exp_f32_e32 v48, v48
	s_waitcnt_depctr 0xfff
	v_ldexp_f32 v48, v48, v49
	s_delay_alu instid0(VALU_DEP_1) | instskip(SKIP_1) | instid1(VALU_DEP_2)
	v_cndmask_b32_e32 v48, 0, v48, vcc_lo
	v_cmp_nlt_f32_e32 vcc_lo, 0x42b17218, v44
	v_cndmask_b32_e32 v44, 0x7f800000, v48, vcc_lo
	s_delay_alu instid0(VALU_DEP_1) | instskip(NEXT) | instid1(VALU_DEP_1)
	v_add_f32_e32 v44, 1.0, v44
	v_rcp_f32_e32 v44, v44
	s_waitcnt_depctr 0xfff
	v_fma_f32 v73, v44, -2.0, 1.0
.LBB25_629:                             ;   in Loop: Header=BB25_511 Depth=2
	s_and_not1_saveexec_b32 s1, s1
; %bb.630:                              ;   in Loop: Header=BB25_511 Depth=2
	v_mul_f32_e32 v44, v37, v37
	s_delay_alu instid0(VALU_DEP_1) | instskip(NEXT) | instid1(VALU_DEP_1)
	v_fmaak_f32 v48, s51, v44, 0x3ca908c9
	v_fmaak_f32 v48, v44, v48, 0xbd5c1c4e
	s_delay_alu instid0(VALU_DEP_1) | instskip(NEXT) | instid1(VALU_DEP_1)
	v_fmaak_f32 v48, v44, v48, 0x3e088382
	v_fmaak_f32 v48, v44, v48, 0xbeaaaa99
	s_delay_alu instid0(VALU_DEP_1) | instskip(NEXT) | instid1(VALU_DEP_1)
	v_mul_f32_e64 v48, |v37|, v48
	v_fma_f32 v73, v44, v48, |v37|
; %bb.631:                              ;   in Loop: Header=BB25_511 Depth=2
	s_or_b32 exec_lo, exec_lo, s1
	v_cmp_ngt_f32_e64 s1, 0x3f200000, |v38|
                                        ; implicit-def: $vgpr74
	s_delay_alu instid0(VALU_DEP_1) | instskip(NEXT) | instid1(SALU_CYCLE_1)
	s_and_saveexec_b32 s2, s1
	s_xor_b32 s1, exec_lo, s2
	s_cbranch_execz .LBB25_633
; %bb.632:                              ;   in Loop: Header=BB25_511 Depth=2
	v_add_f32_e64 v44, |v38|, |v38|
	s_delay_alu instid0(VALU_DEP_1) | instskip(SKIP_1) | instid1(VALU_DEP_2)
	v_mul_f32_e32 v48, 0x3fb8aa3b, v44
	v_cmp_ngt_f32_e32 vcc_lo, 0xc2ce8ed0, v44
	v_rndne_f32_e32 v49, v48
	v_fma_f32 v58, 0x3fb8aa3b, v44, -v48
	s_delay_alu instid0(VALU_DEP_2) | instskip(NEXT) | instid1(VALU_DEP_2)
	v_sub_f32_e32 v48, v48, v49
	v_fmac_f32_e32 v58, 0x32a5705f, v44
	v_cvt_i32_f32_e32 v49, v49
	s_delay_alu instid0(VALU_DEP_2) | instskip(NEXT) | instid1(VALU_DEP_1)
	v_add_f32_e32 v48, v48, v58
	v_exp_f32_e32 v48, v48
	s_waitcnt_depctr 0xfff
	v_ldexp_f32 v48, v48, v49
	s_delay_alu instid0(VALU_DEP_1) | instskip(SKIP_1) | instid1(VALU_DEP_2)
	v_cndmask_b32_e32 v48, 0, v48, vcc_lo
	v_cmp_nlt_f32_e32 vcc_lo, 0x42b17218, v44
	v_cndmask_b32_e32 v44, 0x7f800000, v48, vcc_lo
	s_delay_alu instid0(VALU_DEP_1) | instskip(NEXT) | instid1(VALU_DEP_1)
	v_add_f32_e32 v44, 1.0, v44
	v_rcp_f32_e32 v44, v44
	s_waitcnt_depctr 0xfff
	v_fma_f32 v74, v44, -2.0, 1.0
.LBB25_633:                             ;   in Loop: Header=BB25_511 Depth=2
	s_and_not1_saveexec_b32 s1, s1
; %bb.634:                              ;   in Loop: Header=BB25_511 Depth=2
	v_mul_f32_e32 v44, v38, v38
	s_delay_alu instid0(VALU_DEP_1) | instskip(NEXT) | instid1(VALU_DEP_1)
	v_fmaak_f32 v48, s51, v44, 0x3ca908c9
	v_fmaak_f32 v48, v44, v48, 0xbd5c1c4e
	s_delay_alu instid0(VALU_DEP_1) | instskip(NEXT) | instid1(VALU_DEP_1)
	v_fmaak_f32 v48, v44, v48, 0x3e088382
	v_fmaak_f32 v48, v44, v48, 0xbeaaaa99
	s_delay_alu instid0(VALU_DEP_1) | instskip(NEXT) | instid1(VALU_DEP_1)
	v_mul_f32_e64 v48, |v38|, v48
	v_fma_f32 v74, v44, v48, |v38|
; %bb.635:                              ;   in Loop: Header=BB25_511 Depth=2
	s_or_b32 exec_lo, exec_lo, s1
	v_cmp_ngt_f32_e64 s1, 0x3f200000, |v39|
                                        ; implicit-def: $vgpr75
	s_delay_alu instid0(VALU_DEP_1) | instskip(NEXT) | instid1(SALU_CYCLE_1)
	s_and_saveexec_b32 s2, s1
	s_xor_b32 s1, exec_lo, s2
	s_cbranch_execz .LBB25_637
; %bb.636:                              ;   in Loop: Header=BB25_511 Depth=2
	v_add_f32_e64 v44, |v39|, |v39|
	s_delay_alu instid0(VALU_DEP_1) | instskip(SKIP_1) | instid1(VALU_DEP_2)
	v_mul_f32_e32 v48, 0x3fb8aa3b, v44
	v_cmp_ngt_f32_e32 vcc_lo, 0xc2ce8ed0, v44
	v_rndne_f32_e32 v49, v48
	v_fma_f32 v58, 0x3fb8aa3b, v44, -v48
	s_delay_alu instid0(VALU_DEP_2) | instskip(NEXT) | instid1(VALU_DEP_2)
	v_sub_f32_e32 v48, v48, v49
	v_fmac_f32_e32 v58, 0x32a5705f, v44
	v_cvt_i32_f32_e32 v49, v49
	s_delay_alu instid0(VALU_DEP_2) | instskip(NEXT) | instid1(VALU_DEP_1)
	v_add_f32_e32 v48, v48, v58
	v_exp_f32_e32 v48, v48
	s_waitcnt_depctr 0xfff
	v_ldexp_f32 v48, v48, v49
	s_delay_alu instid0(VALU_DEP_1) | instskip(SKIP_1) | instid1(VALU_DEP_2)
	v_cndmask_b32_e32 v48, 0, v48, vcc_lo
	v_cmp_nlt_f32_e32 vcc_lo, 0x42b17218, v44
	v_cndmask_b32_e32 v44, 0x7f800000, v48, vcc_lo
	s_delay_alu instid0(VALU_DEP_1) | instskip(NEXT) | instid1(VALU_DEP_1)
	v_add_f32_e32 v44, 1.0, v44
	v_rcp_f32_e32 v44, v44
	s_waitcnt_depctr 0xfff
	v_fma_f32 v75, v44, -2.0, 1.0
.LBB25_637:                             ;   in Loop: Header=BB25_511 Depth=2
	s_and_not1_saveexec_b32 s1, s1
; %bb.638:                              ;   in Loop: Header=BB25_511 Depth=2
	v_mul_f32_e32 v44, v39, v39
	s_delay_alu instid0(VALU_DEP_1) | instskip(NEXT) | instid1(VALU_DEP_1)
	v_fmaak_f32 v48, s51, v44, 0x3ca908c9
	v_fmaak_f32 v48, v44, v48, 0xbd5c1c4e
	s_delay_alu instid0(VALU_DEP_1) | instskip(NEXT) | instid1(VALU_DEP_1)
	v_fmaak_f32 v48, v44, v48, 0x3e088382
	v_fmaak_f32 v48, v44, v48, 0xbeaaaa99
	s_delay_alu instid0(VALU_DEP_1) | instskip(NEXT) | instid1(VALU_DEP_1)
	v_mul_f32_e64 v48, |v39|, v48
	v_fma_f32 v75, v44, v48, |v39|
; %bb.639:                              ;   in Loop: Header=BB25_511 Depth=2
	s_or_b32 exec_lo, exec_lo, s1
	v_bfi_b32 v58, 0x7fffffff, v46, v104
	scratch_load_b32 v46, off, off offset:852 ; 4-byte Folded Reload
	v_bfi_b32 v49, 0x7fffffff, v42, v209
	v_bfi_b32 v42, 0x7fffffff, v54, v212
	;; [unrolled: 1-line block ×22, first 2 shown]
	s_add_i32 s15, s15, -1
	s_delay_alu instid0(SALU_CYCLE_1)
	s_cmp_lg_u32 s15, 0
	s_waitcnt vmcnt(0)
	v_bfi_b32 v60, 0x7fffffff, v46, v103
	scratch_load_b32 v46, off, off offset:828 ; 4-byte Folded Reload
	s_waitcnt vmcnt(0)
	v_bfi_b32 v64, 0x7fffffff, v46, v96
	scratch_load_b32 v46, off, off offset:832 ; 4-byte Folded Reload
	;; [unrolled: 3-line block ×5, first 2 shown]
	s_waitcnt vmcnt(0)
	v_bfi_b32 v63, 0x7fffffff, v46, v101
	s_clause 0x4
	scratch_load_b32 v46, off, off offset:848
	scratch_load_b32 v100, off, off offset:672
	;; [unrolled: 1-line block ×5, first 2 shown]
	s_waitcnt vmcnt(4)
	v_bfi_b32 v61, 0x7fffffff, v46, v102
	s_waitcnt vmcnt(2)
	v_add_co_u32 v83, vcc_lo, v135, v100
	s_waitcnt vmcnt(1)
	v_add_co_ci_u32_e32 v84, vcc_lo, 0, v136, vcc_lo
	v_bfi_b32 v46, 0x7fffffff, v70, v34
	v_bfi_b32 v34, 0x7fffffff, v72, v36
	s_waitcnt vmcnt(0)
	ds_load_u16 v39, v37
	ds_load_u16 v87, v37 offset:4
	ds_load_u16 v88, v37 offset:8
	;; [unrolled: 1-line block ×31, first 2 shown]
	global_load_b128 v[83:86], v[83:84], off
	s_clause 0x2
	scratch_load_b32 v137, off, off offset:516
	scratch_load_b32 v138, off, off offset:256
	;; [unrolled: 1-line block ×3, first 2 shown]
	s_waitcnt lgkmcnt(31)
	v_fma_mix_f32 v64, v64, s33, v39 op_sel_hi:[0,0,1]
	s_waitcnt lgkmcnt(30)
	v_fma_mix_f32 v65, v65, s33, v87 op_sel_hi:[0,0,1]
	;; [unrolled: 2-line block ×5, first 2 shown]
	v_add_f32_e32 v39, 0x40051340, v64
	v_fma_mix_f32 v62, v62, s33, v90 op_sel_hi:[0,0,1]
	s_waitcnt lgkmcnt(25)
	v_fma_mix_f32 v61, v61, s33, v92 op_sel_hi:[0,0,1]
	s_waitcnt lgkmcnt(22)
	;; [unrolled: 2-line block ×6, first 2 shown]
	v_fma_mix_f32 v92, v43, s33, v77 op_sel_hi:[0,0,1]
	v_fma_mix_f32 v114, v48, s33, v80 op_sel_hi:[0,0,1]
	s_waitcnt lgkmcnt(8)
	v_fma_mix_f32 v90, v40, s33, v75 op_sel_hi:[0,0,1]
	v_fma_mix_f32 v112, v44, s33, v78 op_sel_hi:[0,0,1]
	;; [unrolled: 1-line block ×3, first 2 shown]
	s_waitcnt lgkmcnt(7)
	v_fma_mix_f32 v109, v50, s33, v72 op_sel_hi:[0,0,1]
	v_add_f32_e32 v48, 0x40051340, v114
	v_fma_mix_f32 v110, v42, s33, v76 op_sel_hi:[0,0,1]
	s_waitcnt lgkmcnt(5)
	v_fma_mix_f32 v95, v46, s33, v70 op_sel_hi:[0,0,1]
	v_add_f32_e32 v44, 0x40051340, v112
	s_waitcnt lgkmcnt(0)
	v_fma_mix_f32 v104, v33, s33, v37 op_sel_hi:[0,0,1]
	v_fma_mix_f32 v108, v51, s33, v73 op_sel_hi:[0,0,1]
	v_add_f32_e32 v42, 0x40051340, v110
	v_fma_mix_f32 v106, v35, s33, v69 op_sel_hi:[0,0,1]
	s_delay_alu instid0(VALU_DEP_4) | instskip(SKIP_2) | instid1(VALU_DEP_4)
	v_dual_add_f32 v40, 0x40051340, v91 :: v_dual_add_f32 v33, 0x40051340, v104
	v_fma_mix_f32 v107, v47, s33, v71 op_sel_hi:[0,0,1]
	v_fma_mix_f32 v105, v32, s33, v36 op_sel_hi:[0,0,1]
	v_add_f32_e32 v35, 0x40051340, v106
	v_add_f32_e32 v45, 0x40051340, v111
	;; [unrolled: 1-line block ×3, first 2 shown]
	s_delay_alu instid0(VALU_DEP_4)
	v_dual_add_f32 v43, 0x40051340, v92 :: v_dual_add_f32 v32, 0x40051340, v105
	v_add_f32_e32 v41, 0x40051340, v90
	s_waitcnt vmcnt(2)
	ds_store_b128 v137, v[83:86]
	s_waitcnt vmcnt(1)
	v_add_co_u32 v83, vcc_lo, v138, v100
	s_waitcnt vmcnt(0)
	v_add_co_ci_u32_e32 v84, vcc_lo, 0, v146, vcc_lo
	global_load_b128 v[83:86], v[83:84], off
	s_clause 0x2
	scratch_load_b32 v139, off, off offset:640
	scratch_load_b32 v147, off, off offset:320
	scratch_load_b32 v148, off, off offset:352
	s_waitcnt vmcnt(2)
	ds_store_b128 v139, v[83:86]
	s_waitcnt vmcnt(1)
	v_add_co_u32 v83, vcc_lo, v147, v100
	s_waitcnt vmcnt(0)
	v_add_co_ci_u32_e32 v84, vcc_lo, 0, v148, vcc_lo
	global_load_b128 v[83:86], v[83:84], off
	s_clause 0x2
	scratch_load_b32 v140, off, off offset:644
	scratch_load_b32 v149, off, off offset:384
	scratch_load_b32 v150, off, off offset:416
	;; [unrolled: 11-line block ×6, first 2 shown]
	s_waitcnt vmcnt(2)
	ds_store_b128 v144, v[83:86]
	s_waitcnt vmcnt(1)
	v_add_co_u32 v83, vcc_lo, v157, v100
	s_waitcnt vmcnt(0)
	v_add_co_ci_u32_e32 v84, vcc_lo, 0, v158, vcc_lo
	global_load_b128 v[83:86], v[83:84], off
	scratch_load_b32 v145, off, off offset:664 ; 4-byte Folded Reload
	s_waitcnt vmcnt(0)
	ds_store_b128 v145, v[83:86]
	scratch_load_b32 v85, off, off offset:824 ; 4-byte Folded Reload
	v_dual_add_f32 v83, 0x40051340, v65 :: v_dual_add_f32 v84, 0x40051340, v67
	s_waitcnt vmcnt(0)
	s_delay_alu instid0(VALU_DEP_1) | instskip(SKIP_1) | instid1(VALU_DEP_1)
	v_max3_f32 v39, v85, v39, v83
	v_add_f32_e32 v83, 0x40051340, v66
	v_max3_f32 v39, v39, v83, v84
	v_dual_add_f32 v83, 0x40051340, v62 :: v_dual_add_f32 v84, 0x40051340, v63
	s_delay_alu instid0(VALU_DEP_1) | instskip(SKIP_3) | instid1(VALU_DEP_3)
	v_max3_f32 v39, v39, v83, v84
	v_fma_mix_f32 v83, v60, s33, v93 op_sel_hi:[0,0,1]
	v_add_f32_e32 v60, 0x40051340, v61
	v_fma_mix_f32 v93, v34, s33, v68 op_sel_hi:[0,0,1]
	v_add_f32_e32 v84, 0x40051340, v83
	s_delay_alu instid0(VALU_DEP_2) | instskip(NEXT) | instid1(VALU_DEP_2)
	v_add_f32_e32 v34, 0x40051340, v93
	v_max3_f32 v39, v39, v60, v84
	v_fma_mix_f32 v60, v58, s33, v94 op_sel_hi:[0,0,1]
	v_add_f32_e32 v84, 0x40051340, v59
	s_delay_alu instid0(VALU_DEP_2) | instskip(NEXT) | instid1(VALU_DEP_1)
	v_add_f32_e32 v58, 0x40051340, v60
	v_max3_f32 v39, v39, v58, v84
	v_fma_mix_f32 v58, v56, s33, v96 op_sel_hi:[0,0,1]
	v_add_f32_e32 v84, 0x40051340, v57
	s_delay_alu instid0(VALU_DEP_2) | instskip(NEXT) | instid1(VALU_DEP_1)
	v_add_f32_e32 v56, 0x40051340, v58
	v_max3_f32 v39, v39, v56, v84
	v_fma_mix_f32 v56, v54, s33, v98 op_sel_hi:[0,0,1]
	v_fma_mix_f32 v54, v55, s33, v99 op_sel_hi:[0,0,1]
	s_delay_alu instid0(VALU_DEP_1) | instskip(NEXT) | instid1(VALU_DEP_1)
	v_dual_add_f32 v55, 0x40051340, v56 :: v_dual_add_f32 v84, 0x40051340, v54
	v_max3_f32 v55, v39, v55, v84
	v_fma_mix_f32 v39, v53, s33, v38 op_sel_hi:[0,0,1]
	v_fma_mix_f32 v38, v52, s33, v82 op_sel_hi:[0,0,1]
	s_delay_alu instid0(VALU_DEP_1) | instskip(NEXT) | instid1(VALU_DEP_1)
	v_dual_add_f32 v52, 0x40051340, v39 :: v_dual_add_f32 v53, 0x40051340, v38
	v_max3_f32 v52, v55, v52, v53
	s_delay_alu instid0(VALU_DEP_1) | instskip(NEXT) | instid1(VALU_DEP_1)
	v_max3_f32 v48, v52, v48, v49
	v_max3_f32 v44, v48, v44, v45
	s_delay_alu instid0(VALU_DEP_1) | instskip(NEXT) | instid1(VALU_DEP_1)
	v_max3_f32 v42, v44, v42, v43
	v_max3_f32 v40, v42, v40, v41
	v_dual_add_f32 v41, 0x40051340, v109 :: v_dual_add_f32 v42, 0x40051340, v108
	s_delay_alu instid0(VALU_DEP_1) | instskip(SKIP_2) | instid1(VALU_DEP_1)
	v_max3_f32 v40, v40, v41, v42
	v_add_f32_e32 v41, 0x40051340, v95
	v_add_f32_e32 v42, 0x40051340, v107
	v_max3_f32 v40, v40, v41, v42
	s_delay_alu instid0(VALU_DEP_1) | instskip(NEXT) | instid1(VALU_DEP_1)
	v_max3_f32 v34, v40, v34, v35
	v_max3_f32 v32, v34, v32, v33
	ds_bpermute_b32 v33, v250, v32
	s_waitcnt lgkmcnt(0)
	v_max_f32_e32 v33, v33, v33
	s_delay_alu instid0(VALU_DEP_1) | instskip(NEXT) | instid1(VALU_DEP_1)
	v_max_f32_e32 v121, v32, v33
	v_sub_f32_e32 v32, v64, v121
	s_delay_alu instid0(VALU_DEP_1) | instskip(SKIP_2) | instid1(VALU_DEP_3)
	v_mul_f32_e32 v33, 0x3fb8aa3b, v32
	v_cmp_ngt_f32_e32 vcc_lo, 0xc2ce8ed0, v32
	v_cmp_nlt_f32_e64 s1, 0x42b17218, v32
	v_fma_f32 v34, 0x3fb8aa3b, v32, -v33
	s_delay_alu instid0(VALU_DEP_1) | instskip(SKIP_1) | instid1(VALU_DEP_1)
	v_fmac_f32_e32 v34, 0x32a5705f, v32
	v_sub_f32_e32 v32, v65, v121
	v_mul_f32_e32 v35, 0x3fb8aa3b, v32
	v_cmp_ngt_f32_e64 s2, 0xc2ce8ed0, v32
	v_cmp_nlt_f32_e64 s4, 0x42b17218, v32
	s_delay_alu instid0(VALU_DEP_3) | instskip(NEXT) | instid1(VALU_DEP_1)
	v_fma_f32 v36, 0x3fb8aa3b, v32, -v35
	v_fmac_f32_e32 v36, 0x32a5705f, v32
	v_rndne_f32_e32 v32, v33
	s_delay_alu instid0(VALU_DEP_1) | instskip(SKIP_1) | instid1(VALU_DEP_2)
	v_sub_f32_e32 v33, v33, v32
	v_cvt_i32_f32_e32 v32, v32
	v_add_f32_e32 v33, v33, v34
	v_rndne_f32_e32 v34, v35
	s_delay_alu instid0(VALU_DEP_2) | instskip(NEXT) | instid1(VALU_DEP_1)
	v_exp_f32_e32 v33, v33
	v_sub_f32_e32 v35, v35, v34
	v_cvt_i32_f32_e32 v34, v34
	s_delay_alu instid0(VALU_DEP_2) | instskip(SKIP_3) | instid1(VALU_DEP_1)
	v_add_f32_e32 v35, v35, v36
	s_waitcnt_depctr 0xfff
	v_ldexp_f32 v32, v33, v32
	v_exp_f32_e32 v33, v35
	v_cndmask_b32_e32 v32, 0, v32, vcc_lo
	s_delay_alu instid0(VALU_DEP_1)
	v_cndmask_b32_e64 v71, 0x7f800000, v32, s1
	s_waitcnt_depctr 0xfff
	v_ldexp_f32 v33, v33, v34
	s_clause 0x1
	scratch_load_b32 v34, off, off offset:668
	scratch_load_b32 v32, off, off offset:480
	s_waitcnt vmcnt(0)
	s_waitcnt_vscnt null, 0x0
	s_barrier
	buffer_gl0_inv
	scratch_load_b32 v134, off, off offset:532 ; 4-byte Folded Reload
	v_cndmask_b32_e64 v33, 0, v33, s2
	s_delay_alu instid0(VALU_DEP_1)
	v_cndmask_b32_e64 v72, 0x7f800000, v33, s4
	v_cmp_eq_u32_e32 vcc_lo, 1, v34
	v_cmp_eq_u32_e64 s2, 0, v32
	v_cmp_eq_u32_e64 s3, 1, v32
	ds_bpermute_b32 v32, v250, v71
	v_cmp_eq_u32_e64 s1, 0, v34
	ds_bpermute_b32 v34, v250, v72
	s_waitcnt vmcnt(0)
	v_add_nc_u32_e32 v53, 0x400, v134
	v_add_nc_u32_e32 v55, 0x800, v134
	;; [unrolled: 1-line block ×3, first 2 shown]
	s_waitcnt lgkmcnt(1)
	v_dual_cndmask_b32 v33, v71, v32 :: v_dual_add_nc_u32 v94, 0x1000, v134
	v_cndmask_b32_e64 v32, v71, v32, s1
	s_delay_alu instid0(VALU_DEP_2) | instskip(NEXT) | instid1(VALU_DEP_2)
	v_cndmask_b32_e64 v36, v33, v72, s3
	v_cndmask_b32_e64 v35, v32, v72, s2
	v_cvt_f16_f32_e32 v32, v32
	v_cvt_f16_f32_e32 v33, v33
	s_waitcnt lgkmcnt(0)
	s_delay_alu instid0(VALU_DEP_3) | instskip(SKIP_1) | instid1(VALU_DEP_3)
	v_cndmask_b32_e64 v35, v35, v34, s1
	v_cndmask_b32_e32 v34, v36, v34, vcc_lo
	v_pack_b32_f16 v96, v32, v33
	v_sub_f32_e32 v32, v66, v121
	s_delay_alu instid0(VALU_DEP_4) | instskip(NEXT) | instid1(VALU_DEP_4)
	v_cvt_f16_f32_e32 v36, v35
	v_cvt_f16_f32_e32 v37, v34
	s_delay_alu instid0(VALU_DEP_3) | instskip(SKIP_2) | instid1(VALU_DEP_4)
	v_mul_f32_e32 v33, 0x3fb8aa3b, v32
	v_cmp_ngt_f32_e64 s4, 0xc2ce8ed0, v32
	v_cmp_nlt_f32_e64 s5, 0x42b17218, v32
	v_pack_b32_f16 v97, v36, v37
	s_delay_alu instid0(VALU_DEP_4) | instskip(SKIP_1) | instid1(VALU_DEP_1)
	v_fma_f32 v36, 0x3fb8aa3b, v32, -v33
	v_rndne_f32_e32 v37, v33
	v_dual_fmac_f32 v36, 0x32a5705f, v32 :: v_dual_sub_f32 v33, v33, v37
	s_delay_alu instid0(VALU_DEP_1) | instskip(SKIP_1) | instid1(VALU_DEP_2)
	v_add_f32_e32 v33, v33, v36
	v_cvt_i32_f32_e32 v36, v37
	v_exp_f32_e32 v33, v33
	s_waitcnt_depctr 0xfff
	v_ldexp_f32 v33, v33, v36
	s_delay_alu instid0(VALU_DEP_1) | instskip(NEXT) | instid1(VALU_DEP_1)
	v_cndmask_b32_e64 v32, 0, v33, s4
	v_cndmask_b32_e64 v73, 0x7f800000, v32, s5
	s_delay_alu instid0(VALU_DEP_1) | instskip(SKIP_3) | instid1(VALU_DEP_1)
	v_cndmask_b32_e64 v33, v34, v73, s3
	ds_bpermute_b32 v34, v250, v73
	v_cndmask_b32_e64 v32, v35, v73, s2
	s_waitcnt lgkmcnt(0)
	v_cndmask_b32_e64 v32, v32, v34, s1
	v_cndmask_b32_e32 v33, v33, v34, vcc_lo
	s_delay_alu instid0(VALU_DEP_2) | instskip(NEXT) | instid1(VALU_DEP_2)
	v_cvt_f16_f32_e32 v34, v32
	v_cvt_f16_f32_e32 v35, v33
	s_delay_alu instid0(VALU_DEP_1) | instskip(SKIP_1) | instid1(VALU_DEP_1)
	v_pack_b32_f16 v98, v34, v35
	v_sub_f32_e32 v34, v67, v121
	v_mul_f32_e32 v35, 0x3fb8aa3b, v34
	v_cmp_ngt_f32_e64 s4, 0xc2ce8ed0, v34
	v_cmp_nlt_f32_e64 s5, 0x42b17218, v34
	s_delay_alu instid0(VALU_DEP_3) | instskip(SKIP_1) | instid1(VALU_DEP_1)
	v_fma_f32 v36, 0x3fb8aa3b, v34, -v35
	v_rndne_f32_e32 v37, v35
	v_dual_fmac_f32 v36, 0x32a5705f, v34 :: v_dual_sub_f32 v35, v35, v37
	s_delay_alu instid0(VALU_DEP_1) | instskip(SKIP_1) | instid1(VALU_DEP_2)
	v_add_f32_e32 v35, v35, v36
	v_cvt_i32_f32_e32 v36, v37
	v_exp_f32_e32 v35, v35
	s_waitcnt_depctr 0xfff
	v_ldexp_f32 v35, v35, v36
	s_delay_alu instid0(VALU_DEP_1) | instskip(NEXT) | instid1(VALU_DEP_1)
	v_cndmask_b32_e64 v34, 0, v35, s4
	v_cndmask_b32_e64 v74, 0x7f800000, v34, s5
	ds_bpermute_b32 v34, v250, v74
	v_cndmask_b32_e64 v32, v32, v74, s2
	v_cndmask_b32_e64 v33, v33, v74, s3
	s_waitcnt lgkmcnt(0)
	s_delay_alu instid0(VALU_DEP_2) | instskip(NEXT) | instid1(VALU_DEP_2)
	v_cndmask_b32_e64 v32, v32, v34, s1
	v_cndmask_b32_e32 v33, v33, v34, vcc_lo
	s_delay_alu instid0(VALU_DEP_2) | instskip(NEXT) | instid1(VALU_DEP_2)
	v_cvt_f16_f32_e32 v34, v32
	v_cvt_f16_f32_e32 v35, v33
	s_delay_alu instid0(VALU_DEP_1) | instskip(SKIP_1) | instid1(VALU_DEP_1)
	v_pack_b32_f16 v99, v34, v35
	v_sub_f32_e32 v34, v62, v121
	v_mul_f32_e32 v35, 0x3fb8aa3b, v34
	v_cmp_ngt_f32_e64 s4, 0xc2ce8ed0, v34
	v_cmp_nlt_f32_e64 s5, 0x42b17218, v34
	s_delay_alu instid0(VALU_DEP_3) | instskip(SKIP_1) | instid1(VALU_DEP_1)
	v_fma_f32 v36, 0x3fb8aa3b, v34, -v35
	v_rndne_f32_e32 v37, v35
	v_dual_fmac_f32 v36, 0x32a5705f, v34 :: v_dual_sub_f32 v35, v35, v37
	s_delay_alu instid0(VALU_DEP_1) | instskip(SKIP_1) | instid1(VALU_DEP_2)
	v_add_f32_e32 v35, v35, v36
	v_cvt_i32_f32_e32 v36, v37
	v_exp_f32_e32 v35, v35
	s_waitcnt_depctr 0xfff
	v_ldexp_f32 v35, v35, v36
	s_delay_alu instid0(VALU_DEP_1) | instskip(NEXT) | instid1(VALU_DEP_1)
	v_cndmask_b32_e64 v34, 0, v35, s4
	v_cndmask_b32_e64 v75, 0x7f800000, v34, s5
	ds_bpermute_b32 v34, v250, v75
	v_cndmask_b32_e64 v32, v32, v75, s2
	v_cndmask_b32_e64 v33, v33, v75, s3
	s_waitcnt lgkmcnt(0)
	s_delay_alu instid0(VALU_DEP_2) | instskip(NEXT) | instid1(VALU_DEP_2)
	;; [unrolled: 29-line block ×3, first 2 shown]
	v_cndmask_b32_e64 v32, v32, v34, s1
	v_cndmask_b32_e32 v33, v33, v34, vcc_lo
	s_delay_alu instid0(VALU_DEP_2) | instskip(NEXT) | instid1(VALU_DEP_2)
	v_cvt_f16_f32_e32 v34, v32
	v_cvt_f16_f32_e32 v35, v33
	s_delay_alu instid0(VALU_DEP_1)
	v_pack_b32_f16 v101, v34, v35
	v_sub_f32_e32 v34, v61, v121
	ds_load_2addr_b32 v[49:50], v134 offset1:16
	ds_load_2addr_b32 v[51:52], v134 offset0:68 offset1:84
	ds_load_2addr_b32 v[61:62], v134 offset0:136 offset1:152
	;; [unrolled: 1-line block ×4, first 2 shown]
	v_mul_f32_e32 v35, 0x3fb8aa3b, v34
	v_cmp_ngt_f32_e64 s4, 0xc2ce8ed0, v34
	v_cmp_nlt_f32_e64 s5, 0x42b17218, v34
	s_delay_alu instid0(VALU_DEP_3) | instskip(SKIP_1) | instid1(VALU_DEP_1)
	v_fma_f32 v36, 0x3fb8aa3b, v34, -v35
	v_rndne_f32_e32 v37, v35
	v_dual_fmac_f32 v36, 0x32a5705f, v34 :: v_dual_sub_f32 v35, v35, v37
	s_waitcnt lgkmcnt(3)
	v_perm_b32 v41, v51, v49, 0x5040100
	s_delay_alu instid0(VALU_DEP_2)
	v_add_f32_e32 v35, v35, v36
	v_cvt_i32_f32_e32 v36, v37
	s_waitcnt lgkmcnt(1)
	v_perm_b32 v42, v63, v61, 0x5040100
	s_waitcnt lgkmcnt(0)
	v_perm_b32 v43, v66, v65, 0x5040100
	v_exp_f32_e32 v35, v35
	s_waitcnt_depctr 0xfff
	v_ldexp_f32 v35, v35, v36
	s_delay_alu instid0(VALU_DEP_1) | instskip(NEXT) | instid1(VALU_DEP_1)
	v_cndmask_b32_e64 v34, 0, v35, s4
	v_cndmask_b32_e64 v77, 0x7f800000, v34, s5
	ds_bpermute_b32 v34, v250, v77
	v_cndmask_b32_e64 v32, v32, v77, s2
	v_cndmask_b32_e64 v33, v33, v77, s3
	s_waitcnt lgkmcnt(0)
	s_delay_alu instid0(VALU_DEP_2) | instskip(NEXT) | instid1(VALU_DEP_2)
	v_cndmask_b32_e64 v32, v32, v34, s1
	v_cndmask_b32_e32 v33, v33, v34, vcc_lo
	s_delay_alu instid0(VALU_DEP_2) | instskip(NEXT) | instid1(VALU_DEP_2)
	v_cvt_f16_f32_e32 v34, v32
	v_cvt_f16_f32_e32 v35, v33
	s_delay_alu instid0(VALU_DEP_1) | instskip(SKIP_1) | instid1(VALU_DEP_1)
	v_pack_b32_f16 v102, v34, v35
	v_sub_f32_e32 v34, v83, v121
	v_mul_f32_e32 v35, 0x3fb8aa3b, v34
	v_cmp_ngt_f32_e64 s4, 0xc2ce8ed0, v34
	v_cmp_nlt_f32_e64 s5, 0x42b17218, v34
	s_delay_alu instid0(VALU_DEP_3) | instskip(SKIP_1) | instid1(VALU_DEP_1)
	v_fma_f32 v36, 0x3fb8aa3b, v34, -v35
	v_rndne_f32_e32 v37, v35
	v_dual_fmac_f32 v36, 0x32a5705f, v34 :: v_dual_sub_f32 v35, v35, v37
	s_delay_alu instid0(VALU_DEP_1) | instskip(SKIP_1) | instid1(VALU_DEP_2)
	v_add_f32_e32 v35, v35, v36
	v_cvt_i32_f32_e32 v36, v37
	v_exp_f32_e32 v35, v35
	s_waitcnt_depctr 0xfff
	v_ldexp_f32 v35, v35, v36
	s_delay_alu instid0(VALU_DEP_1) | instskip(NEXT) | instid1(VALU_DEP_1)
	v_cndmask_b32_e64 v34, 0, v35, s4
	v_cndmask_b32_e64 v78, 0x7f800000, v34, s5
	ds_bpermute_b32 v34, v250, v78
	v_cndmask_b32_e64 v32, v32, v78, s2
	v_cndmask_b32_e64 v33, v33, v78, s3
	s_waitcnt lgkmcnt(0)
	s_delay_alu instid0(VALU_DEP_2) | instskip(NEXT) | instid1(VALU_DEP_2)
	v_cndmask_b32_e64 v32, v32, v34, s1
	v_cndmask_b32_e32 v33, v33, v34, vcc_lo
	s_delay_alu instid0(VALU_DEP_2) | instskip(NEXT) | instid1(VALU_DEP_2)
	v_cvt_f16_f32_e32 v32, v32
	v_cvt_f16_f32_e32 v33, v33
	s_delay_alu instid0(VALU_DEP_1) | instskip(SKIP_1) | instid1(VALU_DEP_1)
	v_pack_b32_f16 v103, v32, v33
	v_sub_f32_e32 v32, v85, v121
	v_mul_f32_e32 v33, 0x3fb8aa3b, v32
	v_cmp_ngt_f32_e64 s4, 0xc2ce8ed0, v32
	v_cmp_nlt_f32_e64 s5, 0x42b17218, v32
	v_cmp_le_f32_e64 s6, 0xc1a00000, v32
	s_delay_alu instid0(VALU_DEP_4) | instskip(SKIP_1) | instid1(VALU_DEP_1)
	v_fma_f32 v34, 0x3fb8aa3b, v32, -v33
	v_rndne_f32_e32 v35, v33
	v_dual_fmac_f32 v34, 0x32a5705f, v32 :: v_dual_sub_f32 v33, v33, v35
	s_delay_alu instid0(VALU_DEP_1) | instskip(SKIP_1) | instid1(VALU_DEP_2)
	v_add_f32_e32 v33, v33, v34
	v_cvt_i32_f32_e32 v34, v35
	v_exp_f32_e32 v33, v33
	s_waitcnt_depctr 0xfff
	v_ldexp_f32 v33, v33, v34
	s_delay_alu instid0(VALU_DEP_1) | instskip(NEXT) | instid1(VALU_DEP_1)
	v_cndmask_b32_e64 v32, 0, v33, s4
	v_cndmask_b32_e64 v32, 0x7f800000, v32, s5
	s_delay_alu instid0(VALU_DEP_1)
	v_cndmask_b32_e64 v79, 0, v32, s6
	ds_load_2addr_b32 v[32:33], v53 offset0:132 offset1:152
	ds_load_2addr_b32 v[34:35], v53 offset0:200 offset1:220
	;; [unrolled: 1-line block ×9, first 2 shown]
	v_cvt_f16_f32_e32 v40, v79
	s_delay_alu instid0(VALU_DEP_1)
	v_pk_mul_f16 v24, v40, v24 op_sel_hi:[0,1]
	v_pk_mul_f16 v25, v40, v25 op_sel_hi:[0,1]
	;; [unrolled: 1-line block ×10, first 2 shown]
	s_waitcnt lgkmcnt(7)
	v_perm_b32 v44, v35, v33, 0x5040100
	s_waitcnt lgkmcnt(5)
	v_perm_b32 v45, v67, v37, 0x5040100
	;; [unrolled: 2-line block ×5, first 2 shown]
	v_pk_mul_f16 v18, v40, v18 op_sel_hi:[0,1]
	v_pk_mul_f16 v19, v40, v19 op_sel_hi:[0,1]
	;; [unrolled: 1-line block ×4, first 2 shown]
	v_wmma_f16_16x16x16_f16 v[24:31], v[41:48], v[96:103], v[24:31]
	v_perm_b32 v45, v67, v37, 0x7060302
	scratch_load_b32 v37, off, off offset:564 ; 4-byte Folded Reload
	v_perm_b32 v43, v66, v65, 0x7060302
	v_perm_b32 v47, v83, v82, 0x7060302
	;; [unrolled: 1-line block ×7, first 2 shown]
	v_pk_mul_f16 v22, v40, v22 op_sel_hi:[0,1]
	v_pk_mul_f16 v23, v40, v23 op_sel_hi:[0,1]
	;; [unrolled: 1-line block ×4, first 2 shown]
	v_wmma_f16_16x16x16_f16 v[24:31], v[41:48], v[96:103], v[24:31] op_sel:[0,0,1]
	v_perm_b32 v41, v52, v50, 0x5040100
	v_perm_b32 v42, v64, v62, 0x5040100
	;; [unrolled: 1-line block ×3, first 2 shown]
	v_pk_mul_f16 v10, v40, v10 op_sel_hi:[0,1]
	v_pk_mul_f16 v11, v40, v11 op_sel_hi:[0,1]
	;; [unrolled: 1-line block ×14, first 2 shown]
	s_waitcnt vmcnt(0)
	ds_load_b32 v33, v37 offset:1088
	ds_load_2addr_b32 v[65:66], v53 offset0:100 offset1:116
	ds_load_2addr_b32 v[82:83], v53 offset0:168 offset1:184
	;; [unrolled: 1-line block ×3, first 2 shown]
	ds_load_b32 v35, v37 offset:2176
	ds_load_b32 v37, v37 offset:3264
	ds_load_2addr_b32 v[115:116], v89 offset0:132 offset1:148
	ds_load_2addr_b32 v[117:118], v89 offset0:200 offset1:216
	;; [unrolled: 1-line block ×3, first 2 shown]
	s_waitcnt lgkmcnt(7)
	v_perm_b32 v43, v65, v33, 0x5040100
	s_waitcnt lgkmcnt(5)
	v_perm_b32 v44, v87, v82, 0x5040100
	;; [unrolled: 2-line block ×5, first 2 shown]
	s_delay_alu instid0(VALU_DEP_1)
	v_wmma_f16_16x16x16_f16 v[16:23], v[41:48], v[96:103], v[16:23]
	v_perm_b32 v41, v52, v50, 0x7060302
	v_perm_b32 v42, v64, v62, 0x7060302
	;; [unrolled: 1-line block ×3, first 2 shown]
	ds_load_2addr_b32 v[49:50], v134 offset0:32 offset1:48
	ds_load_2addr_b32 v[51:52], v134 offset0:100 offset1:116
	;; [unrolled: 1-line block ×4, first 2 shown]
	scratch_load_b32 v37, off, off offset:596 ; 4-byte Folded Reload
	v_perm_b32 v46, v81, v70, 0x7060302
	v_perm_b32 v45, v68, v35, 0x7060302
	;; [unrolled: 1-line block ×5, first 2 shown]
	v_add_nc_u32_e32 v115, 0x2000, v134
	s_delay_alu instid0(VALU_DEP_2)
	v_wmma_f16_16x16x16_f16 v[16:23], v[41:48], v[96:103], v[16:23] op_sel:[0,0,1]
	v_perm_b32 v44, v88, v83, 0x5040100
	v_perm_b32 v48, v120, v118, 0x5040100
	s_waitcnt lgkmcnt(2)
	v_perm_b32 v41, v51, v49, 0x5040100
	v_perm_b32 v40, v52, v50, 0x5040100
	s_waitcnt lgkmcnt(0)
	v_perm_b32 v42, v63, v61, 0x5040100
	s_waitcnt vmcnt(0)
	ds_load_b32 v33, v37 offset:1088
	ds_load_b32 v35, v37 offset:2176
	ds_load_2addr_b32 v[67:68], v55 offset0:132 offset1:148
	ds_load_2addr_b32 v[69:70], v55 offset0:200 offset1:216
	;; [unrolled: 1-line block ×3, first 2 shown]
	ds_load_b32 v37, v37 offset:3264
	s_waitcnt lgkmcnt(5)
	v_perm_b32 v43, v66, v33, 0x5040100
	s_waitcnt lgkmcnt(3)
	v_perm_b32 v45, v67, v35, 0x5040100
	;; [unrolled: 2-line block ×4, first 2 shown]
	s_delay_alu instid0(VALU_DEP_1)
	v_wmma_f16_16x16x16_f16 v[8:15], v[41:48], v[96:103], v[8:15]
	v_perm_b32 v47, v116, v37, 0x7060302
	scratch_load_b32 v37, off, off offset:620 ; 4-byte Folded Reload
	v_perm_b32 v43, v66, v33, 0x7060302
	v_perm_b32 v45, v67, v35, 0x7060302
	ds_load_2addr_b32 v[65:66], v94 offset0:44 offset1:64
	v_perm_b32 v44, v88, v83, 0x7060302
	v_perm_b32 v48, v120, v118, 0x7060302
	;; [unrolled: 1-line block ×5, first 2 shown]
	v_add_nc_u32_e32 v120, 0x2c00, v134
	s_delay_alu instid0(VALU_DEP_2)
	v_wmma_f16_16x16x16_f16 v[8:15], v[41:48], v[96:103], v[8:15] op_sel:[0,0,1]
	v_perm_b32 v41, v64, v62, 0x5040100
	v_perm_b32 v43, v36, v34, 0x5040100
	;; [unrolled: 1-line block ×3, first 2 shown]
	s_waitcnt lgkmcnt(0)
	v_perm_b32 v47, v65, v86, 0x5040100
	s_waitcnt vmcnt(0)
	ds_load_b32 v33, v37 offset:1088
	ds_load_b32 v35, v37 offset:2176
	ds_load_b32 v37, v37 offset:3264
	s_waitcnt lgkmcnt(2)
	v_perm_b32 v42, v32, v33, 0x5040100
	s_waitcnt lgkmcnt(1)
	v_perm_b32 v44, v68, v35, 0x5040100
	;; [unrolled: 2-line block ×3, first 2 shown]
	s_delay_alu instid0(VALU_DEP_1)
	v_wmma_f16_16x16x16_f16 v[0:7], v[40:47], v[96:103], v[0:7]
	v_perm_b32 v42, v32, v33, 0x7060302
	v_sub_f32_e32 v32, v60, v121
	v_perm_b32 v43, v36, v34, 0x7060302
	v_perm_b32 v44, v68, v35, 0x7060302
	;; [unrolled: 1-line block ×4, first 2 shown]
	v_mul_f32_e32 v33, 0x3fb8aa3b, v32
	v_perm_b32 v45, v81, v70, 0x7060302
	v_perm_b32 v46, v84, v37, 0x7060302
	;; [unrolled: 1-line block ×3, first 2 shown]
	v_cmp_ngt_f32_e64 s4, 0xc2ce8ed0, v32
	v_fma_f32 v34, 0x3fb8aa3b, v32, -v33
	v_rndne_f32_e32 v35, v33
	v_cmp_nlt_f32_e64 s5, 0x42b17218, v32
	v_wmma_f16_16x16x16_f16 v[0:7], v[40:47], v[96:103], v[0:7] op_sel:[0,0,1]
	s_delay_alu instid0(VALU_DEP_3) | instskip(SKIP_1) | instid1(VALU_DEP_2)
	v_dual_fmac_f32 v34, 0x32a5705f, v32 :: v_dual_sub_f32 v33, v33, v35
	v_cvt_i32_f32_e32 v35, v35
	v_dual_add_f32 v33, v33, v34 :: v_dual_sub_f32 v34, v59, v121
	s_delay_alu instid0(VALU_DEP_1) | instskip(NEXT) | instid1(VALU_DEP_1)
	v_exp_f32_e32 v33, v33
	v_mul_f32_e32 v36, 0x3fb8aa3b, v34
	v_cmp_ngt_f32_e64 s6, 0xc2ce8ed0, v34
	v_cmp_nlt_f32_e64 s7, 0x42b17218, v34
	s_delay_alu instid0(VALU_DEP_3)
	v_fma_f32 v37, 0x3fb8aa3b, v34, -v36
	v_rndne_f32_e32 v40, v36
	s_waitcnt_depctr 0xfff
	v_ldexp_f32 v33, v33, v35
	v_dual_fmac_f32 v37, 0x32a5705f, v34 :: v_dual_sub_f32 v36, v36, v40
	v_cvt_i32_f32_e32 v35, v40
	s_delay_alu instid0(VALU_DEP_3) | instskip(NEXT) | instid1(VALU_DEP_3)
	v_cndmask_b32_e64 v33, 0, v33, s4
	v_add_f32_e32 v36, v36, v37
	s_delay_alu instid0(VALU_DEP_2) | instskip(NEXT) | instid1(VALU_DEP_2)
	v_cndmask_b32_e64 v80, 0x7f800000, v33, s5
	v_exp_f32_e32 v32, v36
	s_waitcnt_depctr 0xfff
	v_ldexp_f32 v32, v32, v35
	s_delay_alu instid0(VALU_DEP_1) | instskip(NEXT) | instid1(VALU_DEP_1)
	v_cndmask_b32_e64 v32, 0, v32, s6
	v_cndmask_b32_e64 v81, 0x7f800000, v32, s7
	ds_bpermute_b32 v32, v250, v80
	ds_bpermute_b32 v34, v250, v81
	s_waitcnt lgkmcnt(1)
	v_cndmask_b32_e32 v33, v80, v32, vcc_lo
	v_cndmask_b32_e64 v32, v80, v32, s1
	s_delay_alu instid0(VALU_DEP_2) | instskip(NEXT) | instid1(VALU_DEP_2)
	v_cndmask_b32_e64 v36, v33, v81, s3
	v_cndmask_b32_e64 v35, v32, v81, s2
	v_cvt_f16_f32_e32 v32, v32
	v_cvt_f16_f32_e32 v33, v33
	s_waitcnt lgkmcnt(0)
	s_delay_alu instid0(VALU_DEP_3) | instskip(SKIP_1) | instid1(VALU_DEP_3)
	v_cndmask_b32_e64 v35, v35, v34, s1
	v_cndmask_b32_e32 v34, v36, v34, vcc_lo
	v_pack_b32_f16 v96, v32, v33
	v_sub_f32_e32 v32, v58, v121
	s_delay_alu instid0(VALU_DEP_4) | instskip(NEXT) | instid1(VALU_DEP_4)
	v_cvt_f16_f32_e32 v36, v35
	v_cvt_f16_f32_e32 v37, v34
	s_delay_alu instid0(VALU_DEP_3) | instskip(SKIP_2) | instid1(VALU_DEP_4)
	v_mul_f32_e32 v33, 0x3fb8aa3b, v32
	v_cmp_ngt_f32_e64 s4, 0xc2ce8ed0, v32
	v_cmp_nlt_f32_e64 s5, 0x42b17218, v32
	v_pack_b32_f16 v97, v36, v37
	s_delay_alu instid0(VALU_DEP_4) | instskip(SKIP_1) | instid1(VALU_DEP_1)
	v_fma_f32 v36, 0x3fb8aa3b, v32, -v33
	v_rndne_f32_e32 v37, v33
	v_dual_fmac_f32 v36, 0x32a5705f, v32 :: v_dual_sub_f32 v33, v33, v37
	s_delay_alu instid0(VALU_DEP_1) | instskip(SKIP_1) | instid1(VALU_DEP_2)
	v_add_f32_e32 v33, v33, v36
	v_cvt_i32_f32_e32 v36, v37
	v_exp_f32_e32 v33, v33
	s_waitcnt_depctr 0xfff
	v_ldexp_f32 v33, v33, v36
	s_delay_alu instid0(VALU_DEP_1) | instskip(NEXT) | instid1(VALU_DEP_1)
	v_cndmask_b32_e64 v32, 0, v33, s4
	v_cndmask_b32_e64 v82, 0x7f800000, v32, s5
	s_delay_alu instid0(VALU_DEP_1) | instskip(SKIP_3) | instid1(VALU_DEP_1)
	v_cndmask_b32_e64 v33, v34, v82, s3
	ds_bpermute_b32 v34, v250, v82
	v_cndmask_b32_e64 v32, v35, v82, s2
	s_waitcnt lgkmcnt(0)
	v_cndmask_b32_e64 v32, v32, v34, s1
	v_cndmask_b32_e32 v33, v33, v34, vcc_lo
	s_delay_alu instid0(VALU_DEP_2) | instskip(NEXT) | instid1(VALU_DEP_2)
	v_cvt_f16_f32_e32 v34, v32
	v_cvt_f16_f32_e32 v35, v33
	s_delay_alu instid0(VALU_DEP_1) | instskip(SKIP_1) | instid1(VALU_DEP_1)
	v_pack_b32_f16 v98, v34, v35
	v_sub_f32_e32 v34, v57, v121
	v_mul_f32_e32 v35, 0x3fb8aa3b, v34
	v_cmp_ngt_f32_e64 s4, 0xc2ce8ed0, v34
	v_cmp_nlt_f32_e64 s5, 0x42b17218, v34
	s_delay_alu instid0(VALU_DEP_3) | instskip(SKIP_1) | instid1(VALU_DEP_1)
	v_fma_f32 v36, 0x3fb8aa3b, v34, -v35
	v_rndne_f32_e32 v37, v35
	v_dual_fmac_f32 v36, 0x32a5705f, v34 :: v_dual_sub_f32 v35, v35, v37
	s_delay_alu instid0(VALU_DEP_1) | instskip(SKIP_1) | instid1(VALU_DEP_2)
	v_add_f32_e32 v35, v35, v36
	v_cvt_i32_f32_e32 v36, v37
	v_exp_f32_e32 v35, v35
	s_waitcnt_depctr 0xfff
	v_ldexp_f32 v35, v35, v36
	s_delay_alu instid0(VALU_DEP_1) | instskip(NEXT) | instid1(VALU_DEP_1)
	v_cndmask_b32_e64 v34, 0, v35, s4
	v_cndmask_b32_e64 v83, 0x7f800000, v34, s5
	ds_bpermute_b32 v34, v250, v83
	v_cndmask_b32_e64 v32, v32, v83, s2
	v_cndmask_b32_e64 v33, v33, v83, s3
	s_waitcnt lgkmcnt(0)
	s_delay_alu instid0(VALU_DEP_2) | instskip(NEXT) | instid1(VALU_DEP_2)
	v_cndmask_b32_e64 v32, v32, v34, s1
	v_cndmask_b32_e32 v33, v33, v34, vcc_lo
	s_delay_alu instid0(VALU_DEP_2) | instskip(NEXT) | instid1(VALU_DEP_2)
	v_cvt_f16_f32_e32 v34, v32
	v_cvt_f16_f32_e32 v35, v33
	s_delay_alu instid0(VALU_DEP_1) | instskip(SKIP_1) | instid1(VALU_DEP_1)
	v_pack_b32_f16 v99, v34, v35
	v_sub_f32_e32 v34, v56, v121
	v_mul_f32_e32 v35, 0x3fb8aa3b, v34
	v_cmp_ngt_f32_e64 s4, 0xc2ce8ed0, v34
	v_cmp_nlt_f32_e64 s5, 0x42b17218, v34
	s_delay_alu instid0(VALU_DEP_3) | instskip(SKIP_1) | instid1(VALU_DEP_1)
	v_fma_f32 v36, 0x3fb8aa3b, v34, -v35
	v_rndne_f32_e32 v37, v35
	v_dual_fmac_f32 v36, 0x32a5705f, v34 :: v_dual_sub_f32 v35, v35, v37
	s_delay_alu instid0(VALU_DEP_1) | instskip(SKIP_1) | instid1(VALU_DEP_2)
	v_add_f32_e32 v35, v35, v36
	v_cvt_i32_f32_e32 v36, v37
	v_exp_f32_e32 v35, v35
	s_waitcnt_depctr 0xfff
	v_ldexp_f32 v35, v35, v36
	s_delay_alu instid0(VALU_DEP_1) | instskip(NEXT) | instid1(VALU_DEP_1)
	v_cndmask_b32_e64 v34, 0, v35, s4
	v_cndmask_b32_e64 v84, 0x7f800000, v34, s5
	ds_bpermute_b32 v34, v250, v84
	v_cndmask_b32_e64 v32, v32, v84, s2
	v_cndmask_b32_e64 v33, v33, v84, s3
	s_waitcnt lgkmcnt(0)
	s_delay_alu instid0(VALU_DEP_2) | instskip(NEXT) | instid1(VALU_DEP_2)
	;; [unrolled: 29-line block ×4, first 2 shown]
	v_cndmask_b32_e64 v32, v32, v34, s1
	v_cndmask_b32_e32 v33, v33, v34, vcc_lo
	s_delay_alu instid0(VALU_DEP_2) | instskip(NEXT) | instid1(VALU_DEP_2)
	v_cvt_f16_f32_e32 v34, v32
	v_cvt_f16_f32_e32 v35, v33
	s_delay_alu instid0(VALU_DEP_1) | instskip(SKIP_2) | instid1(VALU_DEP_2)
	v_pack_b32_f16 v102, v34, v35
	v_sub_f32_e32 v34, v38, v121
	v_add_nc_u32_e32 v38, 0x1c00, v134
	v_mul_f32_e32 v35, 0x3fb8aa3b, v34
	v_cmp_ngt_f32_e64 s4, 0xc2ce8ed0, v34
	v_cmp_nlt_f32_e64 s5, 0x42b17218, v34
	s_delay_alu instid0(VALU_DEP_3) | instskip(SKIP_1) | instid1(VALU_DEP_1)
	v_fma_f32 v36, 0x3fb8aa3b, v34, -v35
	v_rndne_f32_e32 v37, v35
	v_dual_fmac_f32 v36, 0x32a5705f, v34 :: v_dual_sub_f32 v35, v35, v37
	s_delay_alu instid0(VALU_DEP_1) | instskip(SKIP_2) | instid1(VALU_DEP_3)
	v_add_f32_e32 v35, v35, v36
	v_cvt_i32_f32_e32 v36, v37
	v_add_nc_u32_e32 v37, 0x1a00, v134
	v_exp_f32_e32 v35, v35
	s_waitcnt_depctr 0xfff
	v_ldexp_f32 v35, v35, v36
	v_add_nc_u32_e32 v36, 0x1800, v134
	s_delay_alu instid0(VALU_DEP_2) | instskip(SKIP_1) | instid1(VALU_DEP_2)
	v_cndmask_b32_e64 v34, 0, v35, s4
	v_add_nc_u32_e32 v35, 0x1400, v134
	v_cndmask_b32_e64 v87, 0x7f800000, v34, s5
	ds_bpermute_b32 v34, v250, v87
	v_cndmask_b32_e64 v32, v32, v87, s2
	v_cndmask_b32_e64 v33, v33, v87, s3
	s_waitcnt lgkmcnt(0)
	s_delay_alu instid0(VALU_DEP_2) | instskip(NEXT) | instid1(VALU_DEP_2)
	v_cndmask_b32_e64 v32, v32, v34, s1
	v_cndmask_b32_e32 v33, v33, v34, vcc_lo
	s_delay_alu instid0(VALU_DEP_2) | instskip(NEXT) | instid1(VALU_DEP_2)
	v_cvt_f16_f32_e32 v32, v32
	v_cvt_f16_f32_e32 v33, v33
	s_delay_alu instid0(VALU_DEP_1)
	v_pack_b32_f16 v103, v32, v33
	v_add_nc_u32_e32 v32, 0x1200, v134
	ds_load_2addr_b32 v[40:41], v32 offset0:120 offset1:140
	ds_load_2addr_b32 v[42:43], v94 offset0:112 offset1:132
	;; [unrolled: 1-line block ×3, first 2 shown]
	scratch_load_b32 v34, off, off offset:540 ; 4-byte Folded Reload
	s_waitcnt vmcnt(0)
	ds_load_b32 v32, v34 offset:1088
	ds_load_2addr_b32 v[46:47], v35 offset0:60 offset1:148
	ds_load_2addr_b32 v[48:49], v35 offset0:196 offset1:216
	ds_load_2addr_b32 v[50:51], v36 offset0:8 offset1:28
	ds_load_b32 v33, v34 offset:2176
	ds_load_2addr_b32 v[52:53], v36 offset0:76 offset1:164
	ds_load_2addr_b32 v[54:55], v36 offset0:212 offset1:232
	ds_load_2addr_b32 v[56:57], v38 offset0:24 offset1:44
	;; [unrolled: 4-line block ×3, first 2 shown]
	s_waitcnt lgkmcnt(13)
	v_perm_b32 v122, v43, v66, 0x5040100
	s_waitcnt lgkmcnt(12)
	v_perm_b32 v123, v41, v45, 0x5040100
	;; [unrolled: 2-line block ×8, first 2 shown]
	s_delay_alu instid0(VALU_DEP_1)
	v_wmma_f16_16x16x16_f16 v[24:31], v[122:129], v[96:103], v[24:31]
	v_perm_b32 v122, v43, v66, 0x7060302
	v_perm_b32 v129, v63, v61, 0x7060302
	ds_load_2addr_b32 v[63:64], v94 offset0:80 offset1:96
	ds_load_2addr_b32 v[65:66], v94 offset0:148 offset1:164
	;; [unrolled: 1-line block ×4, first 2 shown]
	scratch_load_b32 v39, off, off offset:572 ; 4-byte Folded Reload
	v_perm_b32 v124, v47, v32, 0x7060302
	v_perm_b32 v126, v53, v33, 0x7060302
	;; [unrolled: 1-line block ×6, first 2 shown]
	s_waitcnt vmcnt(0)
	ds_load_b32 v41, v39 offset:1088
	ds_load_2addr_b32 v[88:89], v35 offset0:164 offset1:180
	v_wmma_f16_16x16x16_f16 v[24:31], v[122:129], v[96:103], v[24:31] op_sel:[0,0,1]
	ds_load_2addr_b32 v[116:117], v35 offset0:232 offset1:248
	ds_load_2addr_b32 v[118:119], v36 offset0:44 offset1:60
	ds_load_b32 v43, v39 offset:2176
	ds_load_2addr_b32 v[122:123], v36 offset0:180 offset1:196
	ds_load_2addr_b32 v[124:125], v37 offset0:120 offset1:136
	;; [unrolled: 1-line block ×3, first 2 shown]
	ds_load_b32 v45, v39 offset:3264
	ds_load_2addr_b32 v[128:129], v38 offset0:196 offset1:212
	ds_load_2addr_b32 v[130:131], v115 offset0:8 offset1:24
	;; [unrolled: 1-line block ×3, first 2 shown]
	s_waitcnt lgkmcnt(14)
	v_perm_b32 v32, v65, v63, 0x5040100
	s_waitcnt lgkmcnt(12)
	v_perm_b32 v33, v69, v67, 0x5040100
	v_add_nc_u32_e32 v94, 0x2400, v134
	s_waitcnt lgkmcnt(10)
	v_perm_b32 v34, v88, v41, 0x5040100
	s_waitcnt lgkmcnt(8)
	v_perm_b32 v35, v118, v116, 0x5040100
	;; [unrolled: 2-line block ×6, first 2 shown]
	s_delay_alu instid0(VALU_DEP_1)
	v_wmma_f16_16x16x16_f16 v[16:23], v[32:39], v[96:103], v[16:23]
	v_perm_b32 v34, v88, v41, 0x7060302
	v_perm_b32 v36, v122, v43, 0x7060302
	;; [unrolled: 1-line block ×8, first 2 shown]
	s_delay_alu instid0(VALU_DEP_1)
	v_wmma_f16_16x16x16_f16 v[16:23], v[32:39], v[96:103], v[16:23] op_sel:[0,0,1]
	scratch_load_b32 v38, off, off offset:604 ; 4-byte Folded Reload
	v_perm_b32 v32, v66, v64, 0x5040100
	v_perm_b32 v33, v70, v68, 0x5040100
	;; [unrolled: 1-line block ×5, first 2 shown]
	s_waitcnt vmcnt(0)
	ds_load_b32 v41, v38 offset:1088
	ds_load_b32 v43, v38 offset:2176
	;; [unrolled: 1-line block ×3, first 2 shown]
	s_waitcnt lgkmcnt(2)
	v_perm_b32 v34, v89, v41, 0x5040100
	s_waitcnt lgkmcnt(1)
	v_perm_b32 v36, v123, v43, 0x5040100
	;; [unrolled: 2-line block ×3, first 2 shown]
	s_delay_alu instid0(VALU_DEP_1)
	v_wmma_f16_16x16x16_f16 v[8:15], v[32:39], v[96:103], v[8:15]
	v_perm_b32 v32, v66, v64, 0x7060302
	v_perm_b32 v33, v70, v68, 0x7060302
	;; [unrolled: 1-line block ×8, first 2 shown]
	ds_load_2addr_b32 v[63:64], v115 offset0:108 offset1:128
	v_wmma_f16_16x16x16_f16 v[8:15], v[32:39], v[96:103], v[8:15] op_sel:[0,0,1]
	scratch_load_b32 v38, off, off offset:624 ; 4-byte Folded Reload
	v_perm_b32 v32, v44, v42, 0x5040100
	v_perm_b32 v33, v46, v40, 0x5040100
	;; [unrolled: 1-line block ×4, first 2 shown]
	s_waitcnt lgkmcnt(0)
	v_perm_b32 v39, v63, v62, 0x5040100
	s_waitcnt vmcnt(0)
	ds_load_b32 v41, v38 offset:1088
	ds_load_b32 v43, v38 offset:2176
	;; [unrolled: 1-line block ×3, first 2 shown]
	s_waitcnt lgkmcnt(2)
	v_perm_b32 v34, v48, v41, 0x5040100
	s_waitcnt lgkmcnt(1)
	v_perm_b32 v36, v54, v43, 0x5040100
	;; [unrolled: 2-line block ×3, first 2 shown]
	s_delay_alu instid0(VALU_DEP_1)
	v_wmma_f16_16x16x16_f16 v[0:7], v[32:39], v[96:103], v[0:7]
	v_perm_b32 v32, v44, v42, 0x7060302
	v_perm_b32 v33, v46, v40, 0x7060302
	;; [unrolled: 1-line block ×8, first 2 shown]
	s_delay_alu instid0(VALU_DEP_1) | instskip(SKIP_1) | instid1(VALU_DEP_1)
	v_wmma_f16_16x16x16_f16 v[0:7], v[32:39], v[96:103], v[0:7] op_sel:[0,0,1]
	v_dual_sub_f32 v32, v114, v121 :: v_dual_add_nc_u32 v103, 0x2800, v134
	v_mul_f32_e32 v33, 0x3fb8aa3b, v32
	v_cmp_ngt_f32_e64 s4, 0xc2ce8ed0, v32
	v_cmp_nlt_f32_e64 s5, 0x42b17218, v32
	s_delay_alu instid0(VALU_DEP_3) | instskip(SKIP_1) | instid1(VALU_DEP_1)
	v_fma_f32 v34, 0x3fb8aa3b, v32, -v33
	v_rndne_f32_e32 v35, v33
	v_dual_fmac_f32 v34, 0x32a5705f, v32 :: v_dual_sub_f32 v33, v33, v35
	v_cvt_i32_f32_e32 v35, v35
	s_delay_alu instid0(VALU_DEP_2) | instskip(SKIP_1) | instid1(VALU_DEP_2)
	v_add_f32_e32 v33, v33, v34
	v_sub_f32_e32 v34, v113, v121
	v_exp_f32_e32 v33, v33
	s_delay_alu instid0(VALU_DEP_1) | instskip(SKIP_2) | instid1(VALU_DEP_3)
	v_mul_f32_e32 v36, 0x3fb8aa3b, v34
	v_cmp_ngt_f32_e64 s6, 0xc2ce8ed0, v34
	v_cmp_nlt_f32_e64 s7, 0x42b17218, v34
	v_fma_f32 v37, 0x3fb8aa3b, v34, -v36
	v_rndne_f32_e32 v38, v36
	s_waitcnt_depctr 0xfff
	v_ldexp_f32 v33, v33, v35
	v_fmac_f32_e32 v37, 0x32a5705f, v34
	v_sub_f32_e32 v36, v36, v38
	v_cvt_i32_f32_e32 v35, v38
	s_delay_alu instid0(VALU_DEP_4) | instskip(NEXT) | instid1(VALU_DEP_3)
	v_cndmask_b32_e64 v33, 0, v33, s4
	v_add_f32_e32 v36, v36, v37
	s_delay_alu instid0(VALU_DEP_2) | instskip(NEXT) | instid1(VALU_DEP_2)
	v_cndmask_b32_e64 v65, 0x7f800000, v33, s5
	v_exp_f32_e32 v32, v36
	s_waitcnt_depctr 0xfff
	v_ldexp_f32 v32, v32, v35
	s_delay_alu instid0(VALU_DEP_1) | instskip(NEXT) | instid1(VALU_DEP_1)
	v_cndmask_b32_e64 v32, 0, v32, s6
	v_cndmask_b32_e64 v66, 0x7f800000, v32, s7
	ds_bpermute_b32 v32, v250, v65
	ds_bpermute_b32 v34, v250, v66
	s_waitcnt lgkmcnt(1)
	v_cndmask_b32_e32 v33, v65, v32, vcc_lo
	v_cndmask_b32_e64 v32, v65, v32, s1
	s_delay_alu instid0(VALU_DEP_2) | instskip(NEXT) | instid1(VALU_DEP_2)
	v_cndmask_b32_e64 v36, v33, v66, s3
	v_cndmask_b32_e64 v35, v32, v66, s2
	v_cvt_f16_f32_e32 v32, v32
	v_cvt_f16_f32_e32 v33, v33
	s_waitcnt lgkmcnt(0)
	s_delay_alu instid0(VALU_DEP_3) | instskip(SKIP_1) | instid1(VALU_DEP_3)
	v_cndmask_b32_e64 v35, v35, v34, s1
	v_cndmask_b32_e32 v34, v36, v34, vcc_lo
	v_pack_b32_f16 v32, v32, v33
	s_delay_alu instid0(VALU_DEP_3) | instskip(NEXT) | instid1(VALU_DEP_3)
	v_cvt_f16_f32_e32 v36, v35
	v_cvt_f16_f32_e32 v37, v34
	s_delay_alu instid0(VALU_DEP_1) | instskip(SKIP_1) | instid1(VALU_DEP_1)
	v_pack_b32_f16 v33, v36, v37
	v_sub_f32_e32 v36, v112, v121
	v_mul_f32_e32 v37, 0x3fb8aa3b, v36
	v_cmp_ngt_f32_e64 s4, 0xc2ce8ed0, v36
	v_cmp_nlt_f32_e64 s5, 0x42b17218, v36
	s_delay_alu instid0(VALU_DEP_3) | instskip(SKIP_1) | instid1(VALU_DEP_1)
	v_fma_f32 v38, 0x3fb8aa3b, v36, -v37
	v_rndne_f32_e32 v39, v37
	v_dual_fmac_f32 v38, 0x32a5705f, v36 :: v_dual_sub_f32 v37, v37, v39
	s_delay_alu instid0(VALU_DEP_1) | instskip(SKIP_1) | instid1(VALU_DEP_2)
	v_add_f32_e32 v37, v37, v38
	v_cvt_i32_f32_e32 v38, v39
	v_exp_f32_e32 v37, v37
	s_waitcnt_depctr 0xfff
	v_ldexp_f32 v37, v37, v38
	s_delay_alu instid0(VALU_DEP_1) | instskip(NEXT) | instid1(VALU_DEP_1)
	v_cndmask_b32_e64 v36, 0, v37, s4
	v_cndmask_b32_e64 v67, 0x7f800000, v36, s5
	ds_bpermute_b32 v36, v250, v67
	v_cndmask_b32_e64 v35, v35, v67, s2
	v_cndmask_b32_e64 v34, v34, v67, s3
	s_waitcnt lgkmcnt(0)
	s_delay_alu instid0(VALU_DEP_2) | instskip(NEXT) | instid1(VALU_DEP_2)
	v_cndmask_b32_e64 v35, v35, v36, s1
	v_cndmask_b32_e32 v36, v34, v36, vcc_lo
	s_delay_alu instid0(VALU_DEP_2) | instskip(NEXT) | instid1(VALU_DEP_2)
	v_cvt_f16_f32_e32 v34, v35
	v_cvt_f16_f32_e32 v37, v36
	s_delay_alu instid0(VALU_DEP_1) | instskip(SKIP_1) | instid1(VALU_DEP_1)
	v_pack_b32_f16 v34, v34, v37
	v_sub_f32_e32 v37, v111, v121
	v_mul_f32_e32 v38, 0x3fb8aa3b, v37
	v_cmp_ngt_f32_e64 s4, 0xc2ce8ed0, v37
	v_cmp_nlt_f32_e64 s5, 0x42b17218, v37
	s_delay_alu instid0(VALU_DEP_3) | instskip(SKIP_1) | instid1(VALU_DEP_1)
	v_fma_f32 v39, 0x3fb8aa3b, v37, -v38
	v_rndne_f32_e32 v40, v38
	v_dual_fmac_f32 v39, 0x32a5705f, v37 :: v_dual_sub_f32 v38, v38, v40
	s_delay_alu instid0(VALU_DEP_1) | instskip(SKIP_1) | instid1(VALU_DEP_2)
	v_add_f32_e32 v38, v38, v39
	v_cvt_i32_f32_e32 v39, v40
	v_exp_f32_e32 v38, v38
	s_waitcnt_depctr 0xfff
	v_ldexp_f32 v38, v38, v39
	s_delay_alu instid0(VALU_DEP_1) | instskip(NEXT) | instid1(VALU_DEP_1)
	v_cndmask_b32_e64 v37, 0, v38, s4
	v_cndmask_b32_e64 v68, 0x7f800000, v37, s5
	ds_bpermute_b32 v37, v250, v68
	v_cndmask_b32_e64 v35, v35, v68, s2
	v_cndmask_b32_e64 v36, v36, v68, s3
	s_waitcnt lgkmcnt(0)
	s_delay_alu instid0(VALU_DEP_2) | instskip(NEXT) | instid1(VALU_DEP_2)
	v_cndmask_b32_e64 v38, v35, v37, s1
	v_cndmask_b32_e32 v36, v36, v37, vcc_lo
	s_delay_alu instid0(VALU_DEP_2) | instskip(NEXT) | instid1(VALU_DEP_2)
	v_cvt_f16_f32_e32 v35, v38
	v_cvt_f16_f32_e32 v37, v36
	s_delay_alu instid0(VALU_DEP_1) | instskip(SKIP_1) | instid1(VALU_DEP_1)
	v_pack_b32_f16 v35, v35, v37
	v_sub_f32_e32 v37, v110, v121
	v_mul_f32_e32 v39, 0x3fb8aa3b, v37
	v_cmp_ngt_f32_e64 s4, 0xc2ce8ed0, v37
	v_cmp_nlt_f32_e64 s5, 0x42b17218, v37
	s_delay_alu instid0(VALU_DEP_3) | instskip(SKIP_1) | instid1(VALU_DEP_2)
	v_fma_f32 v40, 0x3fb8aa3b, v37, -v39
	v_rndne_f32_e32 v41, v39
	v_fmac_f32_e32 v40, 0x32a5705f, v37
	s_delay_alu instid0(VALU_DEP_2) | instskip(NEXT) | instid1(VALU_DEP_1)
	v_sub_f32_e32 v39, v39, v41
	v_add_f32_e32 v39, v39, v40
	v_cvt_i32_f32_e32 v40, v41
	s_delay_alu instid0(VALU_DEP_2) | instskip(SKIP_2) | instid1(VALU_DEP_1)
	v_exp_f32_e32 v39, v39
	s_waitcnt_depctr 0xfff
	v_ldexp_f32 v39, v39, v40
	v_cndmask_b32_e64 v37, 0, v39, s4
	s_delay_alu instid0(VALU_DEP_1) | instskip(NEXT) | instid1(VALU_DEP_1)
	v_cndmask_b32_e64 v69, 0x7f800000, v37, s5
	v_cndmask_b32_e64 v37, v38, v69, s2
	ds_bpermute_b32 v38, v250, v69
	v_cndmask_b32_e64 v36, v36, v69, s3
	s_waitcnt lgkmcnt(0)
	v_cndmask_b32_e64 v37, v37, v38, s1
	s_delay_alu instid0(VALU_DEP_2) | instskip(NEXT) | instid1(VALU_DEP_2)
	v_cndmask_b32_e32 v38, v36, v38, vcc_lo
	v_cvt_f16_f32_e32 v36, v37
	s_delay_alu instid0(VALU_DEP_2) | instskip(NEXT) | instid1(VALU_DEP_1)
	v_cvt_f16_f32_e32 v39, v38
	v_pack_b32_f16 v36, v36, v39
	v_sub_f32_e32 v39, v92, v121
	s_delay_alu instid0(VALU_DEP_1) | instskip(SKIP_2) | instid1(VALU_DEP_3)
	v_mul_f32_e32 v40, 0x3fb8aa3b, v39
	v_cmp_ngt_f32_e64 s4, 0xc2ce8ed0, v39
	v_cmp_nlt_f32_e64 s5, 0x42b17218, v39
	v_fma_f32 v41, 0x3fb8aa3b, v39, -v40
	v_rndne_f32_e32 v42, v40
	s_delay_alu instid0(VALU_DEP_1) | instskip(NEXT) | instid1(VALU_DEP_1)
	v_dual_fmac_f32 v41, 0x32a5705f, v39 :: v_dual_sub_f32 v40, v40, v42
	v_add_f32_e32 v40, v40, v41
	v_cvt_i32_f32_e32 v41, v42
	s_delay_alu instid0(VALU_DEP_2) | instskip(SKIP_2) | instid1(VALU_DEP_1)
	v_exp_f32_e32 v40, v40
	s_waitcnt_depctr 0xfff
	v_ldexp_f32 v40, v40, v41
	v_cndmask_b32_e64 v39, 0, v40, s4
	s_delay_alu instid0(VALU_DEP_1) | instskip(SKIP_4) | instid1(VALU_DEP_2)
	v_cndmask_b32_e64 v70, 0x7f800000, v39, s5
	ds_bpermute_b32 v39, v250, v70
	v_cndmask_b32_e64 v37, v37, v70, s2
	v_cndmask_b32_e64 v38, v38, v70, s3
	s_waitcnt lgkmcnt(0)
	v_cndmask_b32_e64 v40, v37, v39, s1
	s_delay_alu instid0(VALU_DEP_2) | instskip(NEXT) | instid1(VALU_DEP_2)
	v_cndmask_b32_e32 v38, v38, v39, vcc_lo
	v_cvt_f16_f32_e32 v37, v40
	s_delay_alu instid0(VALU_DEP_2) | instskip(NEXT) | instid1(VALU_DEP_1)
	v_cvt_f16_f32_e32 v39, v38
	v_pack_b32_f16 v37, v37, v39
	v_sub_f32_e32 v39, v91, v121
	s_delay_alu instid0(VALU_DEP_1) | instskip(SKIP_2) | instid1(VALU_DEP_3)
	v_mul_f32_e32 v41, 0x3fb8aa3b, v39
	v_cmp_ngt_f32_e64 s4, 0xc2ce8ed0, v39
	v_cmp_nlt_f32_e64 s5, 0x42b17218, v39
	v_fma_f32 v42, 0x3fb8aa3b, v39, -v41
	v_rndne_f32_e32 v43, v41
	s_delay_alu instid0(VALU_DEP_2) | instskip(NEXT) | instid1(VALU_DEP_2)
	v_fmac_f32_e32 v42, 0x32a5705f, v39
	v_sub_f32_e32 v41, v41, v43
	s_delay_alu instid0(VALU_DEP_1) | instskip(SKIP_1) | instid1(VALU_DEP_2)
	v_add_f32_e32 v41, v41, v42
	v_cvt_i32_f32_e32 v42, v43
	v_exp_f32_e32 v41, v41
	s_waitcnt_depctr 0xfff
	v_ldexp_f32 v41, v41, v42
	s_delay_alu instid0(VALU_DEP_1) | instskip(NEXT) | instid1(VALU_DEP_1)
	v_cndmask_b32_e64 v39, 0, v41, s4
	v_cndmask_b32_e64 v112, 0x7f800000, v39, s5
	s_delay_alu instid0(VALU_DEP_1) | instskip(SKIP_4) | instid1(VALU_DEP_2)
	v_cndmask_b32_e64 v39, v40, v112, s2
	ds_bpermute_b32 v40, v250, v112
	v_cndmask_b32_e64 v38, v38, v112, s3
	s_waitcnt lgkmcnt(0)
	v_cndmask_b32_e64 v39, v39, v40, s1
	v_cndmask_b32_e32 v40, v38, v40, vcc_lo
	s_delay_alu instid0(VALU_DEP_2) | instskip(NEXT) | instid1(VALU_DEP_2)
	v_cvt_f16_f32_e32 v38, v39
	v_cvt_f16_f32_e32 v41, v40
	s_delay_alu instid0(VALU_DEP_1) | instskip(SKIP_1) | instid1(VALU_DEP_1)
	v_pack_b32_f16 v38, v38, v41
	v_dual_sub_f32 v41, v90, v121 :: v_dual_add_nc_u32 v90, 0x3000, v134
	v_mul_f32_e32 v42, 0x3fb8aa3b, v41
	v_cmp_ngt_f32_e64 s4, 0xc2ce8ed0, v41
	v_cmp_nlt_f32_e64 s5, 0x42b17218, v41
	s_delay_alu instid0(VALU_DEP_3) | instskip(SKIP_1) | instid1(VALU_DEP_1)
	v_fma_f32 v43, 0x3fb8aa3b, v41, -v42
	v_rndne_f32_e32 v44, v42
	v_dual_fmac_f32 v43, 0x32a5705f, v41 :: v_dual_sub_f32 v42, v42, v44
	s_delay_alu instid0(VALU_DEP_1) | instskip(SKIP_1) | instid1(VALU_DEP_2)
	v_add_f32_e32 v42, v42, v43
	v_cvt_i32_f32_e32 v43, v44
	v_exp_f32_e32 v42, v42
	s_waitcnt_depctr 0xfff
	v_ldexp_f32 v42, v42, v43
	s_delay_alu instid0(VALU_DEP_1) | instskip(NEXT) | instid1(VALU_DEP_1)
	v_cndmask_b32_e64 v41, 0, v42, s4
	v_cndmask_b32_e64 v113, 0x7f800000, v41, s5
	ds_bpermute_b32 v41, v250, v113
	v_cndmask_b32_e64 v39, v39, v113, s2
	v_cndmask_b32_e64 v40, v40, v113, s3
	s_waitcnt lgkmcnt(0)
	s_delay_alu instid0(VALU_DEP_2) | instskip(NEXT) | instid1(VALU_DEP_2)
	v_cndmask_b32_e64 v39, v39, v41, s1
	v_cndmask_b32_e32 v40, v40, v41, vcc_lo
	s_delay_alu instid0(VALU_DEP_2) | instskip(NEXT) | instid1(VALU_DEP_2)
	v_cvt_f16_f32_e32 v39, v39
	v_cvt_f16_f32_e32 v40, v40
	s_delay_alu instid0(VALU_DEP_1)
	v_pack_b32_f16 v39, v39, v40
	v_add_nc_u32_e32 v40, 0x2200, v134
	ds_load_2addr_b32 v[48:49], v40 offset0:116 offset1:136
	ds_load_2addr_b32 v[50:51], v115 offset0:176 offset1:196
	ds_load_2addr_b32 v[52:53], v94 offset0:56 offset1:76
	scratch_load_b32 v46, off, off offset:548 ; 4-byte Folded Reload
	s_waitcnt vmcnt(0)
	ds_load_b32 v100, v46 offset:1088
	ds_load_2addr_b32 v[54:55], v94 offset0:124 offset1:212
	ds_load_2addr_b32 v[56:57], v103 offset0:4 offset1:24
	ds_load_2addr_b32 v[58:59], v103 offset0:72 offset1:92
	ds_load_b32 v101, v46 offset:2176
	ds_load_2addr_b32 v[60:61], v103 offset0:140 offset1:228
	ds_load_2addr_b32 v[62:63], v120 offset0:20 offset1:40
	ds_load_2addr_b32 v[88:89], v120 offset0:88 offset1:108
	;; [unrolled: 4-line block ×3, first 2 shown]
	s_waitcnt lgkmcnt(13)
	v_perm_b32 v40, v51, v64, 0x5040100
	s_waitcnt lgkmcnt(12)
	v_perm_b32 v41, v53, v49, 0x5040100
	;; [unrolled: 2-line block ×8, first 2 shown]
	s_delay_alu instid0(VALU_DEP_1)
	v_wmma_f16_16x16x16_f16 v[24:31], v[40:47], v[32:39], v[24:31]
	v_perm_b32 v40, v51, v64, 0x7060302
	v_perm_b32 v42, v55, v100, 0x7060302
	;; [unrolled: 1-line block ×8, first 2 shown]
	ds_load_2addr_b32 v[63:64], v115 offset0:144 offset1:160
	ds_load_2addr_b32 v[99:100], v115 offset0:212 offset1:228
	ds_load_2addr_b32 v[101:102], v94 offset0:24 offset1:40
	ds_load_2addr_b32 v[110:111], v94 offset0:92 offset1:108
	v_add_nc_u32_e32 v92, 0x3800, v134
	v_wmma_f16_16x16x16_f16 v[24:31], v[40:47], v[32:39], v[24:31] op_sel:[0,0,1]
	scratch_load_b32 v46, off, off offset:580 ; 4-byte Folded Reload
	v_add_nc_u32_e32 v44, 0x2a00, v134
	s_waitcnt vmcnt(0)
	ds_load_b32 v49, v46 offset:1088
	ds_load_2addr_b32 v[114:115], v94 offset0:228 offset1:244
	ds_load_2addr_b32 v[116:117], v103 offset0:40 offset1:56
	ds_load_2addr_b32 v[118:119], v103 offset0:108 offset1:124
	ds_load_b32 v51, v46 offset:2176
	ds_load_2addr_b32 v[122:123], v44 offset0:116 offset1:132
	ds_load_2addr_b32 v[124:125], v120 offset0:56 offset1:72
	ds_load_2addr_b32 v[126:127], v120 offset0:124 offset1:140
	;; [unrolled: 4-line block ×3, first 2 shown]
	s_waitcnt lgkmcnt(14)
	v_perm_b32 v40, v99, v63, 0x5040100
	s_waitcnt lgkmcnt(12)
	v_perm_b32 v41, v110, v101, 0x5040100
	;; [unrolled: 2-line block ×8, first 2 shown]
	s_delay_alu instid0(VALU_DEP_1)
	v_wmma_f16_16x16x16_f16 v[16:23], v[40:47], v[32:39], v[16:23]
	v_perm_b32 v42, v114, v49, 0x7060302
	v_perm_b32 v44, v122, v51, 0x7060302
	;; [unrolled: 1-line block ×8, first 2 shown]
	s_delay_alu instid0(VALU_DEP_1)
	v_wmma_f16_16x16x16_f16 v[16:23], v[40:47], v[32:39], v[16:23] op_sel:[0,0,1]
	scratch_load_b32 v46, off, off offset:612 ; 4-byte Folded Reload
	v_perm_b32 v40, v100, v64, 0x5040100
	v_perm_b32 v41, v111, v102, 0x5040100
	;; [unrolled: 1-line block ×5, first 2 shown]
	s_waitcnt vmcnt(0)
	ds_load_b32 v49, v46 offset:1088
	ds_load_b32 v51, v46 offset:2176
	;; [unrolled: 1-line block ×3, first 2 shown]
	s_waitcnt lgkmcnt(2)
	v_perm_b32 v42, v115, v49, 0x5040100
	s_waitcnt lgkmcnt(1)
	v_perm_b32 v44, v123, v51, 0x5040100
	;; [unrolled: 2-line block ×3, first 2 shown]
	s_delay_alu instid0(VALU_DEP_1)
	v_wmma_f16_16x16x16_f16 v[8:15], v[40:47], v[32:39], v[8:15]
	v_perm_b32 v40, v100, v64, 0x7060302
	v_perm_b32 v41, v111, v102, 0x7060302
	;; [unrolled: 1-line block ×8, first 2 shown]
	ds_load_2addr_b32 v[63:64], v90 offset0:172 offset1:192
	v_add_nc_u32_e32 v129, 0x4000, v134
	v_wmma_f16_16x16x16_f16 v[8:15], v[40:47], v[32:39], v[8:15] op_sel:[0,0,1]
	scratch_load_b32 v46, off, off offset:628 ; 4-byte Folded Reload
	v_perm_b32 v40, v48, v50, 0x5040100
	v_perm_b32 v41, v54, v52, 0x5040100
	;; [unrolled: 1-line block ×4, first 2 shown]
	s_waitcnt lgkmcnt(0)
	v_perm_b32 v47, v63, v98, 0x5040100
	s_waitcnt vmcnt(0)
	ds_load_b32 v49, v46 offset:1088
	ds_load_b32 v51, v46 offset:2176
	;; [unrolled: 1-line block ×3, first 2 shown]
	s_waitcnt lgkmcnt(2)
	v_perm_b32 v42, v56, v49, 0x5040100
	s_waitcnt lgkmcnt(1)
	v_perm_b32 v44, v62, v51, 0x5040100
	s_waitcnt lgkmcnt(0)
	v_perm_b32 v46, v96, v53, 0x5040100
	s_delay_alu instid0(VALU_DEP_1)
	v_wmma_f16_16x16x16_f16 v[0:7], v[40:47], v[32:39], v[0:7]
	v_perm_b32 v40, v48, v50, 0x7060302
	v_perm_b32 v41, v54, v52, 0x7060302
	;; [unrolled: 1-line block ×8, first 2 shown]
	v_add_nc_u32_e32 v91, 0x3400, v134
	s_delay_alu instid0(VALU_DEP_2) | instskip(SKIP_1) | instid1(VALU_DEP_1)
	v_wmma_f16_16x16x16_f16 v[0:7], v[40:47], v[32:39], v[0:7] op_sel:[0,0,1]
	v_sub_f32_e32 v32, v109, v121
	v_mul_f32_e32 v33, 0x3fb8aa3b, v32
	v_cmp_ngt_f32_e64 s4, 0xc2ce8ed0, v32
	v_cmp_nlt_f32_e64 s5, 0x42b17218, v32
	s_delay_alu instid0(VALU_DEP_3) | instskip(SKIP_1) | instid1(VALU_DEP_1)
	v_fma_f32 v34, 0x3fb8aa3b, v32, -v33
	v_rndne_f32_e32 v35, v33
	v_dual_fmac_f32 v34, 0x32a5705f, v32 :: v_dual_sub_f32 v33, v33, v35
	v_cvt_i32_f32_e32 v35, v35
	s_delay_alu instid0(VALU_DEP_2) | instskip(NEXT) | instid1(VALU_DEP_1)
	v_dual_add_f32 v33, v33, v34 :: v_dual_sub_f32 v34, v108, v121
	v_exp_f32_e32 v33, v33
	s_delay_alu instid0(VALU_DEP_1) | instskip(SKIP_2) | instid1(VALU_DEP_3)
	v_mul_f32_e32 v36, 0x3fb8aa3b, v34
	v_cmp_ngt_f32_e64 s6, 0xc2ce8ed0, v34
	v_cmp_nlt_f32_e64 s7, 0x42b17218, v34
	v_fma_f32 v37, 0x3fb8aa3b, v34, -v36
	v_rndne_f32_e32 v38, v36
	s_waitcnt_depctr 0xfff
	v_ldexp_f32 v33, v33, v35
	v_fmac_f32_e32 v37, 0x32a5705f, v34
	v_sub_f32_e32 v36, v36, v38
	v_cvt_i32_f32_e32 v35, v38
	v_add_nc_u32_e32 v38, 0x3e00, v134
	v_cndmask_b32_e64 v33, 0, v33, s4
	s_delay_alu instid0(VALU_DEP_4) | instskip(NEXT) | instid1(VALU_DEP_2)
	v_add_f32_e32 v36, v36, v37
	v_cndmask_b32_e64 v114, 0x7f800000, v33, s5
	s_delay_alu instid0(VALU_DEP_2) | instskip(SKIP_2) | instid1(VALU_DEP_1)
	v_exp_f32_e32 v32, v36
	s_waitcnt_depctr 0xfff
	v_ldexp_f32 v32, v32, v35
	v_cndmask_b32_e64 v32, 0, v32, s6
	s_delay_alu instid0(VALU_DEP_1)
	v_cndmask_b32_e64 v115, 0x7f800000, v32, s7
	ds_bpermute_b32 v32, v250, v114
	ds_bpermute_b32 v34, v250, v115
	s_waitcnt lgkmcnt(1)
	v_cndmask_b32_e32 v33, v114, v32, vcc_lo
	v_cndmask_b32_e64 v32, v114, v32, s1
	s_delay_alu instid0(VALU_DEP_2) | instskip(NEXT) | instid1(VALU_DEP_2)
	v_cndmask_b32_e64 v36, v33, v115, s3
	v_cndmask_b32_e64 v35, v32, v115, s2
	v_cvt_f16_f32_e32 v32, v32
	v_cvt_f16_f32_e32 v33, v33
	s_waitcnt lgkmcnt(0)
	s_delay_alu instid0(VALU_DEP_3) | instskip(SKIP_1) | instid1(VALU_DEP_3)
	v_cndmask_b32_e64 v35, v35, v34, s1
	v_cndmask_b32_e32 v34, v36, v34, vcc_lo
	v_pack_b32_f16 v96, v32, v33
	v_sub_f32_e32 v32, v95, v121
	s_delay_alu instid0(VALU_DEP_4) | instskip(NEXT) | instid1(VALU_DEP_4)
	v_cvt_f16_f32_e32 v36, v35
	v_cvt_f16_f32_e32 v37, v34
	s_delay_alu instid0(VALU_DEP_3) | instskip(SKIP_2) | instid1(VALU_DEP_4)
	v_mul_f32_e32 v33, 0x3fb8aa3b, v32
	v_cmp_ngt_f32_e64 s4, 0xc2ce8ed0, v32
	v_cmp_nlt_f32_e64 s5, 0x42b17218, v32
	v_pack_b32_f16 v97, v36, v37
	s_delay_alu instid0(VALU_DEP_4) | instskip(SKIP_1) | instid1(VALU_DEP_1)
	v_fma_f32 v36, 0x3fb8aa3b, v32, -v33
	v_rndne_f32_e32 v37, v33
	v_dual_fmac_f32 v36, 0x32a5705f, v32 :: v_dual_sub_f32 v33, v33, v37
	s_delay_alu instid0(VALU_DEP_1) | instskip(SKIP_1) | instid1(VALU_DEP_2)
	v_add_f32_e32 v33, v33, v36
	v_cvt_i32_f32_e32 v36, v37
	v_exp_f32_e32 v33, v33
	s_waitcnt_depctr 0xfff
	v_ldexp_f32 v33, v33, v36
	s_delay_alu instid0(VALU_DEP_1) | instskip(NEXT) | instid1(VALU_DEP_1)
	v_cndmask_b32_e64 v32, 0, v33, s4
	v_cndmask_b32_e64 v116, 0x7f800000, v32, s5
	s_delay_alu instid0(VALU_DEP_1) | instskip(SKIP_3) | instid1(VALU_DEP_1)
	v_cndmask_b32_e64 v33, v34, v116, s3
	ds_bpermute_b32 v34, v250, v116
	v_cndmask_b32_e64 v32, v35, v116, s2
	s_waitcnt lgkmcnt(0)
	v_cndmask_b32_e64 v32, v32, v34, s1
	v_cndmask_b32_e32 v33, v33, v34, vcc_lo
	s_delay_alu instid0(VALU_DEP_2) | instskip(NEXT) | instid1(VALU_DEP_2)
	v_cvt_f16_f32_e32 v34, v32
	v_cvt_f16_f32_e32 v35, v33
	s_delay_alu instid0(VALU_DEP_1) | instskip(SKIP_1) | instid1(VALU_DEP_1)
	v_pack_b32_f16 v98, v34, v35
	v_sub_f32_e32 v34, v107, v121
	v_mul_f32_e32 v35, 0x3fb8aa3b, v34
	v_cmp_ngt_f32_e64 s4, 0xc2ce8ed0, v34
	v_cmp_nlt_f32_e64 s5, 0x42b17218, v34
	s_delay_alu instid0(VALU_DEP_3) | instskip(SKIP_1) | instid1(VALU_DEP_1)
	v_fma_f32 v36, 0x3fb8aa3b, v34, -v35
	v_rndne_f32_e32 v37, v35
	v_dual_fmac_f32 v36, 0x32a5705f, v34 :: v_dual_sub_f32 v35, v35, v37
	s_delay_alu instid0(VALU_DEP_1) | instskip(SKIP_1) | instid1(VALU_DEP_2)
	v_add_f32_e32 v35, v35, v36
	v_cvt_i32_f32_e32 v36, v37
	v_exp_f32_e32 v35, v35
	s_waitcnt_depctr 0xfff
	v_ldexp_f32 v35, v35, v36
	s_delay_alu instid0(VALU_DEP_1) | instskip(NEXT) | instid1(VALU_DEP_1)
	v_cndmask_b32_e64 v34, 0, v35, s4
	v_cndmask_b32_e64 v117, 0x7f800000, v34, s5
	ds_bpermute_b32 v34, v250, v117
	v_cndmask_b32_e64 v32, v32, v117, s2
	v_cndmask_b32_e64 v33, v33, v117, s3
	s_waitcnt lgkmcnt(0)
	s_delay_alu instid0(VALU_DEP_2) | instskip(NEXT) | instid1(VALU_DEP_2)
	v_cndmask_b32_e64 v32, v32, v34, s1
	v_cndmask_b32_e32 v33, v33, v34, vcc_lo
	s_delay_alu instid0(VALU_DEP_2) | instskip(NEXT) | instid1(VALU_DEP_2)
	v_cvt_f16_f32_e32 v34, v32
	v_cvt_f16_f32_e32 v35, v33
	s_delay_alu instid0(VALU_DEP_1) | instskip(SKIP_1) | instid1(VALU_DEP_1)
	v_pack_b32_f16 v99, v34, v35
	v_dual_sub_f32 v34, v93, v121 :: v_dual_add_nc_u32 v93, 0x3c00, v134
	v_mul_f32_e32 v35, 0x3fb8aa3b, v34
	v_cmp_ngt_f32_e64 s4, 0xc2ce8ed0, v34
	v_cmp_nlt_f32_e64 s5, 0x42b17218, v34
	s_delay_alu instid0(VALU_DEP_3) | instskip(SKIP_1) | instid1(VALU_DEP_1)
	v_fma_f32 v36, 0x3fb8aa3b, v34, -v35
	v_rndne_f32_e32 v37, v35
	v_dual_fmac_f32 v36, 0x32a5705f, v34 :: v_dual_sub_f32 v35, v35, v37
	s_delay_alu instid0(VALU_DEP_1) | instskip(SKIP_1) | instid1(VALU_DEP_2)
	v_add_f32_e32 v35, v35, v36
	v_cvt_i32_f32_e32 v36, v37
	v_exp_f32_e32 v35, v35
	s_waitcnt_depctr 0xfff
	v_ldexp_f32 v35, v35, v36
	s_delay_alu instid0(VALU_DEP_1) | instskip(NEXT) | instid1(VALU_DEP_1)
	v_cndmask_b32_e64 v34, 0, v35, s4
	v_cndmask_b32_e64 v118, 0x7f800000, v34, s5
	ds_bpermute_b32 v34, v250, v118
	v_cndmask_b32_e64 v32, v32, v118, s2
	v_cndmask_b32_e64 v33, v33, v118, s3
	s_waitcnt lgkmcnt(0)
	s_delay_alu instid0(VALU_DEP_2) | instskip(NEXT) | instid1(VALU_DEP_2)
	v_cndmask_b32_e64 v32, v32, v34, s1
	v_cndmask_b32_e32 v33, v33, v34, vcc_lo
	s_delay_alu instid0(VALU_DEP_2) | instskip(NEXT) | instid1(VALU_DEP_2)
	v_cvt_f16_f32_e32 v34, v32
	v_cvt_f16_f32_e32 v35, v33
	s_delay_alu instid0(VALU_DEP_1) | instskip(SKIP_1) | instid1(VALU_DEP_1)
	v_pack_b32_f16 v100, v34, v35
	v_sub_f32_e32 v34, v106, v121
	v_mul_f32_e32 v35, 0x3fb8aa3b, v34
	v_cmp_ngt_f32_e64 s4, 0xc2ce8ed0, v34
	v_cmp_nlt_f32_e64 s5, 0x42b17218, v34
	s_delay_alu instid0(VALU_DEP_3) | instskip(SKIP_1) | instid1(VALU_DEP_1)
	v_fma_f32 v36, 0x3fb8aa3b, v34, -v35
	v_rndne_f32_e32 v37, v35
	v_dual_fmac_f32 v36, 0x32a5705f, v34 :: v_dual_sub_f32 v35, v35, v37
	s_delay_alu instid0(VALU_DEP_1) | instskip(SKIP_1) | instid1(VALU_DEP_2)
	v_add_f32_e32 v35, v35, v36
	v_cvt_i32_f32_e32 v36, v37
	v_exp_f32_e32 v35, v35
	s_waitcnt_depctr 0xfff
	v_ldexp_f32 v35, v35, v36
	s_delay_alu instid0(VALU_DEP_1) | instskip(NEXT) | instid1(VALU_DEP_1)
	v_cndmask_b32_e64 v34, 0, v35, s4
	v_cndmask_b32_e64 v119, 0x7f800000, v34, s5
	ds_bpermute_b32 v34, v250, v119
	v_cndmask_b32_e64 v32, v32, v119, s2
	v_cndmask_b32_e64 v33, v33, v119, s3
	s_waitcnt lgkmcnt(0)
	s_delay_alu instid0(VALU_DEP_2) | instskip(NEXT) | instid1(VALU_DEP_2)
	v_cndmask_b32_e64 v32, v32, v34, s1
	v_cndmask_b32_e32 v33, v33, v34, vcc_lo
	s_delay_alu instid0(VALU_DEP_2) | instskip(NEXT) | instid1(VALU_DEP_2)
	v_cvt_f16_f32_e32 v34, v32
	v_cvt_f16_f32_e32 v35, v33
	s_delay_alu instid0(VALU_DEP_1) | instskip(SKIP_1) | instid1(VALU_DEP_1)
	v_pack_b32_f16 v101, v34, v35
	v_sub_f32_e32 v34, v105, v121
	;; [unrolled: 29-line block ×3, first 2 shown]
	v_mul_f32_e32 v35, 0x3fb8aa3b, v34
	v_cmp_ngt_f32_e64 s4, 0xc2ce8ed0, v34
	v_cmp_nlt_f32_e64 s5, 0x42b17218, v34
	s_delay_alu instid0(VALU_DEP_3) | instskip(SKIP_1) | instid1(VALU_DEP_1)
	v_fma_f32 v36, 0x3fb8aa3b, v34, -v35
	v_rndne_f32_e32 v37, v35
	v_dual_fmac_f32 v36, 0x32a5705f, v34 :: v_dual_sub_f32 v35, v35, v37
	s_delay_alu instid0(VALU_DEP_1) | instskip(SKIP_1) | instid1(VALU_DEP_2)
	v_add_f32_e32 v35, v35, v36
	v_cvt_i32_f32_e32 v36, v37
	v_exp_f32_e32 v35, v35
	s_waitcnt_depctr 0xfff
	v_ldexp_f32 v35, v35, v36
	v_add_nc_u32_e32 v36, 0x3a00, v134
	s_delay_alu instid0(VALU_DEP_2) | instskip(NEXT) | instid1(VALU_DEP_1)
	v_cndmask_b32_e64 v34, 0, v35, s4
	v_cndmask_b32_e64 v122, 0x7f800000, v34, s5
	ds_bpermute_b32 v34, v250, v122
	v_cndmask_b32_e64 v32, v32, v122, s2
	v_cndmask_b32_e64 v33, v33, v122, s3
	s_waitcnt lgkmcnt(0)
	s_delay_alu instid0(VALU_DEP_2) | instskip(NEXT) | instid1(VALU_DEP_2)
	v_cndmask_b32_e64 v32, v32, v34, s1
	v_cndmask_b32_e32 v33, v33, v34, vcc_lo
	v_add_nc_u32_e32 v34, 0x3600, v134
	s_delay_alu instid0(VALU_DEP_3) | instskip(NEXT) | instid1(VALU_DEP_3)
	v_cvt_f16_f32_e32 v32, v32
	v_cvt_f16_f32_e32 v33, v33
	s_delay_alu instid0(VALU_DEP_1)
	v_pack_b32_f16 v103, v32, v33
	v_add_nc_u32_e32 v32, 0x3200, v134
	ds_load_2addr_b32 v[40:41], v32 offset0:112 offset1:132
	ds_load_2addr_b32 v[42:43], v91 offset0:52 offset1:72
	;; [unrolled: 1-line block ×3, first 2 shown]
	scratch_load_b32 v39, off, off offset:556 ; 4-byte Folded Reload
	s_waitcnt vmcnt(0)
	ds_load_b32 v95, v39 offset:1088
	ds_load_2addr_b32 v[46:47], v34 offset0:60 offset1:148
	ds_load_2addr_b32 v[48:49], v92 offset0:68 offset1:88
	ds_load_2addr_b32 v[50:51], v92 offset0:136 offset1:156
	ds_load_b32 v104, v39 offset:2176
	ds_load_2addr_b32 v[52:53], v36 offset0:76 offset1:164
	ds_load_2addr_b32 v[54:55], v93 offset0:84 offset1:104
	ds_load_2addr_b32 v[56:57], v93 offset0:152 offset1:172
	;; [unrolled: 4-line block ×3, first 2 shown]
	s_waitcnt lgkmcnt(14)
	v_perm_b32 v32, v41, v64, 0x5040100
	s_waitcnt lgkmcnt(12)
	v_perm_b32 v33, v45, v43, 0x5040100
	;; [unrolled: 2-line block ×8, first 2 shown]
	s_delay_alu instid0(VALU_DEP_1)
	v_wmma_f16_16x16x16_f16 v[24:31], v[32:39], v[96:103], v[24:31]
	v_perm_b32 v32, v41, v64, 0x7060302
	v_perm_b32 v34, v47, v95, 0x7060302
	;; [unrolled: 1-line block ×8, first 2 shown]
	ds_load_2addr_b32 v[63:64], v90 offset0:208 offset1:224
	ds_load_2addr_b32 v[88:89], v91 offset0:20 offset1:36
	;; [unrolled: 1-line block ×4, first 2 shown]
	v_wmma_f16_16x16x16_f16 v[24:31], v[32:39], v[96:103], v[24:31] op_sel:[0,0,1]
	scratch_load_b32 v38, off, off offset:588 ; 4-byte Folded Reload
	s_waitcnt vmcnt(0)
	ds_load_b32 v41, v38 offset:1088
	ds_load_2addr_b32 v[104:105], v92 offset0:36 offset1:52
	ds_load_2addr_b32 v[106:107], v92 offset0:104 offset1:120
	ds_load_2addr_b32 v[108:109], v92 offset0:172 offset1:188
	ds_load_b32 v43, v38 offset:2176
	ds_load_2addr_b32 v[110:111], v93 offset0:52 offset1:68
	ds_load_2addr_b32 v[123:124], v93 offset0:120 offset1:136
	ds_load_2addr_b32 v[92:93], v93 offset0:188 offset1:204
	ds_load_b32 v45, v38 offset:3264
	ds_load_2addr_b32 v[125:126], v129 offset0:68 offset1:84
	ds_load_2addr_b32 v[127:128], v129 offset0:136 offset1:152
	ds_load_2addr_b32 v[129:130], v129 offset0:204 offset1:220
	s_waitcnt lgkmcnt(14)
	v_perm_b32 v32, v88, v63, 0x5040100
	s_waitcnt lgkmcnt(12)
	v_perm_b32 v33, v90, v94, 0x5040100
	s_clause 0x6
	scratch_load_b32 v47, off, off offset:736
	scratch_load_b32 v51, off, off offset:752
	;; [unrolled: 1-line block ×7, first 2 shown]
	s_waitcnt lgkmcnt(10)
	v_perm_b32 v34, v104, v41, 0x5040100
	s_waitcnt lgkmcnt(8)
	v_perm_b32 v35, v108, v106, 0x5040100
	;; [unrolled: 2-line block ×6, first 2 shown]
	s_delay_alu instid0(VALU_DEP_1)
	v_wmma_f16_16x16x16_f16 v[16:23], v[32:39], v[96:103], v[16:23]
	v_perm_b32 v34, v104, v41, 0x7060302
	v_perm_b32 v36, v110, v43, 0x7060302
	;; [unrolled: 1-line block ×9, first 2 shown]
	s_delay_alu instid0(VALU_DEP_2)
	v_wmma_f16_16x16x16_f16 v[16:23], v[32:39], v[96:103], v[16:23] op_sel:[0,0,1]
	scratch_load_b32 v38, off, off offset:616 ; 4-byte Folded Reload
	v_perm_b32 v32, v89, v64, 0x5040100
	v_perm_b32 v33, v91, v95, 0x5040100
	v_perm_b32 v35, v109, v107, 0x5040100
	v_perm_b32 v37, v93, v124, 0x5040100
	v_perm_b32 v39, v130, v128, 0x5040100
	s_waitcnt vmcnt(0)
	ds_load_b32 v41, v38 offset:1088
	ds_load_b32 v43, v38 offset:2176
	;; [unrolled: 1-line block ×3, first 2 shown]
	s_waitcnt lgkmcnt(2)
	v_perm_b32 v34, v105, v41, 0x5040100
	s_waitcnt lgkmcnt(1)
	v_perm_b32 v36, v111, v43, 0x5040100
	;; [unrolled: 2-line block ×3, first 2 shown]
	s_delay_alu instid0(VALU_DEP_1)
	v_wmma_f16_16x16x16_f16 v[8:15], v[32:39], v[96:103], v[8:15]
	v_perm_b32 v32, v89, v64, 0x7060302
	v_perm_b32 v33, v91, v95, 0x7060302
	;; [unrolled: 1-line block ×12, first 2 shown]
	v_wmma_f16_16x16x16_f16 v[8:15], v[32:39], v[96:103], v[8:15] op_sel:[0,0,1]
	scratch_load_b32 v34, off, off offset:632 ; 4-byte Folded Reload
	v_perm_b32 v37, v46, v44, 0x7060302
	scratch_load_b32 v46, off, off offset:732 ; 4-byte Folded Reload
	v_perm_b32 v39, v52, v50, 0x7060302
	s_clause 0x2
	scratch_load_b32 v50, off, off offset:744
	scratch_load_b32 v56, off, off offset:792
	;; [unrolled: 1-line block ×3, first 2 shown]
	ds_load_b32 v35, v134 offset:17328
	v_perm_b32 v36, v42, v40, 0x7060302
	scratch_load_b32 v52, off, off offset:760 ; 4-byte Folded Reload
	s_waitcnt lgkmcnt(0)
	v_perm_b32 v111, v35, v62, 0x5040100
	v_perm_b32 v43, v35, v62, 0x7060302
	s_waitcnt vmcnt(5)
	ds_load_b32 v32, v34 offset:1088
	ds_load_b32 v33, v34 offset:2176
	ds_load_b32 v34, v34 offset:3264
	s_waitcnt lgkmcnt(2)
	v_perm_b32 v106, v48, v32, 0x5040100
	v_perm_b32 v38, v48, v32, 0x7060302
	v_add_f32_e32 v32, v71, v72
	s_waitcnt lgkmcnt(1)
	v_perm_b32 v108, v54, v33, 0x5040100
	s_waitcnt lgkmcnt(0)
	v_perm_b32 v110, v60, v34, 0x5040100
	v_perm_b32 v40, v54, v33, 0x7060302
	;; [unrolled: 1-line block ×3, first 2 shown]
	v_add_f32_e32 v32, v73, v32
	scratch_load_b32 v54, off, off offset:776 ; 4-byte Folded Reload
	v_wmma_f16_16x16x16_f16 v[0:7], v[104:111], v[96:103], v[0:7]
	v_add_f32_e32 v32, v74, v32
	s_delay_alu instid0(VALU_DEP_2)
	v_wmma_f16_16x16x16_f16 v[0:7], v[36:43], v[96:103], v[0:7] op_sel:[0,0,1]
	s_clause 0x3
	scratch_load_b64 v[38:39], off, off offset:128
	scratch_load_b64 v[40:41], off, off offset:160
	scratch_load_b32 v37, off, off offset:720
	scratch_load_b32 v42, off, off offset:724
	v_add_f32_e32 v32, v75, v32
	scratch_load_b32 v43, off, off offset:728 ; 4-byte Folded Reload
	v_add_f32_e32 v32, v76, v32
	s_delay_alu instid0(VALU_DEP_1) | instskip(NEXT) | instid1(VALU_DEP_1)
	v_add_f32_e32 v32, v77, v32
	v_add_f32_e32 v32, v78, v32
	s_delay_alu instid0(VALU_DEP_1) | instskip(NEXT) | instid1(VALU_DEP_1)
	v_add_f32_e32 v32, v80, v32
	;; [unrolled: 3-line block ×13, first 2 shown]
	v_add_f32_e32 v120, v122, v32
	scratch_load_b32 v32, off, off offset:820 ; 4-byte Folded Reload
	s_waitcnt vmcnt(0)
	s_barrier
	buffer_gl0_inv
	v_add_co_u32 v38, vcc_lo, 0x80, v38
	v_add_co_ci_u32_e32 v39, vcc_lo, 0, v39, vcc_lo
	v_add_co_u32 v40, vcc_lo, 0x80, v40
	v_add_co_ci_u32_e32 v41, vcc_lo, 0, v41, vcc_lo
	;; [unrolled: 2-line block ×20, first 2 shown]
	v_fmac_f32_e32 v120, v32, v79
	s_cbranch_scc0 .LBB25_641
; %bb.640:                              ;   in Loop: Header=BB25_511 Depth=2
	s_clause 0x11
	scratch_store_b32 off, v158, off offset:716
	scratch_store_b32 off, v157, off offset:712
	;; [unrolled: 1-line block ×18, first 2 shown]
	s_branch .LBB25_511
.LBB25_641:                             ;   in Loop: Header=BB25_14 Depth=1
	s_clause 0x1
	scratch_load_b32 v32, off, off offset:1208
	scratch_load_b64 v[38:39], off, off offset:1328
	s_lshl_b32 s66, s94, 6
	scratch_load_b64 v[36:37], off, off offset:1336 ; 8-byte Folded Reload
	s_lshl_b64 s[2:3], s[66:67], 1
	v_dual_mov_b32 v80, v232 :: v_dual_mov_b32 v85, v237
	s_add_u32 s1, vcc_hi, s2
	s_addc_u32 s2, s62, s3
	v_dual_mov_b32 v146, v200 :: v_dual_mov_b32 v151, v205
	v_dual_mov_b32 v154, v192 :: v_dual_mov_b32 v159, v197
	;; [unrolled: 1-line block ×3, first 2 shown]
	v_mov_b32_e32 v84, v236
	v_mov_b32_e32 v86, v238
	v_dual_mov_b32 v148, v202 :: v_dual_mov_b32 v153, v207
	v_dual_mov_b32 v150, v204 :: v_dual_mov_b32 v155, v193
	;; [unrolled: 1-line block ×4, first 2 shown]
	v_mov_b32_e32 v158, v196
	v_mov_b32_e32 v160, v198
                                        ; implicit-def: $vgpr162
	v_mov_b32_e32 v81, v233
	v_mov_b32_e32 v83, v235
	;; [unrolled: 1-line block ×3, first 2 shown]
	s_waitcnt vmcnt(2)
	v_dual_mov_b32 v149, v203 :: v_dual_lshlrev_b32 v34, 1, v32
	scratch_load_b64 v[32:33], off, off offset:1352 ; 8-byte Folded Reload
	s_waitcnt vmcnt(2)
	v_lshlrev_b64 v[38:39], 1, v[38:39]
	s_waitcnt vmcnt(1)
	v_lshlrev_b64 v[36:37], 1, v[36:37]
	v_add_co_u32 v40, s1, s1, v34
	scratch_load_b64 v[34:35], off, off offset:1344 ; 8-byte Folded Reload
	v_add_co_ci_u32_e64 v41, null, s2, 0, s1
	s_mul_i32 s1, s13, s66
	s_mul_hi_u32 s2, s12, s66
	s_delay_alu instid0(SALU_CYCLE_1) | instskip(SKIP_1) | instid1(SALU_CYCLE_1)
	s_add_i32 s3, s2, s1
	s_mul_i32 s2, s12, s66
	s_lshl_b64 s[2:3], s[2:3], 2
	s_delay_alu instid0(SALU_CYCLE_1)
	s_add_u32 s1, s101, s2
	s_addc_u32 s2, s104, s3
	s_waitcnt vmcnt(1)
	v_lshlrev_b64 v[32:33], 1, v[32:33]
	s_waitcnt vmcnt(0)
	v_lshlrev_b64 v[34:35], 1, v[34:35]
	s_delay_alu instid0(VALU_DEP_2) | instskip(NEXT) | instid1(VALU_DEP_3)
	v_add_co_u32 v32, vcc_lo, v40, v32
	v_add_co_ci_u32_e32 v33, vcc_lo, v41, v33, vcc_lo
	s_delay_alu instid0(VALU_DEP_3) | instskip(NEXT) | instid1(VALU_DEP_4)
	v_add_co_u32 v34, vcc_lo, v40, v34
	v_add_co_ci_u32_e32 v35, vcc_lo, v41, v35, vcc_lo
	v_add_co_u32 v36, vcc_lo, v40, v36
	v_add_co_ci_u32_e32 v37, vcc_lo, v41, v37, vcc_lo
	s_clause 0x1
	global_load_b32 v44, v[32:33], off
	global_load_b32 v45, v[34:35], off
	v_add_co_u32 v32, vcc_lo, v40, v38
	v_add_co_ci_u32_e32 v33, vcc_lo, v41, v39, vcc_lo
	s_clause 0x1
	global_load_b32 v46, v[36:37], off
	global_load_b32 v47, v[32:33], off
	s_clause 0x3
	scratch_load_b64 v[32:33], off, off offset:1116
	scratch_load_b64 v[34:35], off, off offset:1124
	;; [unrolled: 1-line block ×3, first 2 shown]
	scratch_load_b32 v59, off, off
	s_waitcnt vmcnt(3)
	v_add_co_u32 v32, vcc_lo, s1, v32
	v_add_co_ci_u32_e32 v33, vcc_lo, s2, v33, vcc_lo
	s_waitcnt vmcnt(2)
	v_add_co_u32 v34, vcc_lo, s1, v34
	v_add_co_ci_u32_e32 v35, vcc_lo, s2, v35, vcc_lo
	s_waitcnt vmcnt(0)
	v_add_co_u32 v32, vcc_lo, v32, v59
	v_add_co_ci_u32_e32 v33, vcc_lo, 0, v33, vcc_lo
	v_add_co_u32 v38, vcc_lo, s1, v36
	v_add_co_ci_u32_e32 v39, vcc_lo, s2, v37, vcc_lo
	v_add_co_u32 v36, vcc_lo, v34, v59
	v_add_co_ci_u32_e32 v37, vcc_lo, 0, v35, vcc_lo
	s_delay_alu instid0(VALU_DEP_4) | instskip(NEXT) | instid1(VALU_DEP_4)
	v_add_co_u32 v40, vcc_lo, v38, v59
	v_add_co_ci_u32_e32 v41, vcc_lo, 0, v39, vcc_lo
	s_clause 0x2
	global_load_b128 v[32:35], v[32:33], off
	global_load_b128 v[36:39], v[36:37], off
	;; [unrolled: 1-line block ×3, first 2 shown]
	s_clause 0x3
	scratch_load_b32 v48, off, off offset:512
	scratch_load_b32 v49, off, off offset:636
	scratch_load_b64 v[50:51], off, off offset:1140
	scratch_load_b64 v[52:53], off, off offset:1148
	s_waitcnt vmcnt(2)
	v_add_nc_u32_e32 v48, v48, v49
	s_delay_alu instid0(VALU_DEP_1)
	v_add_nc_u32_e32 v49, 0x4400, v48
	v_add_nc_u32_e32 v48, 0x4800, v48
	ds_store_2addr_b32 v49, v44, v45 offset1:144
	scratch_load_b64 v[44:45], off, off offset:1156 ; 8-byte Folded Reload
	s_waitcnt vmcnt(2)
	v_add_co_u32 v50, vcc_lo, s1, v50
	v_add_co_ci_u32_e32 v51, vcc_lo, s2, v51, vcc_lo
	s_waitcnt vmcnt(1)
	v_add_co_u32 v52, vcc_lo, s1, v52
	v_add_co_ci_u32_e32 v53, vcc_lo, s2, v53, vcc_lo
	ds_store_2addr_b32 v48, v46, v47 offset0:32 offset1:176
	ds_store_b128 v137, v[32:35]
	ds_store_b128 v139, v[36:39]
	v_dual_mov_b32 v130, v224 :: v_dual_mov_b32 v135, v229
	v_dual_mov_b32 v131, v225 :: v_dual_mov_b32 v132, v226
	v_mov_b32_e32 v137, v231
	v_dual_mov_b32 v133, v227 :: v_dual_mov_b32 v134, v228
	v_mov_b32_e32 v136, v230
	s_waitcnt vmcnt(0)
	v_add_co_u32 v49, vcc_lo, s1, v44
	v_add_co_ci_u32_e32 v54, vcc_lo, s2, v45, vcc_lo
	scratch_load_b64 v[44:45], off, off offset:1164 ; 8-byte Folded Reload
	s_waitcnt vmcnt(0)
	v_add_co_u32 v55, vcc_lo, s1, v44
	v_add_co_ci_u32_e32 v56, vcc_lo, s2, v45, vcc_lo
	scratch_load_b64 v[44:45], off, off offset:1172 ; 8-byte Folded Reload
	s_waitcnt vmcnt(0)
	v_add_co_u32 v57, vcc_lo, s1, v44
	v_add_co_ci_u32_e32 v58, vcc_lo, s2, v45, vcc_lo
	v_add_co_u32 v44, vcc_lo, v50, v59
	v_add_co_ci_u32_e32 v45, vcc_lo, 0, v51, vcc_lo
	;; [unrolled: 2-line block ×6, first 2 shown]
	s_clause 0x2
	global_load_b128 v[32:35], v[44:45], off
	global_load_b128 v[36:39], v[46:47], off
	;; [unrolled: 1-line block ×3, first 2 shown]
	ds_store_b128 v140, v[40:43]
	s_clause 0x1
	global_load_b128 v[40:43], v[50:51], off
	global_load_b128 v[48:51], v[52:53], off
	s_waitcnt vmcnt(4)
	ds_store_b128 v141, v[32:35]
	s_waitcnt vmcnt(3)
	ds_store_b128 v142, v[36:39]
	;; [unrolled: 2-line block ×5, first 2 shown]
	s_waitcnt lgkmcnt(0)
	s_waitcnt_vscnt null, 0x0
	s_barrier
	buffer_gl0_inv
	ds_load_b128 v[32:35], v254
	ds_load_b128 v[36:39], v254 offset:16
	s_clause 0x1
	scratch_store_b128 off, v[240:243], off offset:32
	scratch_store_b128 off, v[244:247], off offset:48
	v_dual_mov_b32 v47, s43 :: v_dual_mov_b32 v46, s42
	v_dual_mov_b32 v45, s41 :: v_dual_mov_b32 v44, s40
	v_mov_b32_e32 v41, s37
	v_dual_mov_b32 v43, s39 :: v_dual_mov_b32 v42, s38
	v_mov_b32_e32 v40, s36
	v_dual_mov_b32 v138, v216 :: v_dual_mov_b32 v143, v221
	v_dual_mov_b32 v139, v217 :: v_dual_mov_b32 v140, v218
	v_mov_b32_e32 v145, v223
	v_dual_mov_b32 v141, v219 :: v_dual_mov_b32 v142, v220
	v_mov_b32_e32 v144, v222
	s_waitcnt lgkmcnt(0)
	v_wmma_f32_16x16x16_f16 v[96:103], v[32:39], v[240:247], v[40:47]
	ds_load_b128 v[32:35], v254 offset:32
	ds_load_b128 v[36:39], v254 offset:48
	s_waitcnt lgkmcnt(0)
	v_wmma_f32_16x16x16_f16 v[96:103], v[32:39], v[232:239], v[96:103]
	ds_load_b128 v[32:35], v254 offset:64
	ds_load_b128 v[36:39], v254 offset:80
	;; [unrolled: 4-line block ×6, first 2 shown]
	s_clause 0x1
	scratch_store_b128 off, v[184:187], off offset:64
	scratch_store_b128 off, v[188:191], off offset:80
	s_waitcnt lgkmcnt(0)
	v_wmma_f32_16x16x16_f16 v[96:103], v[32:39], v[184:191], v[96:103]
	ds_load_b128 v[32:35], v254 offset:224
	ds_load_b128 v[36:39], v254 offset:240
	s_clause 0x1
	scratch_store_b128 off, v[176:179], off offset:96
	scratch_store_b128 off, v[180:183], off offset:112
	s_waitcnt lgkmcnt(0)
	v_wmma_f32_16x16x16_f16 v[96:103], v[32:39], v[176:183], v[96:103]
	ds_load_b128 v[72:75], v254 offset:4352
	ds_load_b128 v[76:79], v254 offset:4368
	;; [unrolled: 1-line block ×34, first 2 shown]
	s_waitcnt lgkmcnt(0)
	s_clause 0x1
	scratch_store_b128 off, v[88:91], off offset:288
	scratch_store_b128 off, v[92:95], off offset:304
	ds_load_b128 v[168:171], v254 offset:13088
	ds_load_b128 v[172:175], v254 offset:13104
	;; [unrolled: 1-line block ×4, first 2 shown]
	s_waitcnt lgkmcnt(0)
	s_clause 0x1
	scratch_store_b128 off, v[88:91], off offset:320
	scratch_store_b128 off, v[92:95], off offset:336
	ds_load_b128 v[88:91], v254 offset:13152
	ds_load_b128 v[92:95], v254 offset:13168
	s_waitcnt lgkmcnt(0)
	s_clause 0x1
	scratch_store_b128 off, v[88:91], off offset:256
	scratch_store_b128 off, v[92:95], off offset:272
	ds_load_b128 v[88:91], v254 offset:13184
	ds_load_b128 v[92:95], v254 offset:13200
	;; [unrolled: 6-line block ×5, first 2 shown]
	v_cmp_ngt_f32_e64 s1, 0x3f200000, |v96|
	s_waitcnt lgkmcnt(0)
	s_clause 0x1
	scratch_store_b128 off, v[88:91], off offset:128
	scratch_store_b128 off, v[92:95], off offset:144
	s_waitcnt_vscnt null, 0x0
	s_barrier
	buffer_gl0_inv
	s_and_saveexec_b32 s2, s1
	s_delay_alu instid0(SALU_CYCLE_1)
	s_xor_b32 s1, exec_lo, s2
	s_cbranch_execz .LBB25_643
; %bb.642:                              ;   in Loop: Header=BB25_14 Depth=1
	v_add_f32_e64 v88, |v96|, |v96|
	s_delay_alu instid0(VALU_DEP_1) | instskip(SKIP_1) | instid1(VALU_DEP_2)
	v_mul_f32_e32 v89, 0x3fb8aa3b, v88
	v_cmp_ngt_f32_e32 vcc_lo, 0xc2ce8ed0, v88
	v_rndne_f32_e32 v90, v89
	v_fma_f32 v91, 0x3fb8aa3b, v88, -v89
	s_delay_alu instid0(VALU_DEP_2) | instskip(NEXT) | instid1(VALU_DEP_2)
	v_sub_f32_e32 v89, v89, v90
	v_fmac_f32_e32 v91, 0x32a5705f, v88
	v_cvt_i32_f32_e32 v90, v90
	s_delay_alu instid0(VALU_DEP_2) | instskip(NEXT) | instid1(VALU_DEP_1)
	v_add_f32_e32 v89, v89, v91
	v_exp_f32_e32 v89, v89
	s_waitcnt_depctr 0xfff
	v_ldexp_f32 v89, v89, v90
	s_delay_alu instid0(VALU_DEP_1) | instskip(SKIP_1) | instid1(VALU_DEP_2)
	v_cndmask_b32_e32 v89, 0, v89, vcc_lo
	v_cmp_nlt_f32_e32 vcc_lo, 0x42b17218, v88
	v_cndmask_b32_e32 v88, 0x7f800000, v89, vcc_lo
	s_delay_alu instid0(VALU_DEP_1) | instskip(NEXT) | instid1(VALU_DEP_1)
	v_add_f32_e32 v88, 1.0, v88
	v_rcp_f32_e32 v88, v88
	s_waitcnt_depctr 0xfff
	v_fma_f32 v162, v88, -2.0, 1.0
.LBB25_643:                             ;   in Loop: Header=BB25_14 Depth=1
	s_and_not1_saveexec_b32 s1, s1
; %bb.644:                              ;   in Loop: Header=BB25_14 Depth=1
	v_mul_f32_e32 v88, v96, v96
	s_delay_alu instid0(VALU_DEP_1) | instskip(NEXT) | instid1(VALU_DEP_1)
	v_fmaak_f32 v89, s51, v88, 0x3ca908c9
	v_fmaak_f32 v89, v88, v89, 0xbd5c1c4e
	s_delay_alu instid0(VALU_DEP_1) | instskip(NEXT) | instid1(VALU_DEP_1)
	v_fmaak_f32 v89, v88, v89, 0x3e088382
	v_fmaak_f32 v89, v88, v89, 0xbeaaaa99
	s_delay_alu instid0(VALU_DEP_1) | instskip(NEXT) | instid1(VALU_DEP_1)
	v_mul_f32_e64 v89, |v96|, v89
	v_fma_f32 v162, v88, v89, |v96|
; %bb.645:                              ;   in Loop: Header=BB25_14 Depth=1
	s_or_b32 exec_lo, exec_lo, s1
	v_cmp_ngt_f32_e64 s1, 0x3f200000, |v97|
                                        ; implicit-def: $vgpr163
	s_delay_alu instid0(VALU_DEP_1) | instskip(NEXT) | instid1(SALU_CYCLE_1)
	s_and_saveexec_b32 s2, s1
	s_xor_b32 s1, exec_lo, s2
	s_cbranch_execz .LBB25_647
; %bb.646:                              ;   in Loop: Header=BB25_14 Depth=1
	v_add_f32_e64 v88, |v97|, |v97|
	s_delay_alu instid0(VALU_DEP_1) | instskip(SKIP_1) | instid1(VALU_DEP_2)
	v_mul_f32_e32 v89, 0x3fb8aa3b, v88
	v_cmp_ngt_f32_e32 vcc_lo, 0xc2ce8ed0, v88
	v_rndne_f32_e32 v90, v89
	v_fma_f32 v91, 0x3fb8aa3b, v88, -v89
	s_delay_alu instid0(VALU_DEP_2) | instskip(NEXT) | instid1(VALU_DEP_2)
	v_sub_f32_e32 v89, v89, v90
	v_fmac_f32_e32 v91, 0x32a5705f, v88
	v_cvt_i32_f32_e32 v90, v90
	s_delay_alu instid0(VALU_DEP_2) | instskip(NEXT) | instid1(VALU_DEP_1)
	v_add_f32_e32 v89, v89, v91
	v_exp_f32_e32 v89, v89
	s_waitcnt_depctr 0xfff
	v_ldexp_f32 v89, v89, v90
	s_delay_alu instid0(VALU_DEP_1) | instskip(SKIP_1) | instid1(VALU_DEP_2)
	v_cndmask_b32_e32 v89, 0, v89, vcc_lo
	v_cmp_nlt_f32_e32 vcc_lo, 0x42b17218, v88
	v_cndmask_b32_e32 v88, 0x7f800000, v89, vcc_lo
	s_delay_alu instid0(VALU_DEP_1) | instskip(NEXT) | instid1(VALU_DEP_1)
	v_add_f32_e32 v88, 1.0, v88
	v_rcp_f32_e32 v88, v88
	s_waitcnt_depctr 0xfff
	v_fma_f32 v163, v88, -2.0, 1.0
.LBB25_647:                             ;   in Loop: Header=BB25_14 Depth=1
	s_and_not1_saveexec_b32 s1, s1
; %bb.648:                              ;   in Loop: Header=BB25_14 Depth=1
	v_mul_f32_e32 v88, v97, v97
	s_delay_alu instid0(VALU_DEP_1) | instskip(NEXT) | instid1(VALU_DEP_1)
	v_fmaak_f32 v89, s51, v88, 0x3ca908c9
	v_fmaak_f32 v89, v88, v89, 0xbd5c1c4e
	s_delay_alu instid0(VALU_DEP_1) | instskip(NEXT) | instid1(VALU_DEP_1)
	v_fmaak_f32 v89, v88, v89, 0x3e088382
	v_fmaak_f32 v89, v88, v89, 0xbeaaaa99
	s_delay_alu instid0(VALU_DEP_1) | instskip(NEXT) | instid1(VALU_DEP_1)
	v_mul_f32_e64 v89, |v97|, v89
	v_fma_f32 v163, v88, v89, |v97|
; %bb.649:                              ;   in Loop: Header=BB25_14 Depth=1
	s_or_b32 exec_lo, exec_lo, s1
	v_cmp_ngt_f32_e64 s1, 0x3f200000, |v98|
                                        ; implicit-def: $vgpr164
	s_delay_alu instid0(VALU_DEP_1) | instskip(NEXT) | instid1(SALU_CYCLE_1)
	s_and_saveexec_b32 s2, s1
	s_xor_b32 s1, exec_lo, s2
	s_cbranch_execz .LBB25_651
; %bb.650:                              ;   in Loop: Header=BB25_14 Depth=1
	v_add_f32_e64 v88, |v98|, |v98|
	s_delay_alu instid0(VALU_DEP_1) | instskip(SKIP_1) | instid1(VALU_DEP_2)
	v_mul_f32_e32 v89, 0x3fb8aa3b, v88
	v_cmp_ngt_f32_e32 vcc_lo, 0xc2ce8ed0, v88
	v_rndne_f32_e32 v90, v89
	v_fma_f32 v91, 0x3fb8aa3b, v88, -v89
	s_delay_alu instid0(VALU_DEP_2) | instskip(NEXT) | instid1(VALU_DEP_2)
	v_sub_f32_e32 v89, v89, v90
	v_fmac_f32_e32 v91, 0x32a5705f, v88
	v_cvt_i32_f32_e32 v90, v90
	s_delay_alu instid0(VALU_DEP_2) | instskip(NEXT) | instid1(VALU_DEP_1)
	v_add_f32_e32 v89, v89, v91
	v_exp_f32_e32 v89, v89
	s_waitcnt_depctr 0xfff
	v_ldexp_f32 v89, v89, v90
	s_delay_alu instid0(VALU_DEP_1) | instskip(SKIP_1) | instid1(VALU_DEP_2)
	v_cndmask_b32_e32 v89, 0, v89, vcc_lo
	v_cmp_nlt_f32_e32 vcc_lo, 0x42b17218, v88
	v_cndmask_b32_e32 v88, 0x7f800000, v89, vcc_lo
	s_delay_alu instid0(VALU_DEP_1) | instskip(NEXT) | instid1(VALU_DEP_1)
	v_add_f32_e32 v88, 1.0, v88
	v_rcp_f32_e32 v88, v88
	s_waitcnt_depctr 0xfff
	v_fma_f32 v164, v88, -2.0, 1.0
.LBB25_651:                             ;   in Loop: Header=BB25_14 Depth=1
	s_and_not1_saveexec_b32 s1, s1
; %bb.652:                              ;   in Loop: Header=BB25_14 Depth=1
	v_mul_f32_e32 v88, v98, v98
	s_delay_alu instid0(VALU_DEP_1) | instskip(NEXT) | instid1(VALU_DEP_1)
	v_fmaak_f32 v89, s51, v88, 0x3ca908c9
	v_fmaak_f32 v89, v88, v89, 0xbd5c1c4e
	s_delay_alu instid0(VALU_DEP_1) | instskip(NEXT) | instid1(VALU_DEP_1)
	v_fmaak_f32 v89, v88, v89, 0x3e088382
	v_fmaak_f32 v89, v88, v89, 0xbeaaaa99
	s_delay_alu instid0(VALU_DEP_1) | instskip(NEXT) | instid1(VALU_DEP_1)
	v_mul_f32_e64 v89, |v98|, v89
	v_fma_f32 v164, v88, v89, |v98|
; %bb.653:                              ;   in Loop: Header=BB25_14 Depth=1
	s_or_b32 exec_lo, exec_lo, s1
	v_cmp_ngt_f32_e64 s1, 0x3f200000, |v99|
                                        ; implicit-def: $vgpr165
	s_delay_alu instid0(VALU_DEP_1) | instskip(NEXT) | instid1(SALU_CYCLE_1)
	s_and_saveexec_b32 s2, s1
	s_xor_b32 s1, exec_lo, s2
	s_cbranch_execz .LBB25_655
; %bb.654:                              ;   in Loop: Header=BB25_14 Depth=1
	v_add_f32_e64 v88, |v99|, |v99|
	s_delay_alu instid0(VALU_DEP_1) | instskip(SKIP_1) | instid1(VALU_DEP_2)
	v_mul_f32_e32 v89, 0x3fb8aa3b, v88
	v_cmp_ngt_f32_e32 vcc_lo, 0xc2ce8ed0, v88
	v_rndne_f32_e32 v90, v89
	v_fma_f32 v91, 0x3fb8aa3b, v88, -v89
	s_delay_alu instid0(VALU_DEP_2) | instskip(NEXT) | instid1(VALU_DEP_2)
	v_sub_f32_e32 v89, v89, v90
	v_fmac_f32_e32 v91, 0x32a5705f, v88
	v_cvt_i32_f32_e32 v90, v90
	s_delay_alu instid0(VALU_DEP_2) | instskip(NEXT) | instid1(VALU_DEP_1)
	v_add_f32_e32 v89, v89, v91
	v_exp_f32_e32 v89, v89
	s_waitcnt_depctr 0xfff
	v_ldexp_f32 v89, v89, v90
	s_delay_alu instid0(VALU_DEP_1) | instskip(SKIP_1) | instid1(VALU_DEP_2)
	v_cndmask_b32_e32 v89, 0, v89, vcc_lo
	v_cmp_nlt_f32_e32 vcc_lo, 0x42b17218, v88
	v_cndmask_b32_e32 v88, 0x7f800000, v89, vcc_lo
	s_delay_alu instid0(VALU_DEP_1) | instskip(NEXT) | instid1(VALU_DEP_1)
	v_add_f32_e32 v88, 1.0, v88
	v_rcp_f32_e32 v88, v88
	s_waitcnt_depctr 0xfff
	v_fma_f32 v165, v88, -2.0, 1.0
.LBB25_655:                             ;   in Loop: Header=BB25_14 Depth=1
	s_and_not1_saveexec_b32 s1, s1
; %bb.656:                              ;   in Loop: Header=BB25_14 Depth=1
	v_mul_f32_e32 v88, v99, v99
	s_delay_alu instid0(VALU_DEP_1) | instskip(NEXT) | instid1(VALU_DEP_1)
	v_fmaak_f32 v89, s51, v88, 0x3ca908c9
	v_fmaak_f32 v89, v88, v89, 0xbd5c1c4e
	s_delay_alu instid0(VALU_DEP_1) | instskip(NEXT) | instid1(VALU_DEP_1)
	v_fmaak_f32 v89, v88, v89, 0x3e088382
	v_fmaak_f32 v89, v88, v89, 0xbeaaaa99
	s_delay_alu instid0(VALU_DEP_1) | instskip(NEXT) | instid1(VALU_DEP_1)
	v_mul_f32_e64 v89, |v99|, v89
	v_fma_f32 v165, v88, v89, |v99|
; %bb.657:                              ;   in Loop: Header=BB25_14 Depth=1
	s_or_b32 exec_lo, exec_lo, s1
	v_cmp_ngt_f32_e64 s1, 0x3f200000, |v100|
                                        ; implicit-def: $vgpr166
	s_delay_alu instid0(VALU_DEP_1) | instskip(NEXT) | instid1(SALU_CYCLE_1)
	s_and_saveexec_b32 s2, s1
	s_xor_b32 s1, exec_lo, s2
	s_cbranch_execz .LBB25_659
; %bb.658:                              ;   in Loop: Header=BB25_14 Depth=1
	v_add_f32_e64 v88, |v100|, |v100|
	s_delay_alu instid0(VALU_DEP_1) | instskip(SKIP_1) | instid1(VALU_DEP_2)
	v_mul_f32_e32 v89, 0x3fb8aa3b, v88
	v_cmp_ngt_f32_e32 vcc_lo, 0xc2ce8ed0, v88
	v_rndne_f32_e32 v90, v89
	v_fma_f32 v91, 0x3fb8aa3b, v88, -v89
	s_delay_alu instid0(VALU_DEP_2) | instskip(NEXT) | instid1(VALU_DEP_2)
	v_sub_f32_e32 v89, v89, v90
	v_fmac_f32_e32 v91, 0x32a5705f, v88
	v_cvt_i32_f32_e32 v90, v90
	s_delay_alu instid0(VALU_DEP_2) | instskip(NEXT) | instid1(VALU_DEP_1)
	v_add_f32_e32 v89, v89, v91
	v_exp_f32_e32 v89, v89
	s_waitcnt_depctr 0xfff
	v_ldexp_f32 v89, v89, v90
	s_delay_alu instid0(VALU_DEP_1) | instskip(SKIP_1) | instid1(VALU_DEP_2)
	v_cndmask_b32_e32 v89, 0, v89, vcc_lo
	v_cmp_nlt_f32_e32 vcc_lo, 0x42b17218, v88
	v_cndmask_b32_e32 v88, 0x7f800000, v89, vcc_lo
	s_delay_alu instid0(VALU_DEP_1) | instskip(NEXT) | instid1(VALU_DEP_1)
	v_add_f32_e32 v88, 1.0, v88
	v_rcp_f32_e32 v88, v88
	s_waitcnt_depctr 0xfff
	v_fma_f32 v166, v88, -2.0, 1.0
.LBB25_659:                             ;   in Loop: Header=BB25_14 Depth=1
	s_and_not1_saveexec_b32 s1, s1
; %bb.660:                              ;   in Loop: Header=BB25_14 Depth=1
	v_mul_f32_e32 v88, v100, v100
	s_delay_alu instid0(VALU_DEP_1) | instskip(NEXT) | instid1(VALU_DEP_1)
	v_fmaak_f32 v89, s51, v88, 0x3ca908c9
	v_fmaak_f32 v89, v88, v89, 0xbd5c1c4e
	s_delay_alu instid0(VALU_DEP_1) | instskip(NEXT) | instid1(VALU_DEP_1)
	v_fmaak_f32 v89, v88, v89, 0x3e088382
	v_fmaak_f32 v89, v88, v89, 0xbeaaaa99
	s_delay_alu instid0(VALU_DEP_1) | instskip(NEXT) | instid1(VALU_DEP_1)
	v_mul_f32_e64 v89, |v100|, v89
	v_fma_f32 v166, v88, v89, |v100|
; %bb.661:                              ;   in Loop: Header=BB25_14 Depth=1
	s_or_b32 exec_lo, exec_lo, s1
	v_cmp_ngt_f32_e64 s1, 0x3f200000, |v101|
                                        ; implicit-def: $vgpr167
	s_delay_alu instid0(VALU_DEP_1) | instskip(NEXT) | instid1(SALU_CYCLE_1)
	s_and_saveexec_b32 s2, s1
	s_xor_b32 s1, exec_lo, s2
	s_cbranch_execz .LBB25_663
; %bb.662:                              ;   in Loop: Header=BB25_14 Depth=1
	v_add_f32_e64 v88, |v101|, |v101|
	s_delay_alu instid0(VALU_DEP_1) | instskip(SKIP_1) | instid1(VALU_DEP_2)
	v_mul_f32_e32 v89, 0x3fb8aa3b, v88
	v_cmp_ngt_f32_e32 vcc_lo, 0xc2ce8ed0, v88
	v_rndne_f32_e32 v90, v89
	v_fma_f32 v91, 0x3fb8aa3b, v88, -v89
	s_delay_alu instid0(VALU_DEP_2) | instskip(NEXT) | instid1(VALU_DEP_2)
	v_sub_f32_e32 v89, v89, v90
	v_fmac_f32_e32 v91, 0x32a5705f, v88
	v_cvt_i32_f32_e32 v90, v90
	s_delay_alu instid0(VALU_DEP_2) | instskip(NEXT) | instid1(VALU_DEP_1)
	v_add_f32_e32 v89, v89, v91
	v_exp_f32_e32 v89, v89
	s_waitcnt_depctr 0xfff
	v_ldexp_f32 v89, v89, v90
	s_delay_alu instid0(VALU_DEP_1) | instskip(SKIP_1) | instid1(VALU_DEP_2)
	v_cndmask_b32_e32 v89, 0, v89, vcc_lo
	v_cmp_nlt_f32_e32 vcc_lo, 0x42b17218, v88
	v_cndmask_b32_e32 v88, 0x7f800000, v89, vcc_lo
	s_delay_alu instid0(VALU_DEP_1) | instskip(NEXT) | instid1(VALU_DEP_1)
	v_add_f32_e32 v88, 1.0, v88
	v_rcp_f32_e32 v88, v88
	s_waitcnt_depctr 0xfff
	v_fma_f32 v167, v88, -2.0, 1.0
.LBB25_663:                             ;   in Loop: Header=BB25_14 Depth=1
	s_and_not1_saveexec_b32 s1, s1
; %bb.664:                              ;   in Loop: Header=BB25_14 Depth=1
	v_mul_f32_e32 v88, v101, v101
	s_delay_alu instid0(VALU_DEP_1) | instskip(NEXT) | instid1(VALU_DEP_1)
	v_fmaak_f32 v89, s51, v88, 0x3ca908c9
	v_fmaak_f32 v89, v88, v89, 0xbd5c1c4e
	s_delay_alu instid0(VALU_DEP_1) | instskip(NEXT) | instid1(VALU_DEP_1)
	v_fmaak_f32 v89, v88, v89, 0x3e088382
	v_fmaak_f32 v89, v88, v89, 0xbeaaaa99
	s_delay_alu instid0(VALU_DEP_1) | instskip(NEXT) | instid1(VALU_DEP_1)
	v_mul_f32_e64 v89, |v101|, v89
	v_fma_f32 v167, v88, v89, |v101|
; %bb.665:                              ;   in Loop: Header=BB25_14 Depth=1
	s_or_b32 exec_lo, exec_lo, s1
	v_cmp_ngt_f32_e64 s1, 0x3f200000, |v102|
                                        ; implicit-def: $vgpr248
	s_delay_alu instid0(VALU_DEP_1) | instskip(NEXT) | instid1(SALU_CYCLE_1)
	s_and_saveexec_b32 s2, s1
	s_xor_b32 s1, exec_lo, s2
	s_cbranch_execz .LBB25_667
; %bb.666:                              ;   in Loop: Header=BB25_14 Depth=1
	v_add_f32_e64 v88, |v102|, |v102|
	s_delay_alu instid0(VALU_DEP_1) | instskip(SKIP_1) | instid1(VALU_DEP_2)
	v_mul_f32_e32 v89, 0x3fb8aa3b, v88
	v_cmp_ngt_f32_e32 vcc_lo, 0xc2ce8ed0, v88
	v_rndne_f32_e32 v90, v89
	v_fma_f32 v91, 0x3fb8aa3b, v88, -v89
	s_delay_alu instid0(VALU_DEP_2) | instskip(NEXT) | instid1(VALU_DEP_2)
	v_sub_f32_e32 v89, v89, v90
	v_fmac_f32_e32 v91, 0x32a5705f, v88
	v_cvt_i32_f32_e32 v90, v90
	s_delay_alu instid0(VALU_DEP_2) | instskip(NEXT) | instid1(VALU_DEP_1)
	v_add_f32_e32 v89, v89, v91
	v_exp_f32_e32 v89, v89
	s_waitcnt_depctr 0xfff
	v_ldexp_f32 v89, v89, v90
	s_delay_alu instid0(VALU_DEP_1) | instskip(SKIP_1) | instid1(VALU_DEP_2)
	v_cndmask_b32_e32 v89, 0, v89, vcc_lo
	v_cmp_nlt_f32_e32 vcc_lo, 0x42b17218, v88
	v_cndmask_b32_e32 v88, 0x7f800000, v89, vcc_lo
	s_delay_alu instid0(VALU_DEP_1) | instskip(NEXT) | instid1(VALU_DEP_1)
	v_add_f32_e32 v88, 1.0, v88
	v_rcp_f32_e32 v88, v88
	s_waitcnt_depctr 0xfff
	v_fma_f32 v248, v88, -2.0, 1.0
.LBB25_667:                             ;   in Loop: Header=BB25_14 Depth=1
	s_and_not1_saveexec_b32 s1, s1
; %bb.668:                              ;   in Loop: Header=BB25_14 Depth=1
	v_mul_f32_e32 v88, v102, v102
	s_delay_alu instid0(VALU_DEP_1) | instskip(NEXT) | instid1(VALU_DEP_1)
	v_fmaak_f32 v89, s51, v88, 0x3ca908c9
	v_fmaak_f32 v89, v88, v89, 0xbd5c1c4e
	s_delay_alu instid0(VALU_DEP_1) | instskip(NEXT) | instid1(VALU_DEP_1)
	v_fmaak_f32 v89, v88, v89, 0x3e088382
	v_fmaak_f32 v89, v88, v89, 0xbeaaaa99
	s_delay_alu instid0(VALU_DEP_1) | instskip(NEXT) | instid1(VALU_DEP_1)
	v_mul_f32_e64 v89, |v102|, v89
	v_fma_f32 v248, v88, v89, |v102|
; %bb.669:                              ;   in Loop: Header=BB25_14 Depth=1
	s_or_b32 exec_lo, exec_lo, s1
	v_cmp_ngt_f32_e64 s1, 0x3f200000, |v103|
                                        ; implicit-def: $vgpr249
	s_delay_alu instid0(VALU_DEP_1) | instskip(NEXT) | instid1(SALU_CYCLE_1)
	s_and_saveexec_b32 s2, s1
	s_xor_b32 s1, exec_lo, s2
	s_cbranch_execz .LBB25_671
; %bb.670:                              ;   in Loop: Header=BB25_14 Depth=1
	v_add_f32_e64 v88, |v103|, |v103|
	s_delay_alu instid0(VALU_DEP_1) | instskip(SKIP_1) | instid1(VALU_DEP_2)
	v_mul_f32_e32 v89, 0x3fb8aa3b, v88
	v_cmp_ngt_f32_e32 vcc_lo, 0xc2ce8ed0, v88
	v_rndne_f32_e32 v90, v89
	v_fma_f32 v91, 0x3fb8aa3b, v88, -v89
	s_delay_alu instid0(VALU_DEP_2) | instskip(NEXT) | instid1(VALU_DEP_2)
	v_sub_f32_e32 v89, v89, v90
	v_fmac_f32_e32 v91, 0x32a5705f, v88
	v_cvt_i32_f32_e32 v90, v90
	s_delay_alu instid0(VALU_DEP_2) | instskip(NEXT) | instid1(VALU_DEP_1)
	v_add_f32_e32 v89, v89, v91
	v_exp_f32_e32 v89, v89
	s_waitcnt_depctr 0xfff
	v_ldexp_f32 v89, v89, v90
	s_delay_alu instid0(VALU_DEP_1) | instskip(SKIP_1) | instid1(VALU_DEP_2)
	v_cndmask_b32_e32 v89, 0, v89, vcc_lo
	v_cmp_nlt_f32_e32 vcc_lo, 0x42b17218, v88
	v_cndmask_b32_e32 v88, 0x7f800000, v89, vcc_lo
	s_delay_alu instid0(VALU_DEP_1) | instskip(NEXT) | instid1(VALU_DEP_1)
	v_add_f32_e32 v88, 1.0, v88
	v_rcp_f32_e32 v88, v88
	s_waitcnt_depctr 0xfff
	v_fma_f32 v249, v88, -2.0, 1.0
.LBB25_671:                             ;   in Loop: Header=BB25_14 Depth=1
	s_and_not1_saveexec_b32 s1, s1
; %bb.672:                              ;   in Loop: Header=BB25_14 Depth=1
	v_mul_f32_e32 v88, v103, v103
	s_delay_alu instid0(VALU_DEP_1) | instskip(NEXT) | instid1(VALU_DEP_1)
	v_fmaak_f32 v89, s51, v88, 0x3ca908c9
	v_fmaak_f32 v89, v88, v89, 0xbd5c1c4e
	s_delay_alu instid0(VALU_DEP_1) | instskip(NEXT) | instid1(VALU_DEP_1)
	v_fmaak_f32 v89, v88, v89, 0x3e088382
	v_fmaak_f32 v89, v88, v89, 0xbeaaaa99
	s_delay_alu instid0(VALU_DEP_1) | instskip(NEXT) | instid1(VALU_DEP_1)
	v_mul_f32_e64 v89, |v103|, v89
	v_fma_f32 v249, v88, v89, |v103|
; %bb.673:                              ;   in Loop: Header=BB25_14 Depth=1
	s_or_b32 exec_lo, exec_lo, s1
	s_clause 0x1
	scratch_load_b128 v[122:125], off, off offset:32
	scratch_load_b128 v[126:129], off, off offset:48
	v_dual_mov_b32 v95, s43 :: v_dual_mov_b32 v94, s42
	v_dual_mov_b32 v93, s41 :: v_dual_mov_b32 v92, s40
	;; [unrolled: 1-line block ×4, first 2 shown]
	s_waitcnt vmcnt(0)
	s_delay_alu instid0(VALU_DEP_1) | instskip(NEXT) | instid1(VALU_DEP_1)
	v_wmma_f32_16x16x16_f16 v[104:111], v[72:79], v[122:129], v[88:95]
	v_wmma_f32_16x16x16_f16 v[104:111], v[64:71], v[80:87], v[104:111]
	s_delay_alu instid0(VALU_DEP_1) | instskip(NEXT) | instid1(VALU_DEP_1)
	v_wmma_f32_16x16x16_f16 v[104:111], v[56:63], v[130:137], v[104:111]
	v_wmma_f32_16x16x16_f16 v[104:111], v[48:55], v[138:145], v[104:111]
	s_delay_alu instid0(VALU_DEP_1) | instskip(NEXT) | instid1(VALU_DEP_1)
	v_wmma_f32_16x16x16_f16 v[104:111], v[40:47], v[146:153], v[104:111]
                                        ; implicit-def: $vgpr40
	v_wmma_f32_16x16x16_f16 v[104:111], v[32:39], v[154:161], v[104:111]
	s_clause 0x1
	scratch_load_b128 v[32:35], off, off offset:64
	scratch_load_b128 v[36:39], off, off offset:80
	s_waitcnt vmcnt(0)
	v_wmma_f32_16x16x16_f16 v[104:111], v[112:119], v[32:39], v[104:111]
	s_clause 0x1
	scratch_load_b128 v[32:35], off, off offset:96
	scratch_load_b128 v[36:39], off, off offset:112
	s_waitcnt vmcnt(0)
	v_wmma_f32_16x16x16_f16 v[104:111], v[208:215], v[32:39], v[104:111]
	s_delay_alu instid0(VALU_DEP_1) | instskip(NEXT) | instid1(VALU_DEP_1)
	v_cmp_ngt_f32_e64 s1, 0x3f200000, |v104|
	s_and_saveexec_b32 s2, s1
	s_delay_alu instid0(SALU_CYCLE_1)
	s_xor_b32 s1, exec_lo, s2
	s_cbranch_execz .LBB25_675
; %bb.674:                              ;   in Loop: Header=BB25_14 Depth=1
	v_add_f32_e64 v32, |v104|, |v104|
	s_delay_alu instid0(VALU_DEP_1) | instskip(SKIP_1) | instid1(VALU_DEP_2)
	v_mul_f32_e32 v33, 0x3fb8aa3b, v32
	v_cmp_ngt_f32_e32 vcc_lo, 0xc2ce8ed0, v32
	v_rndne_f32_e32 v34, v33
	v_fma_f32 v35, 0x3fb8aa3b, v32, -v33
	s_delay_alu instid0(VALU_DEP_2) | instskip(NEXT) | instid1(VALU_DEP_2)
	v_sub_f32_e32 v33, v33, v34
	v_fmac_f32_e32 v35, 0x32a5705f, v32
	v_cvt_i32_f32_e32 v34, v34
	s_delay_alu instid0(VALU_DEP_2) | instskip(NEXT) | instid1(VALU_DEP_1)
	v_add_f32_e32 v33, v33, v35
	v_exp_f32_e32 v33, v33
	s_waitcnt_depctr 0xfff
	v_ldexp_f32 v33, v33, v34
	s_delay_alu instid0(VALU_DEP_1) | instskip(SKIP_1) | instid1(VALU_DEP_2)
	v_cndmask_b32_e32 v33, 0, v33, vcc_lo
	v_cmp_nlt_f32_e32 vcc_lo, 0x42b17218, v32
	v_cndmask_b32_e32 v32, 0x7f800000, v33, vcc_lo
	s_delay_alu instid0(VALU_DEP_1) | instskip(NEXT) | instid1(VALU_DEP_1)
	v_add_f32_e32 v32, 1.0, v32
	v_rcp_f32_e32 v32, v32
	s_waitcnt_depctr 0xfff
	v_fma_f32 v40, v32, -2.0, 1.0
.LBB25_675:                             ;   in Loop: Header=BB25_14 Depth=1
	s_and_not1_saveexec_b32 s1, s1
; %bb.676:                              ;   in Loop: Header=BB25_14 Depth=1
	v_mul_f32_e32 v32, v104, v104
	s_delay_alu instid0(VALU_DEP_1) | instskip(NEXT) | instid1(VALU_DEP_1)
	v_fmaak_f32 v33, s51, v32, 0x3ca908c9
	v_fmaak_f32 v33, v32, v33, 0xbd5c1c4e
	s_delay_alu instid0(VALU_DEP_1) | instskip(NEXT) | instid1(VALU_DEP_1)
	v_fmaak_f32 v33, v32, v33, 0x3e088382
	v_fmaak_f32 v33, v32, v33, 0xbeaaaa99
	s_delay_alu instid0(VALU_DEP_1) | instskip(NEXT) | instid1(VALU_DEP_1)
	v_mul_f32_e64 v33, |v104|, v33
	v_fma_f32 v40, v32, v33, |v104|
; %bb.677:                              ;   in Loop: Header=BB25_14 Depth=1
	s_or_b32 exec_lo, exec_lo, s1
	v_cmp_ngt_f32_e64 s1, 0x3f200000, |v105|
                                        ; implicit-def: $vgpr41
	s_delay_alu instid0(VALU_DEP_1) | instskip(NEXT) | instid1(SALU_CYCLE_1)
	s_and_saveexec_b32 s2, s1
	s_xor_b32 s1, exec_lo, s2
	s_cbranch_execz .LBB25_679
; %bb.678:                              ;   in Loop: Header=BB25_14 Depth=1
	v_add_f32_e64 v32, |v105|, |v105|
	s_delay_alu instid0(VALU_DEP_1) | instskip(SKIP_1) | instid1(VALU_DEP_2)
	v_mul_f32_e32 v33, 0x3fb8aa3b, v32
	v_cmp_ngt_f32_e32 vcc_lo, 0xc2ce8ed0, v32
	v_rndne_f32_e32 v34, v33
	v_fma_f32 v35, 0x3fb8aa3b, v32, -v33
	s_delay_alu instid0(VALU_DEP_2) | instskip(NEXT) | instid1(VALU_DEP_2)
	v_sub_f32_e32 v33, v33, v34
	v_fmac_f32_e32 v35, 0x32a5705f, v32
	v_cvt_i32_f32_e32 v34, v34
	s_delay_alu instid0(VALU_DEP_2) | instskip(NEXT) | instid1(VALU_DEP_1)
	v_add_f32_e32 v33, v33, v35
	v_exp_f32_e32 v33, v33
	s_waitcnt_depctr 0xfff
	v_ldexp_f32 v33, v33, v34
	s_delay_alu instid0(VALU_DEP_1) | instskip(SKIP_1) | instid1(VALU_DEP_2)
	v_cndmask_b32_e32 v33, 0, v33, vcc_lo
	v_cmp_nlt_f32_e32 vcc_lo, 0x42b17218, v32
	v_cndmask_b32_e32 v32, 0x7f800000, v33, vcc_lo
	s_delay_alu instid0(VALU_DEP_1) | instskip(NEXT) | instid1(VALU_DEP_1)
	v_add_f32_e32 v32, 1.0, v32
	v_rcp_f32_e32 v32, v32
	s_waitcnt_depctr 0xfff
	v_fma_f32 v41, v32, -2.0, 1.0
.LBB25_679:                             ;   in Loop: Header=BB25_14 Depth=1
	s_and_not1_saveexec_b32 s1, s1
; %bb.680:                              ;   in Loop: Header=BB25_14 Depth=1
	v_mul_f32_e32 v32, v105, v105
	s_delay_alu instid0(VALU_DEP_1) | instskip(NEXT) | instid1(VALU_DEP_1)
	v_fmaak_f32 v33, s51, v32, 0x3ca908c9
	v_fmaak_f32 v33, v32, v33, 0xbd5c1c4e
	s_delay_alu instid0(VALU_DEP_1) | instskip(NEXT) | instid1(VALU_DEP_1)
	v_fmaak_f32 v33, v32, v33, 0x3e088382
	v_fmaak_f32 v33, v32, v33, 0xbeaaaa99
	s_delay_alu instid0(VALU_DEP_1) | instskip(NEXT) | instid1(VALU_DEP_1)
	v_mul_f32_e64 v33, |v105|, v33
	v_fma_f32 v41, v32, v33, |v105|
; %bb.681:                              ;   in Loop: Header=BB25_14 Depth=1
	s_or_b32 exec_lo, exec_lo, s1
	v_cmp_ngt_f32_e64 s1, 0x3f200000, |v106|
                                        ; implicit-def: $vgpr42
	s_delay_alu instid0(VALU_DEP_1) | instskip(NEXT) | instid1(SALU_CYCLE_1)
	s_and_saveexec_b32 s2, s1
	s_xor_b32 s1, exec_lo, s2
	s_cbranch_execz .LBB25_683
; %bb.682:                              ;   in Loop: Header=BB25_14 Depth=1
	v_add_f32_e64 v32, |v106|, |v106|
	s_delay_alu instid0(VALU_DEP_1) | instskip(SKIP_1) | instid1(VALU_DEP_2)
	v_mul_f32_e32 v33, 0x3fb8aa3b, v32
	v_cmp_ngt_f32_e32 vcc_lo, 0xc2ce8ed0, v32
	v_rndne_f32_e32 v34, v33
	v_fma_f32 v35, 0x3fb8aa3b, v32, -v33
	s_delay_alu instid0(VALU_DEP_2) | instskip(NEXT) | instid1(VALU_DEP_2)
	v_sub_f32_e32 v33, v33, v34
	v_fmac_f32_e32 v35, 0x32a5705f, v32
	v_cvt_i32_f32_e32 v34, v34
	s_delay_alu instid0(VALU_DEP_2) | instskip(NEXT) | instid1(VALU_DEP_1)
	v_add_f32_e32 v33, v33, v35
	v_exp_f32_e32 v33, v33
	s_waitcnt_depctr 0xfff
	v_ldexp_f32 v33, v33, v34
	s_delay_alu instid0(VALU_DEP_1) | instskip(SKIP_1) | instid1(VALU_DEP_2)
	v_cndmask_b32_e32 v33, 0, v33, vcc_lo
	v_cmp_nlt_f32_e32 vcc_lo, 0x42b17218, v32
	v_cndmask_b32_e32 v32, 0x7f800000, v33, vcc_lo
	s_delay_alu instid0(VALU_DEP_1) | instskip(NEXT) | instid1(VALU_DEP_1)
	v_add_f32_e32 v32, 1.0, v32
	v_rcp_f32_e32 v32, v32
	s_waitcnt_depctr 0xfff
	v_fma_f32 v42, v32, -2.0, 1.0
.LBB25_683:                             ;   in Loop: Header=BB25_14 Depth=1
	s_and_not1_saveexec_b32 s1, s1
; %bb.684:                              ;   in Loop: Header=BB25_14 Depth=1
	v_mul_f32_e32 v32, v106, v106
	s_delay_alu instid0(VALU_DEP_1) | instskip(NEXT) | instid1(VALU_DEP_1)
	v_fmaak_f32 v33, s51, v32, 0x3ca908c9
	v_fmaak_f32 v33, v32, v33, 0xbd5c1c4e
	s_delay_alu instid0(VALU_DEP_1) | instskip(NEXT) | instid1(VALU_DEP_1)
	v_fmaak_f32 v33, v32, v33, 0x3e088382
	v_fmaak_f32 v33, v32, v33, 0xbeaaaa99
	s_delay_alu instid0(VALU_DEP_1) | instskip(NEXT) | instid1(VALU_DEP_1)
	v_mul_f32_e64 v33, |v106|, v33
	v_fma_f32 v42, v32, v33, |v106|
; %bb.685:                              ;   in Loop: Header=BB25_14 Depth=1
	s_or_b32 exec_lo, exec_lo, s1
	v_cmp_ngt_f32_e64 s1, 0x3f200000, |v107|
                                        ; implicit-def: $vgpr43
	s_delay_alu instid0(VALU_DEP_1) | instskip(NEXT) | instid1(SALU_CYCLE_1)
	s_and_saveexec_b32 s2, s1
	s_xor_b32 s1, exec_lo, s2
	s_cbranch_execz .LBB25_687
; %bb.686:                              ;   in Loop: Header=BB25_14 Depth=1
	v_add_f32_e64 v32, |v107|, |v107|
	s_delay_alu instid0(VALU_DEP_1) | instskip(SKIP_1) | instid1(VALU_DEP_2)
	v_mul_f32_e32 v33, 0x3fb8aa3b, v32
	v_cmp_ngt_f32_e32 vcc_lo, 0xc2ce8ed0, v32
	v_rndne_f32_e32 v34, v33
	v_fma_f32 v35, 0x3fb8aa3b, v32, -v33
	s_delay_alu instid0(VALU_DEP_2) | instskip(NEXT) | instid1(VALU_DEP_2)
	v_sub_f32_e32 v33, v33, v34
	v_fmac_f32_e32 v35, 0x32a5705f, v32
	v_cvt_i32_f32_e32 v34, v34
	s_delay_alu instid0(VALU_DEP_2) | instskip(NEXT) | instid1(VALU_DEP_1)
	v_add_f32_e32 v33, v33, v35
	v_exp_f32_e32 v33, v33
	s_waitcnt_depctr 0xfff
	v_ldexp_f32 v33, v33, v34
	s_delay_alu instid0(VALU_DEP_1) | instskip(SKIP_1) | instid1(VALU_DEP_2)
	v_cndmask_b32_e32 v33, 0, v33, vcc_lo
	v_cmp_nlt_f32_e32 vcc_lo, 0x42b17218, v32
	v_cndmask_b32_e32 v32, 0x7f800000, v33, vcc_lo
	s_delay_alu instid0(VALU_DEP_1) | instskip(NEXT) | instid1(VALU_DEP_1)
	v_add_f32_e32 v32, 1.0, v32
	v_rcp_f32_e32 v32, v32
	s_waitcnt_depctr 0xfff
	v_fma_f32 v43, v32, -2.0, 1.0
.LBB25_687:                             ;   in Loop: Header=BB25_14 Depth=1
	s_and_not1_saveexec_b32 s1, s1
; %bb.688:                              ;   in Loop: Header=BB25_14 Depth=1
	v_mul_f32_e32 v32, v107, v107
	s_delay_alu instid0(VALU_DEP_1) | instskip(NEXT) | instid1(VALU_DEP_1)
	v_fmaak_f32 v33, s51, v32, 0x3ca908c9
	v_fmaak_f32 v33, v32, v33, 0xbd5c1c4e
	s_delay_alu instid0(VALU_DEP_1) | instskip(NEXT) | instid1(VALU_DEP_1)
	v_fmaak_f32 v33, v32, v33, 0x3e088382
	v_fmaak_f32 v33, v32, v33, 0xbeaaaa99
	s_delay_alu instid0(VALU_DEP_1) | instskip(NEXT) | instid1(VALU_DEP_1)
	v_mul_f32_e64 v33, |v107|, v33
	v_fma_f32 v43, v32, v33, |v107|
; %bb.689:                              ;   in Loop: Header=BB25_14 Depth=1
	s_or_b32 exec_lo, exec_lo, s1
	v_cmp_ngt_f32_e64 s1, 0x3f200000, |v108|
                                        ; implicit-def: $vgpr44
	s_delay_alu instid0(VALU_DEP_1) | instskip(NEXT) | instid1(SALU_CYCLE_1)
	s_and_saveexec_b32 s2, s1
	s_xor_b32 s1, exec_lo, s2
	s_cbranch_execz .LBB25_691
; %bb.690:                              ;   in Loop: Header=BB25_14 Depth=1
	v_add_f32_e64 v32, |v108|, |v108|
	s_delay_alu instid0(VALU_DEP_1) | instskip(SKIP_1) | instid1(VALU_DEP_2)
	v_mul_f32_e32 v33, 0x3fb8aa3b, v32
	v_cmp_ngt_f32_e32 vcc_lo, 0xc2ce8ed0, v32
	v_rndne_f32_e32 v34, v33
	v_fma_f32 v35, 0x3fb8aa3b, v32, -v33
	s_delay_alu instid0(VALU_DEP_2) | instskip(NEXT) | instid1(VALU_DEP_2)
	v_sub_f32_e32 v33, v33, v34
	v_fmac_f32_e32 v35, 0x32a5705f, v32
	v_cvt_i32_f32_e32 v34, v34
	s_delay_alu instid0(VALU_DEP_2) | instskip(NEXT) | instid1(VALU_DEP_1)
	v_add_f32_e32 v33, v33, v35
	v_exp_f32_e32 v33, v33
	s_waitcnt_depctr 0xfff
	v_ldexp_f32 v33, v33, v34
	s_delay_alu instid0(VALU_DEP_1) | instskip(SKIP_1) | instid1(VALU_DEP_2)
	v_cndmask_b32_e32 v33, 0, v33, vcc_lo
	v_cmp_nlt_f32_e32 vcc_lo, 0x42b17218, v32
	v_cndmask_b32_e32 v32, 0x7f800000, v33, vcc_lo
	s_delay_alu instid0(VALU_DEP_1) | instskip(NEXT) | instid1(VALU_DEP_1)
	v_add_f32_e32 v32, 1.0, v32
	v_rcp_f32_e32 v32, v32
	s_waitcnt_depctr 0xfff
	v_fma_f32 v44, v32, -2.0, 1.0
.LBB25_691:                             ;   in Loop: Header=BB25_14 Depth=1
	s_and_not1_saveexec_b32 s1, s1
; %bb.692:                              ;   in Loop: Header=BB25_14 Depth=1
	v_mul_f32_e32 v32, v108, v108
	s_delay_alu instid0(VALU_DEP_1) | instskip(NEXT) | instid1(VALU_DEP_1)
	v_fmaak_f32 v33, s51, v32, 0x3ca908c9
	v_fmaak_f32 v33, v32, v33, 0xbd5c1c4e
	s_delay_alu instid0(VALU_DEP_1) | instskip(NEXT) | instid1(VALU_DEP_1)
	v_fmaak_f32 v33, v32, v33, 0x3e088382
	v_fmaak_f32 v33, v32, v33, 0xbeaaaa99
	s_delay_alu instid0(VALU_DEP_1) | instskip(NEXT) | instid1(VALU_DEP_1)
	v_mul_f32_e64 v33, |v108|, v33
	v_fma_f32 v44, v32, v33, |v108|
; %bb.693:                              ;   in Loop: Header=BB25_14 Depth=1
	s_or_b32 exec_lo, exec_lo, s1
	v_cmp_ngt_f32_e64 s1, 0x3f200000, |v109|
                                        ; implicit-def: $vgpr45
	s_delay_alu instid0(VALU_DEP_1) | instskip(NEXT) | instid1(SALU_CYCLE_1)
	s_and_saveexec_b32 s2, s1
	s_xor_b32 s1, exec_lo, s2
	s_cbranch_execz .LBB25_695
; %bb.694:                              ;   in Loop: Header=BB25_14 Depth=1
	v_add_f32_e64 v32, |v109|, |v109|
	s_delay_alu instid0(VALU_DEP_1) | instskip(SKIP_1) | instid1(VALU_DEP_2)
	v_mul_f32_e32 v33, 0x3fb8aa3b, v32
	v_cmp_ngt_f32_e32 vcc_lo, 0xc2ce8ed0, v32
	v_rndne_f32_e32 v34, v33
	v_fma_f32 v35, 0x3fb8aa3b, v32, -v33
	s_delay_alu instid0(VALU_DEP_2) | instskip(NEXT) | instid1(VALU_DEP_2)
	v_sub_f32_e32 v33, v33, v34
	v_fmac_f32_e32 v35, 0x32a5705f, v32
	v_cvt_i32_f32_e32 v34, v34
	s_delay_alu instid0(VALU_DEP_2) | instskip(NEXT) | instid1(VALU_DEP_1)
	v_add_f32_e32 v33, v33, v35
	v_exp_f32_e32 v33, v33
	s_waitcnt_depctr 0xfff
	v_ldexp_f32 v33, v33, v34
	s_delay_alu instid0(VALU_DEP_1) | instskip(SKIP_1) | instid1(VALU_DEP_2)
	v_cndmask_b32_e32 v33, 0, v33, vcc_lo
	v_cmp_nlt_f32_e32 vcc_lo, 0x42b17218, v32
	v_cndmask_b32_e32 v32, 0x7f800000, v33, vcc_lo
	s_delay_alu instid0(VALU_DEP_1) | instskip(NEXT) | instid1(VALU_DEP_1)
	v_add_f32_e32 v32, 1.0, v32
	v_rcp_f32_e32 v32, v32
	s_waitcnt_depctr 0xfff
	v_fma_f32 v45, v32, -2.0, 1.0
.LBB25_695:                             ;   in Loop: Header=BB25_14 Depth=1
	s_and_not1_saveexec_b32 s1, s1
; %bb.696:                              ;   in Loop: Header=BB25_14 Depth=1
	v_mul_f32_e32 v32, v109, v109
	s_delay_alu instid0(VALU_DEP_1) | instskip(NEXT) | instid1(VALU_DEP_1)
	v_fmaak_f32 v33, s51, v32, 0x3ca908c9
	v_fmaak_f32 v33, v32, v33, 0xbd5c1c4e
	s_delay_alu instid0(VALU_DEP_1) | instskip(NEXT) | instid1(VALU_DEP_1)
	v_fmaak_f32 v33, v32, v33, 0x3e088382
	v_fmaak_f32 v33, v32, v33, 0xbeaaaa99
	s_delay_alu instid0(VALU_DEP_1) | instskip(NEXT) | instid1(VALU_DEP_1)
	v_mul_f32_e64 v33, |v109|, v33
	v_fma_f32 v45, v32, v33, |v109|
; %bb.697:                              ;   in Loop: Header=BB25_14 Depth=1
	s_or_b32 exec_lo, exec_lo, s1
	v_cmp_ngt_f32_e64 s1, 0x3f200000, |v110|
                                        ; implicit-def: $vgpr46
	s_delay_alu instid0(VALU_DEP_1) | instskip(NEXT) | instid1(SALU_CYCLE_1)
	s_and_saveexec_b32 s2, s1
	s_xor_b32 s1, exec_lo, s2
	s_cbranch_execz .LBB25_699
; %bb.698:                              ;   in Loop: Header=BB25_14 Depth=1
	v_add_f32_e64 v32, |v110|, |v110|
	s_delay_alu instid0(VALU_DEP_1) | instskip(SKIP_1) | instid1(VALU_DEP_2)
	v_mul_f32_e32 v33, 0x3fb8aa3b, v32
	v_cmp_ngt_f32_e32 vcc_lo, 0xc2ce8ed0, v32
	v_rndne_f32_e32 v34, v33
	v_fma_f32 v35, 0x3fb8aa3b, v32, -v33
	s_delay_alu instid0(VALU_DEP_2) | instskip(NEXT) | instid1(VALU_DEP_2)
	v_sub_f32_e32 v33, v33, v34
	v_fmac_f32_e32 v35, 0x32a5705f, v32
	v_cvt_i32_f32_e32 v34, v34
	s_delay_alu instid0(VALU_DEP_2) | instskip(NEXT) | instid1(VALU_DEP_1)
	v_add_f32_e32 v33, v33, v35
	v_exp_f32_e32 v33, v33
	s_waitcnt_depctr 0xfff
	v_ldexp_f32 v33, v33, v34
	s_delay_alu instid0(VALU_DEP_1) | instskip(SKIP_1) | instid1(VALU_DEP_2)
	v_cndmask_b32_e32 v33, 0, v33, vcc_lo
	v_cmp_nlt_f32_e32 vcc_lo, 0x42b17218, v32
	v_cndmask_b32_e32 v32, 0x7f800000, v33, vcc_lo
	s_delay_alu instid0(VALU_DEP_1) | instskip(NEXT) | instid1(VALU_DEP_1)
	v_add_f32_e32 v32, 1.0, v32
	v_rcp_f32_e32 v32, v32
	s_waitcnt_depctr 0xfff
	v_fma_f32 v46, v32, -2.0, 1.0
.LBB25_699:                             ;   in Loop: Header=BB25_14 Depth=1
	s_and_not1_saveexec_b32 s1, s1
; %bb.700:                              ;   in Loop: Header=BB25_14 Depth=1
	v_mul_f32_e32 v32, v110, v110
	s_delay_alu instid0(VALU_DEP_1) | instskip(NEXT) | instid1(VALU_DEP_1)
	v_fmaak_f32 v33, s51, v32, 0x3ca908c9
	v_fmaak_f32 v33, v32, v33, 0xbd5c1c4e
	s_delay_alu instid0(VALU_DEP_1) | instskip(NEXT) | instid1(VALU_DEP_1)
	v_fmaak_f32 v33, v32, v33, 0x3e088382
	v_fmaak_f32 v33, v32, v33, 0xbeaaaa99
	s_delay_alu instid0(VALU_DEP_1) | instskip(NEXT) | instid1(VALU_DEP_1)
	v_mul_f32_e64 v33, |v110|, v33
	v_fma_f32 v46, v32, v33, |v110|
; %bb.701:                              ;   in Loop: Header=BB25_14 Depth=1
	s_or_b32 exec_lo, exec_lo, s1
	v_cmp_ngt_f32_e64 s1, 0x3f200000, |v111|
                                        ; implicit-def: $vgpr47
	s_delay_alu instid0(VALU_DEP_1) | instskip(NEXT) | instid1(SALU_CYCLE_1)
	s_and_saveexec_b32 s2, s1
	s_xor_b32 s1, exec_lo, s2
	s_cbranch_execz .LBB25_703
; %bb.702:                              ;   in Loop: Header=BB25_14 Depth=1
	v_add_f32_e64 v32, |v111|, |v111|
	s_delay_alu instid0(VALU_DEP_1) | instskip(SKIP_1) | instid1(VALU_DEP_2)
	v_mul_f32_e32 v33, 0x3fb8aa3b, v32
	v_cmp_ngt_f32_e32 vcc_lo, 0xc2ce8ed0, v32
	v_rndne_f32_e32 v34, v33
	v_fma_f32 v35, 0x3fb8aa3b, v32, -v33
	s_delay_alu instid0(VALU_DEP_2) | instskip(NEXT) | instid1(VALU_DEP_2)
	v_sub_f32_e32 v33, v33, v34
	v_fmac_f32_e32 v35, 0x32a5705f, v32
	v_cvt_i32_f32_e32 v34, v34
	s_delay_alu instid0(VALU_DEP_2) | instskip(NEXT) | instid1(VALU_DEP_1)
	v_add_f32_e32 v33, v33, v35
	v_exp_f32_e32 v33, v33
	s_waitcnt_depctr 0xfff
	v_ldexp_f32 v33, v33, v34
	s_delay_alu instid0(VALU_DEP_1) | instskip(SKIP_1) | instid1(VALU_DEP_2)
	v_cndmask_b32_e32 v33, 0, v33, vcc_lo
	v_cmp_nlt_f32_e32 vcc_lo, 0x42b17218, v32
	v_cndmask_b32_e32 v32, 0x7f800000, v33, vcc_lo
	s_delay_alu instid0(VALU_DEP_1) | instskip(NEXT) | instid1(VALU_DEP_1)
	v_add_f32_e32 v32, 1.0, v32
	v_rcp_f32_e32 v32, v32
	s_waitcnt_depctr 0xfff
	v_fma_f32 v47, v32, -2.0, 1.0
.LBB25_703:                             ;   in Loop: Header=BB25_14 Depth=1
	s_and_not1_saveexec_b32 s1, s1
; %bb.704:                              ;   in Loop: Header=BB25_14 Depth=1
	v_mul_f32_e32 v32, v111, v111
	s_delay_alu instid0(VALU_DEP_1) | instskip(NEXT) | instid1(VALU_DEP_1)
	v_fmaak_f32 v33, s51, v32, 0x3ca908c9
	v_fmaak_f32 v33, v32, v33, 0xbd5c1c4e
	s_delay_alu instid0(VALU_DEP_1) | instskip(NEXT) | instid1(VALU_DEP_1)
	v_fmaak_f32 v33, v32, v33, 0x3e088382
	v_fmaak_f32 v33, v32, v33, 0xbeaaaa99
	s_delay_alu instid0(VALU_DEP_1) | instskip(NEXT) | instid1(VALU_DEP_1)
	v_mul_f32_e64 v33, |v111|, v33
	v_fma_f32 v47, v32, v33, |v111|
; %bb.705:                              ;   in Loop: Header=BB25_14 Depth=1
	s_or_b32 exec_lo, exec_lo, s1
	s_clause 0x1
	scratch_load_b128 v[72:75], off, off offset:32
	scratch_load_b128 v[76:79], off, off offset:48
	v_dual_mov_b32 v32, s36 :: v_dual_mov_b32 v33, s37
	v_dual_mov_b32 v34, s38 :: v_dual_mov_b32 v35, s39
	v_dual_mov_b32 v36, s40 :: v_dual_mov_b32 v37, s41
	v_dual_mov_b32 v38, s42 :: v_dual_mov_b32 v39, s43
	v_dual_mov_b32 v64, v80 :: v_dual_mov_b32 v65, v81
	v_dual_mov_b32 v66, v82 :: v_dual_mov_b32 v67, v83
	v_dual_mov_b32 v68, v84 :: v_dual_mov_b32 v69, v85
	v_dual_mov_b32 v70, v86 :: v_dual_mov_b32 v71, v87
	v_dual_mov_b32 v88, v138 :: v_dual_mov_b32 v89, v139
	v_dual_mov_b32 v90, v140 :: v_dual_mov_b32 v91, v141
	v_dual_mov_b32 v92, v142 :: v_dual_mov_b32 v93, v143
	v_dual_mov_b32 v94, v144 :: v_dual_mov_b32 v95, v145
	v_dual_mov_b32 v112, v146 :: v_dual_mov_b32 v113, v147
	v_dual_mov_b32 v114, v148 :: v_dual_mov_b32 v115, v149
	v_dual_mov_b32 v116, v150 :: v_dual_mov_b32 v117, v151
	v_dual_mov_b32 v118, v152 :: v_dual_mov_b32 v119, v153
                                        ; implicit-def: $vgpr48
	s_waitcnt vmcnt(0)
	v_wmma_f32_16x16x16_f16 v[208:215], v[240:247], v[72:79], v[32:39]
	s_delay_alu instid0(VALU_DEP_1) | instskip(SKIP_2) | instid1(VALU_DEP_3)
	v_wmma_f32_16x16x16_f16 v[208:215], v[232:239], v[80:87], v[208:215]
	v_dual_mov_b32 v80, v130 :: v_dual_mov_b32 v81, v131
	v_dual_mov_b32 v82, v132 :: v_dual_mov_b32 v83, v133
	v_wmma_f32_16x16x16_f16 v[208:215], v[224:231], v[130:137], v[208:215]
	v_dual_mov_b32 v84, v134 :: v_dual_mov_b32 v85, v135
	v_dual_mov_b32 v86, v136 :: v_dual_mov_b32 v87, v137
	s_clause 0x1
	scratch_load_b128 v[130:133], off, off offset:64
	scratch_load_b128 v[134:137], off, off offset:80
	v_wmma_f32_16x16x16_f16 v[208:215], v[216:223], v[138:145], v[208:215]
	s_clause 0x1
	scratch_load_b128 v[138:141], off, off offset:96
	scratch_load_b128 v[142:145], off, off offset:112
	v_wmma_f32_16x16x16_f16 v[208:215], v[200:207], v[146:153], v[208:215]
	s_delay_alu instid0(VALU_DEP_1) | instskip(SKIP_1) | instid1(VALU_DEP_1)
	v_wmma_f32_16x16x16_f16 v[208:215], v[192:199], v[154:161], v[208:215]
	s_waitcnt vmcnt(2)
	v_wmma_f32_16x16x16_f16 v[208:215], v[184:191], v[130:137], v[208:215]
	s_waitcnt vmcnt(0)
	s_delay_alu instid0(VALU_DEP_1) | instskip(NEXT) | instid1(VALU_DEP_1)
	v_wmma_f32_16x16x16_f16 v[208:215], v[176:183], v[138:145], v[208:215]
	v_cmp_ngt_f32_e64 s1, 0x3f200000, |v208|
	s_delay_alu instid0(VALU_DEP_1) | instskip(NEXT) | instid1(SALU_CYCLE_1)
	s_and_saveexec_b32 s2, s1
	s_xor_b32 s1, exec_lo, s2
	s_cbranch_execz .LBB25_707
; %bb.706:                              ;   in Loop: Header=BB25_14 Depth=1
	v_add_f32_e64 v32, |v208|, |v208|
	s_delay_alu instid0(VALU_DEP_1) | instskip(SKIP_1) | instid1(VALU_DEP_2)
	v_mul_f32_e32 v33, 0x3fb8aa3b, v32
	v_cmp_ngt_f32_e32 vcc_lo, 0xc2ce8ed0, v32
	v_rndne_f32_e32 v34, v33
	v_fma_f32 v35, 0x3fb8aa3b, v32, -v33
	s_delay_alu instid0(VALU_DEP_2) | instskip(NEXT) | instid1(VALU_DEP_2)
	v_sub_f32_e32 v33, v33, v34
	v_fmac_f32_e32 v35, 0x32a5705f, v32
	v_cvt_i32_f32_e32 v34, v34
	s_delay_alu instid0(VALU_DEP_2) | instskip(NEXT) | instid1(VALU_DEP_1)
	v_add_f32_e32 v33, v33, v35
	v_exp_f32_e32 v33, v33
	s_waitcnt_depctr 0xfff
	v_ldexp_f32 v33, v33, v34
	s_delay_alu instid0(VALU_DEP_1) | instskip(SKIP_1) | instid1(VALU_DEP_2)
	v_cndmask_b32_e32 v33, 0, v33, vcc_lo
	v_cmp_nlt_f32_e32 vcc_lo, 0x42b17218, v32
	v_cndmask_b32_e32 v32, 0x7f800000, v33, vcc_lo
	s_delay_alu instid0(VALU_DEP_1) | instskip(NEXT) | instid1(VALU_DEP_1)
	v_add_f32_e32 v32, 1.0, v32
	v_rcp_f32_e32 v32, v32
	s_waitcnt_depctr 0xfff
	v_fma_f32 v48, v32, -2.0, 1.0
.LBB25_707:                             ;   in Loop: Header=BB25_14 Depth=1
	s_and_not1_saveexec_b32 s1, s1
; %bb.708:                              ;   in Loop: Header=BB25_14 Depth=1
	v_mul_f32_e32 v32, v208, v208
	s_delay_alu instid0(VALU_DEP_1) | instskip(NEXT) | instid1(VALU_DEP_1)
	v_fmaak_f32 v33, s51, v32, 0x3ca908c9
	v_fmaak_f32 v33, v32, v33, 0xbd5c1c4e
	s_delay_alu instid0(VALU_DEP_1) | instskip(NEXT) | instid1(VALU_DEP_1)
	v_fmaak_f32 v33, v32, v33, 0x3e088382
	v_fmaak_f32 v33, v32, v33, 0xbeaaaa99
	s_delay_alu instid0(VALU_DEP_1) | instskip(NEXT) | instid1(VALU_DEP_1)
	v_mul_f32_e64 v33, |v208|, v33
	v_fma_f32 v48, v32, v33, |v208|
; %bb.709:                              ;   in Loop: Header=BB25_14 Depth=1
	s_or_b32 exec_lo, exec_lo, s1
	v_cmp_ngt_f32_e64 s1, 0x3f200000, |v209|
                                        ; implicit-def: $vgpr49
	s_delay_alu instid0(VALU_DEP_1) | instskip(NEXT) | instid1(SALU_CYCLE_1)
	s_and_saveexec_b32 s2, s1
	s_xor_b32 s1, exec_lo, s2
	s_cbranch_execz .LBB25_711
; %bb.710:                              ;   in Loop: Header=BB25_14 Depth=1
	v_add_f32_e64 v32, |v209|, |v209|
	s_delay_alu instid0(VALU_DEP_1) | instskip(SKIP_1) | instid1(VALU_DEP_2)
	v_mul_f32_e32 v33, 0x3fb8aa3b, v32
	v_cmp_ngt_f32_e32 vcc_lo, 0xc2ce8ed0, v32
	v_rndne_f32_e32 v34, v33
	v_fma_f32 v35, 0x3fb8aa3b, v32, -v33
	s_delay_alu instid0(VALU_DEP_2) | instskip(NEXT) | instid1(VALU_DEP_2)
	v_sub_f32_e32 v33, v33, v34
	v_fmac_f32_e32 v35, 0x32a5705f, v32
	v_cvt_i32_f32_e32 v34, v34
	s_delay_alu instid0(VALU_DEP_2) | instskip(NEXT) | instid1(VALU_DEP_1)
	v_add_f32_e32 v33, v33, v35
	v_exp_f32_e32 v33, v33
	s_waitcnt_depctr 0xfff
	v_ldexp_f32 v33, v33, v34
	s_delay_alu instid0(VALU_DEP_1) | instskip(SKIP_1) | instid1(VALU_DEP_2)
	v_cndmask_b32_e32 v33, 0, v33, vcc_lo
	v_cmp_nlt_f32_e32 vcc_lo, 0x42b17218, v32
	v_cndmask_b32_e32 v32, 0x7f800000, v33, vcc_lo
	s_delay_alu instid0(VALU_DEP_1) | instskip(NEXT) | instid1(VALU_DEP_1)
	v_add_f32_e32 v32, 1.0, v32
	v_rcp_f32_e32 v32, v32
	s_waitcnt_depctr 0xfff
	v_fma_f32 v49, v32, -2.0, 1.0
.LBB25_711:                             ;   in Loop: Header=BB25_14 Depth=1
	s_and_not1_saveexec_b32 s1, s1
; %bb.712:                              ;   in Loop: Header=BB25_14 Depth=1
	v_mul_f32_e32 v32, v209, v209
	s_delay_alu instid0(VALU_DEP_1) | instskip(NEXT) | instid1(VALU_DEP_1)
	v_fmaak_f32 v33, s51, v32, 0x3ca908c9
	v_fmaak_f32 v33, v32, v33, 0xbd5c1c4e
	s_delay_alu instid0(VALU_DEP_1) | instskip(NEXT) | instid1(VALU_DEP_1)
	v_fmaak_f32 v33, v32, v33, 0x3e088382
	v_fmaak_f32 v33, v32, v33, 0xbeaaaa99
	s_delay_alu instid0(VALU_DEP_1) | instskip(NEXT) | instid1(VALU_DEP_1)
	v_mul_f32_e64 v33, |v209|, v33
	v_fma_f32 v49, v32, v33, |v209|
; %bb.713:                              ;   in Loop: Header=BB25_14 Depth=1
	s_or_b32 exec_lo, exec_lo, s1
	v_cmp_ngt_f32_e64 s1, 0x3f200000, |v210|
                                        ; implicit-def: $vgpr50
	s_delay_alu instid0(VALU_DEP_1) | instskip(NEXT) | instid1(SALU_CYCLE_1)
	s_and_saveexec_b32 s2, s1
	s_xor_b32 s1, exec_lo, s2
	s_cbranch_execz .LBB25_715
; %bb.714:                              ;   in Loop: Header=BB25_14 Depth=1
	v_add_f32_e64 v32, |v210|, |v210|
	s_delay_alu instid0(VALU_DEP_1) | instskip(SKIP_1) | instid1(VALU_DEP_2)
	v_mul_f32_e32 v33, 0x3fb8aa3b, v32
	v_cmp_ngt_f32_e32 vcc_lo, 0xc2ce8ed0, v32
	v_rndne_f32_e32 v34, v33
	v_fma_f32 v35, 0x3fb8aa3b, v32, -v33
	s_delay_alu instid0(VALU_DEP_2) | instskip(NEXT) | instid1(VALU_DEP_2)
	v_sub_f32_e32 v33, v33, v34
	v_fmac_f32_e32 v35, 0x32a5705f, v32
	v_cvt_i32_f32_e32 v34, v34
	s_delay_alu instid0(VALU_DEP_2) | instskip(NEXT) | instid1(VALU_DEP_1)
	v_add_f32_e32 v33, v33, v35
	v_exp_f32_e32 v33, v33
	s_waitcnt_depctr 0xfff
	v_ldexp_f32 v33, v33, v34
	s_delay_alu instid0(VALU_DEP_1) | instskip(SKIP_1) | instid1(VALU_DEP_2)
	v_cndmask_b32_e32 v33, 0, v33, vcc_lo
	v_cmp_nlt_f32_e32 vcc_lo, 0x42b17218, v32
	v_cndmask_b32_e32 v32, 0x7f800000, v33, vcc_lo
	s_delay_alu instid0(VALU_DEP_1) | instskip(NEXT) | instid1(VALU_DEP_1)
	v_add_f32_e32 v32, 1.0, v32
	v_rcp_f32_e32 v32, v32
	s_waitcnt_depctr 0xfff
	v_fma_f32 v50, v32, -2.0, 1.0
.LBB25_715:                             ;   in Loop: Header=BB25_14 Depth=1
	s_and_not1_saveexec_b32 s1, s1
; %bb.716:                              ;   in Loop: Header=BB25_14 Depth=1
	v_mul_f32_e32 v32, v210, v210
	s_delay_alu instid0(VALU_DEP_1) | instskip(NEXT) | instid1(VALU_DEP_1)
	v_fmaak_f32 v33, s51, v32, 0x3ca908c9
	v_fmaak_f32 v33, v32, v33, 0xbd5c1c4e
	s_delay_alu instid0(VALU_DEP_1) | instskip(NEXT) | instid1(VALU_DEP_1)
	v_fmaak_f32 v33, v32, v33, 0x3e088382
	v_fmaak_f32 v33, v32, v33, 0xbeaaaa99
	s_delay_alu instid0(VALU_DEP_1) | instskip(NEXT) | instid1(VALU_DEP_1)
	v_mul_f32_e64 v33, |v210|, v33
	v_fma_f32 v50, v32, v33, |v210|
; %bb.717:                              ;   in Loop: Header=BB25_14 Depth=1
	s_or_b32 exec_lo, exec_lo, s1
	v_cmp_ngt_f32_e64 s1, 0x3f200000, |v211|
                                        ; implicit-def: $vgpr51
	s_delay_alu instid0(VALU_DEP_1) | instskip(NEXT) | instid1(SALU_CYCLE_1)
	s_and_saveexec_b32 s2, s1
	s_xor_b32 s1, exec_lo, s2
	s_cbranch_execz .LBB25_719
; %bb.718:                              ;   in Loop: Header=BB25_14 Depth=1
	v_add_f32_e64 v32, |v211|, |v211|
	s_delay_alu instid0(VALU_DEP_1) | instskip(SKIP_1) | instid1(VALU_DEP_2)
	v_mul_f32_e32 v33, 0x3fb8aa3b, v32
	v_cmp_ngt_f32_e32 vcc_lo, 0xc2ce8ed0, v32
	v_rndne_f32_e32 v34, v33
	v_fma_f32 v35, 0x3fb8aa3b, v32, -v33
	s_delay_alu instid0(VALU_DEP_2) | instskip(NEXT) | instid1(VALU_DEP_2)
	v_sub_f32_e32 v33, v33, v34
	v_fmac_f32_e32 v35, 0x32a5705f, v32
	v_cvt_i32_f32_e32 v34, v34
	s_delay_alu instid0(VALU_DEP_2) | instskip(NEXT) | instid1(VALU_DEP_1)
	v_add_f32_e32 v33, v33, v35
	v_exp_f32_e32 v33, v33
	s_waitcnt_depctr 0xfff
	v_ldexp_f32 v33, v33, v34
	s_delay_alu instid0(VALU_DEP_1) | instskip(SKIP_1) | instid1(VALU_DEP_2)
	v_cndmask_b32_e32 v33, 0, v33, vcc_lo
	v_cmp_nlt_f32_e32 vcc_lo, 0x42b17218, v32
	v_cndmask_b32_e32 v32, 0x7f800000, v33, vcc_lo
	s_delay_alu instid0(VALU_DEP_1) | instskip(NEXT) | instid1(VALU_DEP_1)
	v_add_f32_e32 v32, 1.0, v32
	v_rcp_f32_e32 v32, v32
	s_waitcnt_depctr 0xfff
	v_fma_f32 v51, v32, -2.0, 1.0
.LBB25_719:                             ;   in Loop: Header=BB25_14 Depth=1
	s_and_not1_saveexec_b32 s1, s1
; %bb.720:                              ;   in Loop: Header=BB25_14 Depth=1
	v_mul_f32_e32 v32, v211, v211
	s_delay_alu instid0(VALU_DEP_1) | instskip(NEXT) | instid1(VALU_DEP_1)
	v_fmaak_f32 v33, s51, v32, 0x3ca908c9
	v_fmaak_f32 v33, v32, v33, 0xbd5c1c4e
	s_delay_alu instid0(VALU_DEP_1) | instskip(NEXT) | instid1(VALU_DEP_1)
	v_fmaak_f32 v33, v32, v33, 0x3e088382
	v_fmaak_f32 v33, v32, v33, 0xbeaaaa99
	s_delay_alu instid0(VALU_DEP_1) | instskip(NEXT) | instid1(VALU_DEP_1)
	v_mul_f32_e64 v33, |v211|, v33
	v_fma_f32 v51, v32, v33, |v211|
; %bb.721:                              ;   in Loop: Header=BB25_14 Depth=1
	s_or_b32 exec_lo, exec_lo, s1
	v_cmp_ngt_f32_e64 s1, 0x3f200000, |v212|
                                        ; implicit-def: $vgpr52
	s_delay_alu instid0(VALU_DEP_1) | instskip(NEXT) | instid1(SALU_CYCLE_1)
	s_and_saveexec_b32 s2, s1
	s_xor_b32 s1, exec_lo, s2
	s_cbranch_execz .LBB25_723
; %bb.722:                              ;   in Loop: Header=BB25_14 Depth=1
	v_add_f32_e64 v32, |v212|, |v212|
	s_delay_alu instid0(VALU_DEP_1) | instskip(SKIP_1) | instid1(VALU_DEP_2)
	v_mul_f32_e32 v33, 0x3fb8aa3b, v32
	v_cmp_ngt_f32_e32 vcc_lo, 0xc2ce8ed0, v32
	v_rndne_f32_e32 v34, v33
	v_fma_f32 v35, 0x3fb8aa3b, v32, -v33
	s_delay_alu instid0(VALU_DEP_2) | instskip(NEXT) | instid1(VALU_DEP_2)
	v_sub_f32_e32 v33, v33, v34
	v_fmac_f32_e32 v35, 0x32a5705f, v32
	v_cvt_i32_f32_e32 v34, v34
	s_delay_alu instid0(VALU_DEP_2) | instskip(NEXT) | instid1(VALU_DEP_1)
	v_add_f32_e32 v33, v33, v35
	v_exp_f32_e32 v33, v33
	s_waitcnt_depctr 0xfff
	v_ldexp_f32 v33, v33, v34
	s_delay_alu instid0(VALU_DEP_1) | instskip(SKIP_1) | instid1(VALU_DEP_2)
	v_cndmask_b32_e32 v33, 0, v33, vcc_lo
	v_cmp_nlt_f32_e32 vcc_lo, 0x42b17218, v32
	v_cndmask_b32_e32 v32, 0x7f800000, v33, vcc_lo
	s_delay_alu instid0(VALU_DEP_1) | instskip(NEXT) | instid1(VALU_DEP_1)
	v_add_f32_e32 v32, 1.0, v32
	v_rcp_f32_e32 v32, v32
	s_waitcnt_depctr 0xfff
	v_fma_f32 v52, v32, -2.0, 1.0
.LBB25_723:                             ;   in Loop: Header=BB25_14 Depth=1
	s_and_not1_saveexec_b32 s1, s1
; %bb.724:                              ;   in Loop: Header=BB25_14 Depth=1
	v_mul_f32_e32 v32, v212, v212
	s_delay_alu instid0(VALU_DEP_1) | instskip(NEXT) | instid1(VALU_DEP_1)
	v_fmaak_f32 v33, s51, v32, 0x3ca908c9
	v_fmaak_f32 v33, v32, v33, 0xbd5c1c4e
	s_delay_alu instid0(VALU_DEP_1) | instskip(NEXT) | instid1(VALU_DEP_1)
	v_fmaak_f32 v33, v32, v33, 0x3e088382
	v_fmaak_f32 v33, v32, v33, 0xbeaaaa99
	s_delay_alu instid0(VALU_DEP_1) | instskip(NEXT) | instid1(VALU_DEP_1)
	v_mul_f32_e64 v33, |v212|, v33
	v_fma_f32 v52, v32, v33, |v212|
; %bb.725:                              ;   in Loop: Header=BB25_14 Depth=1
	s_or_b32 exec_lo, exec_lo, s1
	v_cmp_ngt_f32_e64 s1, 0x3f200000, |v213|
                                        ; implicit-def: $vgpr53
	s_delay_alu instid0(VALU_DEP_1) | instskip(NEXT) | instid1(SALU_CYCLE_1)
	s_and_saveexec_b32 s2, s1
	s_xor_b32 s1, exec_lo, s2
	s_cbranch_execz .LBB25_727
; %bb.726:                              ;   in Loop: Header=BB25_14 Depth=1
	v_add_f32_e64 v32, |v213|, |v213|
	s_delay_alu instid0(VALU_DEP_1) | instskip(SKIP_1) | instid1(VALU_DEP_2)
	v_mul_f32_e32 v33, 0x3fb8aa3b, v32
	v_cmp_ngt_f32_e32 vcc_lo, 0xc2ce8ed0, v32
	v_rndne_f32_e32 v34, v33
	v_fma_f32 v35, 0x3fb8aa3b, v32, -v33
	s_delay_alu instid0(VALU_DEP_2) | instskip(NEXT) | instid1(VALU_DEP_2)
	v_sub_f32_e32 v33, v33, v34
	v_fmac_f32_e32 v35, 0x32a5705f, v32
	v_cvt_i32_f32_e32 v34, v34
	s_delay_alu instid0(VALU_DEP_2) | instskip(NEXT) | instid1(VALU_DEP_1)
	v_add_f32_e32 v33, v33, v35
	v_exp_f32_e32 v33, v33
	s_waitcnt_depctr 0xfff
	v_ldexp_f32 v33, v33, v34
	s_delay_alu instid0(VALU_DEP_1) | instskip(SKIP_1) | instid1(VALU_DEP_2)
	v_cndmask_b32_e32 v33, 0, v33, vcc_lo
	v_cmp_nlt_f32_e32 vcc_lo, 0x42b17218, v32
	v_cndmask_b32_e32 v32, 0x7f800000, v33, vcc_lo
	s_delay_alu instid0(VALU_DEP_1) | instskip(NEXT) | instid1(VALU_DEP_1)
	v_add_f32_e32 v32, 1.0, v32
	v_rcp_f32_e32 v32, v32
	s_waitcnt_depctr 0xfff
	v_fma_f32 v53, v32, -2.0, 1.0
.LBB25_727:                             ;   in Loop: Header=BB25_14 Depth=1
	s_and_not1_saveexec_b32 s1, s1
; %bb.728:                              ;   in Loop: Header=BB25_14 Depth=1
	v_mul_f32_e32 v32, v213, v213
	s_delay_alu instid0(VALU_DEP_1) | instskip(NEXT) | instid1(VALU_DEP_1)
	v_fmaak_f32 v33, s51, v32, 0x3ca908c9
	v_fmaak_f32 v33, v32, v33, 0xbd5c1c4e
	s_delay_alu instid0(VALU_DEP_1) | instskip(NEXT) | instid1(VALU_DEP_1)
	v_fmaak_f32 v33, v32, v33, 0x3e088382
	v_fmaak_f32 v33, v32, v33, 0xbeaaaa99
	s_delay_alu instid0(VALU_DEP_1) | instskip(NEXT) | instid1(VALU_DEP_1)
	v_mul_f32_e64 v33, |v213|, v33
	v_fma_f32 v53, v32, v33, |v213|
; %bb.729:                              ;   in Loop: Header=BB25_14 Depth=1
	s_or_b32 exec_lo, exec_lo, s1
	v_cmp_ngt_f32_e64 s1, 0x3f200000, |v214|
                                        ; implicit-def: $vgpr54
	s_delay_alu instid0(VALU_DEP_1) | instskip(NEXT) | instid1(SALU_CYCLE_1)
	s_and_saveexec_b32 s2, s1
	s_xor_b32 s1, exec_lo, s2
	s_cbranch_execz .LBB25_731
; %bb.730:                              ;   in Loop: Header=BB25_14 Depth=1
	v_add_f32_e64 v32, |v214|, |v214|
	s_delay_alu instid0(VALU_DEP_1) | instskip(SKIP_1) | instid1(VALU_DEP_2)
	v_mul_f32_e32 v33, 0x3fb8aa3b, v32
	v_cmp_ngt_f32_e32 vcc_lo, 0xc2ce8ed0, v32
	v_rndne_f32_e32 v34, v33
	v_fma_f32 v35, 0x3fb8aa3b, v32, -v33
	s_delay_alu instid0(VALU_DEP_2) | instskip(NEXT) | instid1(VALU_DEP_2)
	v_sub_f32_e32 v33, v33, v34
	v_fmac_f32_e32 v35, 0x32a5705f, v32
	v_cvt_i32_f32_e32 v34, v34
	s_delay_alu instid0(VALU_DEP_2) | instskip(NEXT) | instid1(VALU_DEP_1)
	v_add_f32_e32 v33, v33, v35
	v_exp_f32_e32 v33, v33
	s_waitcnt_depctr 0xfff
	v_ldexp_f32 v33, v33, v34
	s_delay_alu instid0(VALU_DEP_1) | instskip(SKIP_1) | instid1(VALU_DEP_2)
	v_cndmask_b32_e32 v33, 0, v33, vcc_lo
	v_cmp_nlt_f32_e32 vcc_lo, 0x42b17218, v32
	v_cndmask_b32_e32 v32, 0x7f800000, v33, vcc_lo
	s_delay_alu instid0(VALU_DEP_1) | instskip(NEXT) | instid1(VALU_DEP_1)
	v_add_f32_e32 v32, 1.0, v32
	v_rcp_f32_e32 v32, v32
	s_waitcnt_depctr 0xfff
	v_fma_f32 v54, v32, -2.0, 1.0
.LBB25_731:                             ;   in Loop: Header=BB25_14 Depth=1
	s_and_not1_saveexec_b32 s1, s1
; %bb.732:                              ;   in Loop: Header=BB25_14 Depth=1
	v_mul_f32_e32 v32, v214, v214
	s_delay_alu instid0(VALU_DEP_1) | instskip(NEXT) | instid1(VALU_DEP_1)
	v_fmaak_f32 v33, s51, v32, 0x3ca908c9
	v_fmaak_f32 v33, v32, v33, 0xbd5c1c4e
	s_delay_alu instid0(VALU_DEP_1) | instskip(NEXT) | instid1(VALU_DEP_1)
	v_fmaak_f32 v33, v32, v33, 0x3e088382
	v_fmaak_f32 v33, v32, v33, 0xbeaaaa99
	s_delay_alu instid0(VALU_DEP_1) | instskip(NEXT) | instid1(VALU_DEP_1)
	v_mul_f32_e64 v33, |v214|, v33
	v_fma_f32 v54, v32, v33, |v214|
; %bb.733:                              ;   in Loop: Header=BB25_14 Depth=1
	s_or_b32 exec_lo, exec_lo, s1
	v_cmp_ngt_f32_e64 s1, 0x3f200000, |v215|
                                        ; implicit-def: $vgpr55
	s_delay_alu instid0(VALU_DEP_1) | instskip(NEXT) | instid1(SALU_CYCLE_1)
	s_and_saveexec_b32 s2, s1
	s_xor_b32 s1, exec_lo, s2
	s_cbranch_execz .LBB25_735
; %bb.734:                              ;   in Loop: Header=BB25_14 Depth=1
	v_add_f32_e64 v32, |v215|, |v215|
	s_delay_alu instid0(VALU_DEP_1) | instskip(SKIP_1) | instid1(VALU_DEP_2)
	v_mul_f32_e32 v33, 0x3fb8aa3b, v32
	v_cmp_ngt_f32_e32 vcc_lo, 0xc2ce8ed0, v32
	v_rndne_f32_e32 v34, v33
	v_fma_f32 v35, 0x3fb8aa3b, v32, -v33
	s_delay_alu instid0(VALU_DEP_2) | instskip(NEXT) | instid1(VALU_DEP_2)
	v_sub_f32_e32 v33, v33, v34
	v_fmac_f32_e32 v35, 0x32a5705f, v32
	v_cvt_i32_f32_e32 v34, v34
	s_delay_alu instid0(VALU_DEP_2) | instskip(NEXT) | instid1(VALU_DEP_1)
	v_add_f32_e32 v33, v33, v35
	v_exp_f32_e32 v33, v33
	s_waitcnt_depctr 0xfff
	v_ldexp_f32 v33, v33, v34
	s_delay_alu instid0(VALU_DEP_1) | instskip(SKIP_1) | instid1(VALU_DEP_2)
	v_cndmask_b32_e32 v33, 0, v33, vcc_lo
	v_cmp_nlt_f32_e32 vcc_lo, 0x42b17218, v32
	v_cndmask_b32_e32 v32, 0x7f800000, v33, vcc_lo
	s_delay_alu instid0(VALU_DEP_1) | instskip(NEXT) | instid1(VALU_DEP_1)
	v_add_f32_e32 v32, 1.0, v32
	v_rcp_f32_e32 v32, v32
	s_waitcnt_depctr 0xfff
	v_fma_f32 v55, v32, -2.0, 1.0
.LBB25_735:                             ;   in Loop: Header=BB25_14 Depth=1
	s_and_not1_saveexec_b32 s1, s1
; %bb.736:                              ;   in Loop: Header=BB25_14 Depth=1
	v_mul_f32_e32 v32, v215, v215
	s_delay_alu instid0(VALU_DEP_1) | instskip(NEXT) | instid1(VALU_DEP_1)
	v_fmaak_f32 v33, s51, v32, 0x3ca908c9
	v_fmaak_f32 v33, v32, v33, 0xbd5c1c4e
	s_delay_alu instid0(VALU_DEP_1) | instskip(NEXT) | instid1(VALU_DEP_1)
	v_fmaak_f32 v33, v32, v33, 0x3e088382
	v_fmaak_f32 v33, v32, v33, 0xbeaaaa99
	s_delay_alu instid0(VALU_DEP_1) | instskip(NEXT) | instid1(VALU_DEP_1)
	v_mul_f32_e64 v33, |v215|, v33
	v_fma_f32 v55, v32, v33, |v215|
; %bb.737:                              ;   in Loop: Header=BB25_14 Depth=1
	s_or_b32 exec_lo, exec_lo, s1
	s_clause 0x1
	scratch_load_b128 v[146:149], off, off offset:288
	scratch_load_b128 v[150:153], off, off offset:304
	v_dual_mov_b32 v63, s43 :: v_dual_mov_b32 v62, s42
	v_dual_mov_b32 v61, s41 :: v_dual_mov_b32 v60, s40
	v_dual_mov_b32 v59, s39 :: v_dual_mov_b32 v58, s38
	v_dual_mov_b32 v57, s37 :: v_dual_mov_b32 v56, s36
	s_waitcnt vmcnt(0)
	s_delay_alu instid0(VALU_DEP_1)
	v_wmma_f32_16x16x16_f16 v[32:39], v[146:153], v[72:79], v[56:63]
	s_clause 0x1
	scratch_load_b128 v[56:59], off, off offset:320
	scratch_load_b128 v[60:63], off, off offset:336
	v_wmma_f32_16x16x16_f16 v[32:39], v[168:175], v[64:71], v[32:39]
	s_waitcnt vmcnt(0)
	s_delay_alu instid0(VALU_DEP_1)
	v_wmma_f32_16x16x16_f16 v[32:39], v[56:63], v[80:87], v[32:39]
	s_clause 0x1
	scratch_load_b128 v[56:59], off, off offset:256
	scratch_load_b128 v[60:63], off, off offset:272
	s_waitcnt vmcnt(0)
	v_wmma_f32_16x16x16_f16 v[32:39], v[56:63], v[88:95], v[32:39]
	s_clause 0x1
	scratch_load_b128 v[56:59], off, off offset:224
	scratch_load_b128 v[60:63], off, off offset:240
	s_waitcnt vmcnt(0)
	;; [unrolled: 5-line block ×5, first 2 shown]
	v_wmma_f32_16x16x16_f16 v[32:39], v[56:63], v[138:145], v[32:39]
                                        ; implicit-def: $vgpr56
	s_delay_alu instid0(VALU_DEP_1) | instskip(NEXT) | instid1(VALU_DEP_1)
	v_cmp_ngt_f32_e64 s1, 0x3f200000, |v32|
	s_and_saveexec_b32 s2, s1
	s_delay_alu instid0(SALU_CYCLE_1)
	s_xor_b32 s1, exec_lo, s2
	s_cbranch_execz .LBB25_739
; %bb.738:                              ;   in Loop: Header=BB25_14 Depth=1
	v_add_f32_e64 v56, |v32|, |v32|
	s_delay_alu instid0(VALU_DEP_1) | instskip(SKIP_1) | instid1(VALU_DEP_2)
	v_mul_f32_e32 v57, 0x3fb8aa3b, v56
	v_cmp_ngt_f32_e32 vcc_lo, 0xc2ce8ed0, v56
	v_rndne_f32_e32 v58, v57
	v_fma_f32 v59, 0x3fb8aa3b, v56, -v57
	s_delay_alu instid0(VALU_DEP_2) | instskip(NEXT) | instid1(VALU_DEP_2)
	v_sub_f32_e32 v57, v57, v58
	v_fmac_f32_e32 v59, 0x32a5705f, v56
	v_cvt_i32_f32_e32 v58, v58
	s_delay_alu instid0(VALU_DEP_2) | instskip(NEXT) | instid1(VALU_DEP_1)
	v_add_f32_e32 v57, v57, v59
	v_exp_f32_e32 v57, v57
	s_waitcnt_depctr 0xfff
	v_ldexp_f32 v57, v57, v58
	s_delay_alu instid0(VALU_DEP_1) | instskip(SKIP_1) | instid1(VALU_DEP_2)
	v_cndmask_b32_e32 v57, 0, v57, vcc_lo
	v_cmp_nlt_f32_e32 vcc_lo, 0x42b17218, v56
	v_cndmask_b32_e32 v56, 0x7f800000, v57, vcc_lo
	s_delay_alu instid0(VALU_DEP_1) | instskip(NEXT) | instid1(VALU_DEP_1)
	v_add_f32_e32 v56, 1.0, v56
	v_rcp_f32_e32 v56, v56
	s_waitcnt_depctr 0xfff
	v_fma_f32 v56, v56, -2.0, 1.0
.LBB25_739:                             ;   in Loop: Header=BB25_14 Depth=1
	s_and_not1_saveexec_b32 s1, s1
; %bb.740:                              ;   in Loop: Header=BB25_14 Depth=1
	v_mul_f32_e32 v56, v32, v32
	s_delay_alu instid0(VALU_DEP_1) | instskip(NEXT) | instid1(VALU_DEP_1)
	v_fmaak_f32 v57, s51, v56, 0x3ca908c9
	v_fmaak_f32 v57, v56, v57, 0xbd5c1c4e
	s_delay_alu instid0(VALU_DEP_1) | instskip(NEXT) | instid1(VALU_DEP_1)
	v_fmaak_f32 v57, v56, v57, 0x3e088382
	v_fmaak_f32 v57, v56, v57, 0xbeaaaa99
	s_delay_alu instid0(VALU_DEP_1) | instskip(NEXT) | instid1(VALU_DEP_1)
	v_mul_f32_e64 v57, |v32|, v57
	v_fma_f32 v56, v56, v57, |v32|
; %bb.741:                              ;   in Loop: Header=BB25_14 Depth=1
	s_or_b32 exec_lo, exec_lo, s1
	v_cmp_ngt_f32_e64 s1, 0x3f200000, |v33|
                                        ; implicit-def: $vgpr57
	s_delay_alu instid0(VALU_DEP_1) | instskip(NEXT) | instid1(SALU_CYCLE_1)
	s_and_saveexec_b32 s2, s1
	s_xor_b32 s1, exec_lo, s2
	s_cbranch_execz .LBB25_743
; %bb.742:                              ;   in Loop: Header=BB25_14 Depth=1
	v_add_f32_e64 v57, |v33|, |v33|
	s_delay_alu instid0(VALU_DEP_1) | instskip(SKIP_1) | instid1(VALU_DEP_2)
	v_mul_f32_e32 v58, 0x3fb8aa3b, v57
	v_cmp_ngt_f32_e32 vcc_lo, 0xc2ce8ed0, v57
	v_rndne_f32_e32 v59, v58
	v_fma_f32 v60, 0x3fb8aa3b, v57, -v58
	s_delay_alu instid0(VALU_DEP_2) | instskip(NEXT) | instid1(VALU_DEP_2)
	v_sub_f32_e32 v58, v58, v59
	v_fmac_f32_e32 v60, 0x32a5705f, v57
	v_cvt_i32_f32_e32 v59, v59
	s_delay_alu instid0(VALU_DEP_2) | instskip(NEXT) | instid1(VALU_DEP_1)
	v_add_f32_e32 v58, v58, v60
	v_exp_f32_e32 v58, v58
	s_waitcnt_depctr 0xfff
	v_ldexp_f32 v58, v58, v59
	s_delay_alu instid0(VALU_DEP_1) | instskip(SKIP_1) | instid1(VALU_DEP_2)
	v_cndmask_b32_e32 v58, 0, v58, vcc_lo
	v_cmp_nlt_f32_e32 vcc_lo, 0x42b17218, v57
	v_cndmask_b32_e32 v57, 0x7f800000, v58, vcc_lo
	s_delay_alu instid0(VALU_DEP_1) | instskip(NEXT) | instid1(VALU_DEP_1)
	v_add_f32_e32 v57, 1.0, v57
	v_rcp_f32_e32 v57, v57
	s_waitcnt_depctr 0xfff
	v_fma_f32 v57, v57, -2.0, 1.0
.LBB25_743:                             ;   in Loop: Header=BB25_14 Depth=1
	s_and_not1_saveexec_b32 s1, s1
; %bb.744:                              ;   in Loop: Header=BB25_14 Depth=1
	v_mul_f32_e32 v57, v33, v33
	s_delay_alu instid0(VALU_DEP_1) | instskip(NEXT) | instid1(VALU_DEP_1)
	v_fmaak_f32 v58, s51, v57, 0x3ca908c9
	v_fmaak_f32 v58, v57, v58, 0xbd5c1c4e
	s_delay_alu instid0(VALU_DEP_1) | instskip(NEXT) | instid1(VALU_DEP_1)
	v_fmaak_f32 v58, v57, v58, 0x3e088382
	v_fmaak_f32 v58, v57, v58, 0xbeaaaa99
	s_delay_alu instid0(VALU_DEP_1) | instskip(NEXT) | instid1(VALU_DEP_1)
	v_mul_f32_e64 v58, |v33|, v58
	v_fma_f32 v57, v57, v58, |v33|
; %bb.745:                              ;   in Loop: Header=BB25_14 Depth=1
	s_or_b32 exec_lo, exec_lo, s1
	v_cmp_ngt_f32_e64 s1, 0x3f200000, |v34|
                                        ; implicit-def: $vgpr58
	s_delay_alu instid0(VALU_DEP_1) | instskip(NEXT) | instid1(SALU_CYCLE_1)
	s_and_saveexec_b32 s2, s1
	s_xor_b32 s1, exec_lo, s2
	s_cbranch_execz .LBB25_747
; %bb.746:                              ;   in Loop: Header=BB25_14 Depth=1
	v_add_f32_e64 v58, |v34|, |v34|
	s_delay_alu instid0(VALU_DEP_1) | instskip(SKIP_1) | instid1(VALU_DEP_2)
	v_mul_f32_e32 v59, 0x3fb8aa3b, v58
	v_cmp_ngt_f32_e32 vcc_lo, 0xc2ce8ed0, v58
	v_rndne_f32_e32 v60, v59
	v_fma_f32 v61, 0x3fb8aa3b, v58, -v59
	s_delay_alu instid0(VALU_DEP_2) | instskip(NEXT) | instid1(VALU_DEP_2)
	v_sub_f32_e32 v59, v59, v60
	v_fmac_f32_e32 v61, 0x32a5705f, v58
	v_cvt_i32_f32_e32 v60, v60
	s_delay_alu instid0(VALU_DEP_2) | instskip(NEXT) | instid1(VALU_DEP_1)
	v_add_f32_e32 v59, v59, v61
	v_exp_f32_e32 v59, v59
	s_waitcnt_depctr 0xfff
	v_ldexp_f32 v59, v59, v60
	s_delay_alu instid0(VALU_DEP_1) | instskip(SKIP_1) | instid1(VALU_DEP_2)
	v_cndmask_b32_e32 v59, 0, v59, vcc_lo
	v_cmp_nlt_f32_e32 vcc_lo, 0x42b17218, v58
	v_cndmask_b32_e32 v58, 0x7f800000, v59, vcc_lo
	s_delay_alu instid0(VALU_DEP_1) | instskip(NEXT) | instid1(VALU_DEP_1)
	v_add_f32_e32 v58, 1.0, v58
	v_rcp_f32_e32 v58, v58
	s_waitcnt_depctr 0xfff
	v_fma_f32 v58, v58, -2.0, 1.0
.LBB25_747:                             ;   in Loop: Header=BB25_14 Depth=1
	s_and_not1_saveexec_b32 s1, s1
; %bb.748:                              ;   in Loop: Header=BB25_14 Depth=1
	v_mul_f32_e32 v58, v34, v34
	s_delay_alu instid0(VALU_DEP_1) | instskip(NEXT) | instid1(VALU_DEP_1)
	v_fmaak_f32 v59, s51, v58, 0x3ca908c9
	v_fmaak_f32 v59, v58, v59, 0xbd5c1c4e
	s_delay_alu instid0(VALU_DEP_1) | instskip(NEXT) | instid1(VALU_DEP_1)
	v_fmaak_f32 v59, v58, v59, 0x3e088382
	v_fmaak_f32 v59, v58, v59, 0xbeaaaa99
	s_delay_alu instid0(VALU_DEP_1) | instskip(NEXT) | instid1(VALU_DEP_1)
	v_mul_f32_e64 v59, |v34|, v59
	v_fma_f32 v58, v58, v59, |v34|
; %bb.749:                              ;   in Loop: Header=BB25_14 Depth=1
	s_or_b32 exec_lo, exec_lo, s1
	v_cmp_ngt_f32_e64 s1, 0x3f200000, |v35|
                                        ; implicit-def: $vgpr59
	s_delay_alu instid0(VALU_DEP_1) | instskip(NEXT) | instid1(SALU_CYCLE_1)
	s_and_saveexec_b32 s2, s1
	s_xor_b32 s1, exec_lo, s2
	s_cbranch_execz .LBB25_751
; %bb.750:                              ;   in Loop: Header=BB25_14 Depth=1
	v_add_f32_e64 v59, |v35|, |v35|
	s_delay_alu instid0(VALU_DEP_1) | instskip(SKIP_1) | instid1(VALU_DEP_2)
	v_mul_f32_e32 v60, 0x3fb8aa3b, v59
	v_cmp_ngt_f32_e32 vcc_lo, 0xc2ce8ed0, v59
	v_rndne_f32_e32 v61, v60
	v_fma_f32 v62, 0x3fb8aa3b, v59, -v60
	s_delay_alu instid0(VALU_DEP_2) | instskip(NEXT) | instid1(VALU_DEP_2)
	v_sub_f32_e32 v60, v60, v61
	v_fmac_f32_e32 v62, 0x32a5705f, v59
	v_cvt_i32_f32_e32 v61, v61
	s_delay_alu instid0(VALU_DEP_2) | instskip(NEXT) | instid1(VALU_DEP_1)
	v_add_f32_e32 v60, v60, v62
	v_exp_f32_e32 v60, v60
	s_waitcnt_depctr 0xfff
	v_ldexp_f32 v60, v60, v61
	s_delay_alu instid0(VALU_DEP_1) | instskip(SKIP_1) | instid1(VALU_DEP_2)
	v_cndmask_b32_e32 v60, 0, v60, vcc_lo
	v_cmp_nlt_f32_e32 vcc_lo, 0x42b17218, v59
	v_cndmask_b32_e32 v59, 0x7f800000, v60, vcc_lo
	s_delay_alu instid0(VALU_DEP_1) | instskip(NEXT) | instid1(VALU_DEP_1)
	v_add_f32_e32 v59, 1.0, v59
	v_rcp_f32_e32 v59, v59
	s_waitcnt_depctr 0xfff
	v_fma_f32 v59, v59, -2.0, 1.0
.LBB25_751:                             ;   in Loop: Header=BB25_14 Depth=1
	s_and_not1_saveexec_b32 s1, s1
; %bb.752:                              ;   in Loop: Header=BB25_14 Depth=1
	v_mul_f32_e32 v59, v35, v35
	s_delay_alu instid0(VALU_DEP_1) | instskip(NEXT) | instid1(VALU_DEP_1)
	v_fmaak_f32 v60, s51, v59, 0x3ca908c9
	v_fmaak_f32 v60, v59, v60, 0xbd5c1c4e
	s_delay_alu instid0(VALU_DEP_1) | instskip(NEXT) | instid1(VALU_DEP_1)
	v_fmaak_f32 v60, v59, v60, 0x3e088382
	v_fmaak_f32 v60, v59, v60, 0xbeaaaa99
	s_delay_alu instid0(VALU_DEP_1) | instskip(NEXT) | instid1(VALU_DEP_1)
	v_mul_f32_e64 v60, |v35|, v60
	v_fma_f32 v59, v59, v60, |v35|
; %bb.753:                              ;   in Loop: Header=BB25_14 Depth=1
	s_or_b32 exec_lo, exec_lo, s1
	v_cmp_ngt_f32_e64 s1, 0x3f200000, |v36|
                                        ; implicit-def: $vgpr60
	s_delay_alu instid0(VALU_DEP_1) | instskip(NEXT) | instid1(SALU_CYCLE_1)
	s_and_saveexec_b32 s2, s1
	s_xor_b32 s1, exec_lo, s2
	s_cbranch_execz .LBB25_755
; %bb.754:                              ;   in Loop: Header=BB25_14 Depth=1
	v_add_f32_e64 v60, |v36|, |v36|
	s_delay_alu instid0(VALU_DEP_1) | instskip(SKIP_1) | instid1(VALU_DEP_2)
	v_mul_f32_e32 v61, 0x3fb8aa3b, v60
	v_cmp_ngt_f32_e32 vcc_lo, 0xc2ce8ed0, v60
	v_rndne_f32_e32 v62, v61
	v_fma_f32 v63, 0x3fb8aa3b, v60, -v61
	s_delay_alu instid0(VALU_DEP_2) | instskip(NEXT) | instid1(VALU_DEP_2)
	v_sub_f32_e32 v61, v61, v62
	v_fmac_f32_e32 v63, 0x32a5705f, v60
	v_cvt_i32_f32_e32 v62, v62
	s_delay_alu instid0(VALU_DEP_2) | instskip(NEXT) | instid1(VALU_DEP_1)
	v_add_f32_e32 v61, v61, v63
	v_exp_f32_e32 v61, v61
	s_waitcnt_depctr 0xfff
	v_ldexp_f32 v61, v61, v62
	s_delay_alu instid0(VALU_DEP_1) | instskip(SKIP_1) | instid1(VALU_DEP_2)
	v_cndmask_b32_e32 v61, 0, v61, vcc_lo
	v_cmp_nlt_f32_e32 vcc_lo, 0x42b17218, v60
	v_cndmask_b32_e32 v60, 0x7f800000, v61, vcc_lo
	s_delay_alu instid0(VALU_DEP_1) | instskip(NEXT) | instid1(VALU_DEP_1)
	v_add_f32_e32 v60, 1.0, v60
	v_rcp_f32_e32 v60, v60
	s_waitcnt_depctr 0xfff
	v_fma_f32 v60, v60, -2.0, 1.0
.LBB25_755:                             ;   in Loop: Header=BB25_14 Depth=1
	s_and_not1_saveexec_b32 s1, s1
; %bb.756:                              ;   in Loop: Header=BB25_14 Depth=1
	v_mul_f32_e32 v60, v36, v36
	s_delay_alu instid0(VALU_DEP_1) | instskip(NEXT) | instid1(VALU_DEP_1)
	v_fmaak_f32 v61, s51, v60, 0x3ca908c9
	v_fmaak_f32 v61, v60, v61, 0xbd5c1c4e
	s_delay_alu instid0(VALU_DEP_1) | instskip(NEXT) | instid1(VALU_DEP_1)
	v_fmaak_f32 v61, v60, v61, 0x3e088382
	v_fmaak_f32 v61, v60, v61, 0xbeaaaa99
	s_delay_alu instid0(VALU_DEP_1) | instskip(NEXT) | instid1(VALU_DEP_1)
	v_mul_f32_e64 v61, |v36|, v61
	v_fma_f32 v60, v60, v61, |v36|
; %bb.757:                              ;   in Loop: Header=BB25_14 Depth=1
	s_or_b32 exec_lo, exec_lo, s1
	v_cmp_ngt_f32_e64 s1, 0x3f200000, |v37|
                                        ; implicit-def: $vgpr61
	s_delay_alu instid0(VALU_DEP_1) | instskip(NEXT) | instid1(SALU_CYCLE_1)
	s_and_saveexec_b32 s2, s1
	s_xor_b32 s1, exec_lo, s2
	s_cbranch_execz .LBB25_759
; %bb.758:                              ;   in Loop: Header=BB25_14 Depth=1
	v_add_f32_e64 v61, |v37|, |v37|
	s_delay_alu instid0(VALU_DEP_1) | instskip(SKIP_1) | instid1(VALU_DEP_2)
	v_mul_f32_e32 v62, 0x3fb8aa3b, v61
	v_cmp_ngt_f32_e32 vcc_lo, 0xc2ce8ed0, v61
	v_rndne_f32_e32 v63, v62
	v_fma_f32 v64, 0x3fb8aa3b, v61, -v62
	s_delay_alu instid0(VALU_DEP_2) | instskip(NEXT) | instid1(VALU_DEP_2)
	v_sub_f32_e32 v62, v62, v63
	v_fmac_f32_e32 v64, 0x32a5705f, v61
	v_cvt_i32_f32_e32 v63, v63
	s_delay_alu instid0(VALU_DEP_2) | instskip(NEXT) | instid1(VALU_DEP_1)
	v_add_f32_e32 v62, v62, v64
	v_exp_f32_e32 v62, v62
	s_waitcnt_depctr 0xfff
	v_ldexp_f32 v62, v62, v63
	s_delay_alu instid0(VALU_DEP_1) | instskip(SKIP_1) | instid1(VALU_DEP_2)
	v_cndmask_b32_e32 v62, 0, v62, vcc_lo
	v_cmp_nlt_f32_e32 vcc_lo, 0x42b17218, v61
	v_cndmask_b32_e32 v61, 0x7f800000, v62, vcc_lo
	s_delay_alu instid0(VALU_DEP_1) | instskip(NEXT) | instid1(VALU_DEP_1)
	v_add_f32_e32 v61, 1.0, v61
	v_rcp_f32_e32 v61, v61
	s_waitcnt_depctr 0xfff
	v_fma_f32 v61, v61, -2.0, 1.0
.LBB25_759:                             ;   in Loop: Header=BB25_14 Depth=1
	s_and_not1_saveexec_b32 s1, s1
; %bb.760:                              ;   in Loop: Header=BB25_14 Depth=1
	v_mul_f32_e32 v61, v37, v37
	s_delay_alu instid0(VALU_DEP_1) | instskip(NEXT) | instid1(VALU_DEP_1)
	v_fmaak_f32 v62, s51, v61, 0x3ca908c9
	v_fmaak_f32 v62, v61, v62, 0xbd5c1c4e
	s_delay_alu instid0(VALU_DEP_1) | instskip(NEXT) | instid1(VALU_DEP_1)
	v_fmaak_f32 v62, v61, v62, 0x3e088382
	v_fmaak_f32 v62, v61, v62, 0xbeaaaa99
	s_delay_alu instid0(VALU_DEP_1) | instskip(NEXT) | instid1(VALU_DEP_1)
	v_mul_f32_e64 v62, |v37|, v62
	v_fma_f32 v61, v61, v62, |v37|
; %bb.761:                              ;   in Loop: Header=BB25_14 Depth=1
	s_or_b32 exec_lo, exec_lo, s1
	v_cmp_ngt_f32_e64 s1, 0x3f200000, |v38|
                                        ; implicit-def: $vgpr62
	s_delay_alu instid0(VALU_DEP_1) | instskip(NEXT) | instid1(SALU_CYCLE_1)
	s_and_saveexec_b32 s2, s1
	s_xor_b32 s1, exec_lo, s2
	s_cbranch_execz .LBB25_763
; %bb.762:                              ;   in Loop: Header=BB25_14 Depth=1
	v_add_f32_e64 v62, |v38|, |v38|
	s_delay_alu instid0(VALU_DEP_1) | instskip(SKIP_1) | instid1(VALU_DEP_2)
	v_mul_f32_e32 v63, 0x3fb8aa3b, v62
	v_cmp_ngt_f32_e32 vcc_lo, 0xc2ce8ed0, v62
	v_rndne_f32_e32 v64, v63
	v_fma_f32 v65, 0x3fb8aa3b, v62, -v63
	s_delay_alu instid0(VALU_DEP_2) | instskip(NEXT) | instid1(VALU_DEP_2)
	v_sub_f32_e32 v63, v63, v64
	v_fmac_f32_e32 v65, 0x32a5705f, v62
	v_cvt_i32_f32_e32 v64, v64
	s_delay_alu instid0(VALU_DEP_2) | instskip(NEXT) | instid1(VALU_DEP_1)
	v_add_f32_e32 v63, v63, v65
	v_exp_f32_e32 v63, v63
	s_waitcnt_depctr 0xfff
	v_ldexp_f32 v63, v63, v64
	s_delay_alu instid0(VALU_DEP_1) | instskip(SKIP_1) | instid1(VALU_DEP_2)
	v_cndmask_b32_e32 v63, 0, v63, vcc_lo
	v_cmp_nlt_f32_e32 vcc_lo, 0x42b17218, v62
	v_cndmask_b32_e32 v62, 0x7f800000, v63, vcc_lo
	s_delay_alu instid0(VALU_DEP_1) | instskip(NEXT) | instid1(VALU_DEP_1)
	v_add_f32_e32 v62, 1.0, v62
	v_rcp_f32_e32 v62, v62
	s_waitcnt_depctr 0xfff
	v_fma_f32 v62, v62, -2.0, 1.0
.LBB25_763:                             ;   in Loop: Header=BB25_14 Depth=1
	s_and_not1_saveexec_b32 s1, s1
; %bb.764:                              ;   in Loop: Header=BB25_14 Depth=1
	v_mul_f32_e32 v62, v38, v38
	s_delay_alu instid0(VALU_DEP_1) | instskip(NEXT) | instid1(VALU_DEP_1)
	v_fmaak_f32 v63, s51, v62, 0x3ca908c9
	v_fmaak_f32 v63, v62, v63, 0xbd5c1c4e
	s_delay_alu instid0(VALU_DEP_1) | instskip(NEXT) | instid1(VALU_DEP_1)
	v_fmaak_f32 v63, v62, v63, 0x3e088382
	v_fmaak_f32 v63, v62, v63, 0xbeaaaa99
	s_delay_alu instid0(VALU_DEP_1) | instskip(NEXT) | instid1(VALU_DEP_1)
	v_mul_f32_e64 v63, |v38|, v63
	v_fma_f32 v62, v62, v63, |v38|
; %bb.765:                              ;   in Loop: Header=BB25_14 Depth=1
	s_or_b32 exec_lo, exec_lo, s1
	v_cmp_ngt_f32_e64 s1, 0x3f200000, |v39|
                                        ; implicit-def: $vgpr63
	s_delay_alu instid0(VALU_DEP_1) | instskip(NEXT) | instid1(SALU_CYCLE_1)
	s_and_saveexec_b32 s2, s1
	s_xor_b32 s1, exec_lo, s2
	s_cbranch_execz .LBB25_767
; %bb.766:                              ;   in Loop: Header=BB25_14 Depth=1
	v_add_f32_e64 v63, |v39|, |v39|
	s_delay_alu instid0(VALU_DEP_1) | instskip(SKIP_1) | instid1(VALU_DEP_2)
	v_mul_f32_e32 v64, 0x3fb8aa3b, v63
	v_cmp_ngt_f32_e32 vcc_lo, 0xc2ce8ed0, v63
	v_rndne_f32_e32 v65, v64
	v_fma_f32 v66, 0x3fb8aa3b, v63, -v64
	s_delay_alu instid0(VALU_DEP_2) | instskip(NEXT) | instid1(VALU_DEP_2)
	v_sub_f32_e32 v64, v64, v65
	v_fmac_f32_e32 v66, 0x32a5705f, v63
	v_cvt_i32_f32_e32 v65, v65
	s_delay_alu instid0(VALU_DEP_2) | instskip(NEXT) | instid1(VALU_DEP_1)
	v_add_f32_e32 v64, v64, v66
	v_exp_f32_e32 v64, v64
	s_waitcnt_depctr 0xfff
	v_ldexp_f32 v64, v64, v65
	s_delay_alu instid0(VALU_DEP_1) | instskip(SKIP_1) | instid1(VALU_DEP_2)
	v_cndmask_b32_e32 v64, 0, v64, vcc_lo
	v_cmp_nlt_f32_e32 vcc_lo, 0x42b17218, v63
	v_cndmask_b32_e32 v63, 0x7f800000, v64, vcc_lo
	s_delay_alu instid0(VALU_DEP_1) | instskip(NEXT) | instid1(VALU_DEP_1)
	v_add_f32_e32 v63, 1.0, v63
	v_rcp_f32_e32 v63, v63
	s_waitcnt_depctr 0xfff
	v_fma_f32 v63, v63, -2.0, 1.0
.LBB25_767:                             ;   in Loop: Header=BB25_14 Depth=1
	s_and_not1_saveexec_b32 s1, s1
; %bb.768:                              ;   in Loop: Header=BB25_14 Depth=1
	v_mul_f32_e32 v63, v39, v39
	s_delay_alu instid0(VALU_DEP_1) | instskip(NEXT) | instid1(VALU_DEP_1)
	v_fmaak_f32 v64, s51, v63, 0x3ca908c9
	v_fmaak_f32 v64, v63, v64, 0xbd5c1c4e
	s_delay_alu instid0(VALU_DEP_1) | instskip(NEXT) | instid1(VALU_DEP_1)
	v_fmaak_f32 v64, v63, v64, 0x3e088382
	v_fmaak_f32 v64, v63, v64, 0xbeaaaa99
	s_delay_alu instid0(VALU_DEP_1) | instskip(NEXT) | instid1(VALU_DEP_1)
	v_mul_f32_e64 v64, |v39|, v64
	v_fma_f32 v63, v63, v64, |v39|
; %bb.769:                              ;   in Loop: Header=BB25_14 Depth=1
	s_or_b32 exec_lo, exec_lo, s1
	scratch_load_b32 v72, off, off offset:524 ; 4-byte Folded Reload
	v_bfi_b32 v56, 0x7fffffff, v56, v32
	v_bfi_b32 v57, 0x7fffffff, v57, v33
	;; [unrolled: 1-line block ×32, first 2 shown]
	s_waitcnt vmcnt(0)
	ds_load_u16 v32, v72
	ds_load_u16 v33, v72 offset:4
	ds_load_u16 v34, v72 offset:8
	;; [unrolled: 1-line block ×3, first 2 shown]
	s_waitcnt lgkmcnt(3)
	v_fma_mix_f32 v32, v45, s33, v32 op_sel_hi:[0,0,1]
	s_waitcnt lgkmcnt(2)
	v_fma_mix_f32 v33, v46, s33, v33 op_sel_hi:[0,0,1]
	;; [unrolled: 2-line block ×4, first 2 shown]
	v_dual_add_f32 v36, 0x40051340, v32 :: v_dual_add_f32 v37, 0x40051340, v33
	s_delay_alu instid0(VALU_DEP_2) | instskip(NEXT) | instid1(VALU_DEP_2)
	v_add_f32_e32 v38, 0x40051340, v35
	v_max3_f32 v36, v121, v36, v37
	v_add_f32_e32 v37, 0x40051340, v34
	s_delay_alu instid0(VALU_DEP_1)
	v_max3_f32 v38, v36, v37, v38
	ds_load_u16 v36, v72 offset:16
	ds_load_u16 v37, v72 offset:20
	s_waitcnt lgkmcnt(1)
	v_fma_mix_f32 v36, v69, s33, v36 op_sel_hi:[0,0,1]
	s_waitcnt lgkmcnt(0)
	v_fma_mix_f32 v37, v70, s33, v37 op_sel_hi:[0,0,1]
	s_delay_alu instid0(VALU_DEP_2) | instskip(NEXT) | instid1(VALU_DEP_2)
	v_add_f32_e32 v39, 0x40051340, v36
	v_add_f32_e32 v45, 0x40051340, v37
	s_delay_alu instid0(VALU_DEP_1)
	v_max3_f32 v45, v38, v39, v45
	ds_load_u16 v38, v72 offset:24
	ds_load_u16 v39, v72 offset:28
	s_waitcnt lgkmcnt(1)
	v_fma_mix_f32 v38, v71, s33, v38 op_sel_hi:[0,0,1]
	s_waitcnt lgkmcnt(0)
	v_fma_mix_f32 v39, v44, s33, v39 op_sel_hi:[0,0,1]
	s_delay_alu instid0(VALU_DEP_2) | instskip(NEXT) | instid1(VALU_DEP_2)
	v_add_f32_e32 v44, 0x40051340, v38
	v_add_f32_e32 v46, 0x40051340, v39
	s_delay_alu instid0(VALU_DEP_1)
	v_max3_f32 v44, v45, v44, v46
	ds_load_u16 v45, v72 offset:32
	s_waitcnt lgkmcnt(0)
	v_fma_mix_f32 v47, v40, s33, v45 op_sel_hi:[0,0,1]
	ds_load_u16 v40, v72 offset:36
	s_waitcnt lgkmcnt(0)
	v_fma_mix_f32 v46, v41, s33, v40 op_sel_hi:[0,0,1]
	s_delay_alu instid0(VALU_DEP_1) | instskip(NEXT) | instid1(VALU_DEP_1)
	v_dual_add_f32 v40, 0x40051340, v47 :: v_dual_add_f32 v41, 0x40051340, v46
	v_max3_f32 v40, v44, v40, v41
	ds_load_u16 v41, v72 offset:40
	s_waitcnt lgkmcnt(0)
	v_fma_mix_f32 v45, v42, s33, v41 op_sel_hi:[0,0,1]
	ds_load_u16 v41, v72 offset:44
	s_waitcnt lgkmcnt(0)
	v_fma_mix_f32 v44, v43, s33, v41 op_sel_hi:[0,0,1]
	s_delay_alu instid0(VALU_DEP_1) | instskip(NEXT) | instid1(VALU_DEP_1)
	v_dual_add_f32 v41, 0x40051340, v45 :: v_dual_add_f32 v42, 0x40051340, v44
	v_max3_f32 v40, v40, v41, v42
	ds_load_u16 v41, v72 offset:48
	s_waitcnt lgkmcnt(0)
	v_fma_mix_f32 v43, v65, s33, v41 op_sel_hi:[0,0,1]
	ds_load_u16 v41, v72 offset:52
	s_waitcnt lgkmcnt(0)
	v_fma_mix_f32 v42, v66, s33, v41 op_sel_hi:[0,0,1]
	v_add_f32_e32 v41, 0x40051340, v43
	s_delay_alu instid0(VALU_DEP_2) | instskip(NEXT) | instid1(VALU_DEP_1)
	v_add_f32_e32 v65, 0x40051340, v42
	v_max3_f32 v65, v40, v41, v65
	ds_load_u16 v40, v72 offset:56
	s_waitcnt lgkmcnt(0)
	v_fma_mix_f32 v41, v67, s33, v40 op_sel_hi:[0,0,1]
	ds_load_u16 v40, v72 offset:60
	s_waitcnt lgkmcnt(0)
	v_fma_mix_f32 v40, v64, s33, v40 op_sel_hi:[0,0,1]
	v_add_f32_e32 v64, 0x40051340, v41
	s_delay_alu instid0(VALU_DEP_2) | instskip(NEXT) | instid1(VALU_DEP_1)
	v_add_f32_e32 v66, 0x40051340, v40
	v_max3_f32 v64, v65, v64, v66
	ds_load_u16 v65, v72 offset:64
	s_waitcnt lgkmcnt(0)
	v_fma_mix_f32 v98, v48, s33, v65 op_sel_hi:[0,0,1]
	ds_load_u16 v48, v72 offset:68
	s_waitcnt lgkmcnt(0)
	v_fma_mix_f32 v97, v49, s33, v48 op_sel_hi:[0,0,1]
	s_delay_alu instid0(VALU_DEP_1) | instskip(NEXT) | instid1(VALU_DEP_1)
	v_dual_add_f32 v48, 0x40051340, v98 :: v_dual_add_f32 v49, 0x40051340, v97
	v_max3_f32 v48, v64, v48, v49
	ds_load_u16 v49, v72 offset:72
	s_waitcnt lgkmcnt(0)
	v_fma_mix_f32 v96, v50, s33, v49 op_sel_hi:[0,0,1]
	ds_load_u16 v49, v72 offset:76
	s_waitcnt lgkmcnt(0)
	v_fma_mix_f32 v95, v51, s33, v49 op_sel_hi:[0,0,1]
	s_delay_alu instid0(VALU_DEP_1) | instskip(NEXT) | instid1(VALU_DEP_1)
	v_dual_add_f32 v49, 0x40051340, v96 :: v_dual_add_f32 v50, 0x40051340, v95
	v_max3_f32 v48, v48, v49, v50
	ds_load_u16 v49, v72 offset:80
	s_waitcnt lgkmcnt(0)
	v_fma_mix_f32 v94, v52, s33, v49 op_sel_hi:[0,0,1]
	ds_load_u16 v49, v72 offset:84
	scratch_load_b32 v52, off, off          ; 4-byte Folded Reload
	s_waitcnt lgkmcnt(0)
	v_fma_mix_f32 v93, v53, s33, v49 op_sel_hi:[0,0,1]
	s_delay_alu instid0(VALU_DEP_1) | instskip(NEXT) | instid1(VALU_DEP_1)
	v_dual_add_f32 v49, 0x40051340, v94 :: v_dual_add_f32 v50, 0x40051340, v93
	v_max3_f32 v48, v48, v49, v50
	ds_load_u16 v49, v72 offset:88
	s_waitcnt lgkmcnt(0)
	v_fma_mix_f32 v88, v54, s33, v49 op_sel_hi:[0,0,1]
	ds_load_u16 v49, v72 offset:92
	s_waitcnt lgkmcnt(0)
	v_fma_mix_f32 v87, v55, s33, v49 op_sel_hi:[0,0,1]
	s_delay_alu instid0(VALU_DEP_1) | instskip(NEXT) | instid1(VALU_DEP_1)
	v_dual_add_f32 v49, 0x40051340, v88 :: v_dual_add_f32 v50, 0x40051340, v87
	v_max3_f32 v48, v48, v49, v50
	ds_load_u16 v49, v72 offset:96
	s_waitcnt lgkmcnt(0)
	v_fma_mix_f32 v86, v56, s33, v49 op_sel_hi:[0,0,1]
	ds_load_u16 v49, v72 offset:100
	s_waitcnt lgkmcnt(0)
	v_fma_mix_f32 v85, v57, s33, v49 op_sel_hi:[0,0,1]
	s_delay_alu instid0(VALU_DEP_1) | instskip(NEXT) | instid1(VALU_DEP_1)
	v_dual_add_f32 v49, 0x40051340, v86 :: v_dual_add_f32 v50, 0x40051340, v85
	v_max3_f32 v48, v48, v49, v50
	ds_load_u16 v49, v72 offset:104
	s_waitcnt lgkmcnt(0)
	v_fma_mix_f32 v84, v58, s33, v49 op_sel_hi:[0,0,1]
	ds_load_u16 v49, v72 offset:108
	s_waitcnt lgkmcnt(0)
	v_fma_mix_f32 v83, v59, s33, v49 op_sel_hi:[0,0,1]
	s_delay_alu instid0(VALU_DEP_1) | instskip(NEXT) | instid1(VALU_DEP_1)
	v_dual_add_f32 v49, 0x40051340, v84 :: v_dual_add_f32 v50, 0x40051340, v83
	v_max3_f32 v48, v48, v49, v50
	ds_load_u16 v49, v72 offset:112
	s_waitcnt lgkmcnt(0)
	v_fma_mix_f32 v82, v60, s33, v49 op_sel_hi:[0,0,1]
	ds_load_u16 v49, v72 offset:116
	s_waitcnt lgkmcnt(0)
	v_fma_mix_f32 v81, v61, s33, v49 op_sel_hi:[0,0,1]
	s_delay_alu instid0(VALU_DEP_1) | instskip(NEXT) | instid1(VALU_DEP_1)
	v_dual_add_f32 v49, 0x40051340, v82 :: v_dual_add_f32 v50, 0x40051340, v81
	v_max3_f32 v48, v48, v49, v50
	ds_load_u16 v49, v72 offset:120
	s_waitcnt lgkmcnt(0)
	v_fma_mix_f32 v80, v62, s33, v49 op_sel_hi:[0,0,1]
	ds_load_u16 v49, v72 offset:124
	s_waitcnt lgkmcnt(0)
	v_fma_mix_f32 v79, v63, s33, v49 op_sel_hi:[0,0,1]
	s_delay_alu instid0(VALU_DEP_1) | instskip(NEXT) | instid1(VALU_DEP_1)
	v_dual_add_f32 v49, 0x40051340, v80 :: v_dual_add_f32 v50, 0x40051340, v79
	v_max3_f32 v48, v48, v49, v50
	scratch_load_b32 v50, off, off offset:1224 ; 4-byte Folded Reload
	v_mbcnt_lo_u32_b32 v49, -1, 0
	s_waitcnt vmcnt(0)
	v_cmp_gt_i32_e32 vcc_lo, 32, v50
	s_delay_alu instid0(VALU_DEP_2) | instskip(NEXT) | instid1(VALU_DEP_1)
	v_cndmask_b32_e32 v49, v49, v50, vcc_lo
	v_lshlrev_b32_e32 v92, 2, v49
	ds_bpermute_b32 v49, v92, v48
	s_waitcnt lgkmcnt(0)
	v_max_f32_e32 v49, v49, v49
	s_delay_alu instid0(VALU_DEP_1) | instskip(NEXT) | instid1(VALU_DEP_1)
	v_max_f32_e32 v89, v48, v49
	v_sub_f32_e32 v32, v32, v89
	v_sub_f32_e32 v48, v121, v89
	s_delay_alu instid0(VALU_DEP_1) | instskip(SKIP_3) | instid1(VALU_DEP_4)
	v_mul_f32_e32 v49, 0x3fb8aa3b, v48
	v_cmp_ngt_f32_e32 vcc_lo, 0xc2ce8ed0, v48
	v_cmp_nlt_f32_e64 s1, 0x42b17218, v48
	v_cmp_le_f32_e64 s2, 0xc1a00000, v48
	v_fma_f32 v50, 0x3fb8aa3b, v48, -v49
	v_rndne_f32_e32 v51, v49
	s_delay_alu instid0(VALU_DEP_1) | instskip(NEXT) | instid1(VALU_DEP_1)
	v_dual_fmac_f32 v50, 0x32a5705f, v48 :: v_dual_sub_f32 v49, v49, v51
	v_add_f32_e32 v49, v49, v50
	v_cvt_i32_f32_e32 v50, v51
	s_delay_alu instid0(VALU_DEP_2) | instskip(SKIP_2) | instid1(VALU_DEP_1)
	v_exp_f32_e32 v49, v49
	s_waitcnt_depctr 0xfff
	v_ldexp_f32 v49, v49, v50
	v_cndmask_b32_e32 v48, 0, v49, vcc_lo
	s_delay_alu instid0(VALU_DEP_1) | instskip(SKIP_1) | instid1(VALU_DEP_1)
	v_cndmask_b32_e64 v48, 0x7f800000, v48, s1
	s_mul_i32 s1, s66, s11
	v_cndmask_b32_e64 v101, 0, v48, s2
	s_mul_hi_u32 s2, s66, s10
	s_delay_alu instid0(SALU_CYCLE_1) | instskip(SKIP_1) | instid1(VALU_DEP_1)
	s_add_i32 s3, s2, s1
	s_mul_i32 s2, s66, s10
	v_cvt_f16_f32_e32 v48, v101
	s_lshl_b64 s[2:3], s[2:3], 2
	s_delay_alu instid0(SALU_CYCLE_1) | instskip(SKIP_1) | instid1(VALU_DEP_1)
	s_add_u32 s1, s99, s2
	s_addc_u32 s2, s100, s3
	v_pk_mul_f16 v24, v48, v24 op_sel_hi:[0,1]
	v_pk_mul_f16 v25, v48, v25 op_sel_hi:[0,1]
	;; [unrolled: 1-line block ×32, first 2 shown]
	scratch_load_b64 v[48:49], off, off offset:1052 ; 8-byte Folded Reload
	s_cmp_eq_u64 s[74:75], 0
	s_waitcnt vmcnt(0)
	v_add_co_u32 v48, vcc_lo, s1, v48
	v_add_co_ci_u32_e32 v49, vcc_lo, s2, v49, vcc_lo
	s_delay_alu instid0(VALU_DEP_2) | instskip(NEXT) | instid1(VALU_DEP_2)
	v_add_co_u32 v48, vcc_lo, v48, v52
	v_add_co_ci_u32_e32 v49, vcc_lo, 0, v49, vcc_lo
	global_load_b128 v[48:51], v[48:49], off
	scratch_load_b32 v137, off, off offset:516 ; 4-byte Folded Reload
	s_waitcnt vmcnt(0)
	ds_store_b128 v137, v[48:51]
	scratch_load_b64 v[48:49], off, off offset:1060 ; 8-byte Folded Reload
	s_waitcnt vmcnt(0)
	v_add_co_u32 v48, vcc_lo, s1, v48
	v_add_co_ci_u32_e32 v49, vcc_lo, s2, v49, vcc_lo
	s_delay_alu instid0(VALU_DEP_2) | instskip(NEXT) | instid1(VALU_DEP_2)
	v_add_co_u32 v48, vcc_lo, v48, v52
	v_add_co_ci_u32_e32 v49, vcc_lo, 0, v49, vcc_lo
	global_load_b128 v[48:51], v[48:49], off
	scratch_load_b32 v139, off, off offset:640 ; 4-byte Folded Reload
	s_waitcnt vmcnt(0)
	ds_store_b128 v139, v[48:51]
	scratch_load_b64 v[48:49], off, off offset:1068 ; 8-byte Folded Reload
	;; [unrolled: 11-line block ×7, first 2 shown]
	s_waitcnt vmcnt(0)
	v_add_co_u32 v48, vcc_lo, s1, v48
	v_add_co_ci_u32_e32 v49, vcc_lo, s2, v49, vcc_lo
	v_cmp_nlt_f32_e64 s1, 0x42b17218, v32
	s_delay_alu instid0(VALU_DEP_3) | instskip(NEXT) | instid1(VALU_DEP_3)
	v_add_co_u32 v48, vcc_lo, v48, v52
	v_add_co_ci_u32_e32 v49, vcc_lo, 0, v49, vcc_lo
	global_load_b128 v[48:51], v[48:49], off
	scratch_load_b32 v145, off, off offset:664 ; 4-byte Folded Reload
	v_cmp_ngt_f32_e32 vcc_lo, 0xc2ce8ed0, v32
	s_waitcnt vmcnt(0)
	ds_store_b128 v145, v[48:51]
	v_mul_f32_e32 v48, 0x3fb8aa3b, v32
	s_delay_alu instid0(VALU_DEP_1) | instskip(NEXT) | instid1(VALU_DEP_1)
	v_fma_f32 v49, 0x3fb8aa3b, v32, -v48
	v_dual_fmac_f32 v49, 0x32a5705f, v32 :: v_dual_sub_f32 v32, v33, v89
	s_delay_alu instid0(VALU_DEP_1) | instskip(SKIP_2) | instid1(VALU_DEP_3)
	v_mul_f32_e32 v33, 0x3fb8aa3b, v32
	v_cmp_ngt_f32_e64 s2, 0xc2ce8ed0, v32
	v_cmp_nlt_f32_e64 s4, 0x42b17218, v32
	v_fma_f32 v50, 0x3fb8aa3b, v32, -v33
	s_delay_alu instid0(VALU_DEP_1) | instskip(SKIP_4) | instid1(VALU_DEP_4)
	v_fmac_f32_e32 v50, 0x32a5705f, v32
	v_rndne_f32_e32 v32, v48
	v_sub_f32_e32 v36, v36, v89
	v_sub_f32_e32 v39, v39, v89
	;; [unrolled: 1-line block ×4, first 2 shown]
	v_cvt_i32_f32_e32 v32, v32
	s_delay_alu instid0(VALU_DEP_2) | instskip(SKIP_1) | instid1(VALU_DEP_2)
	v_add_f32_e32 v48, v48, v49
	v_rndne_f32_e32 v49, v33
	v_exp_f32_e32 v48, v48
	s_delay_alu instid0(VALU_DEP_1) | instskip(NEXT) | instid1(VALU_DEP_1)
	v_sub_f32_e32 v33, v33, v49
	v_add_f32_e32 v33, v33, v50
	s_waitcnt_depctr 0xfff
	v_ldexp_f32 v32, v48, v32
	v_exp_f32_e32 v33, v33
	v_cvt_i32_f32_e32 v48, v49
	s_delay_alu instid0(VALU_DEP_2) | instskip(NEXT) | instid1(VALU_DEP_1)
	v_cndmask_b32_e32 v32, 0, v32, vcc_lo
	v_cndmask_b32_e64 v102, 0x7f800000, v32, s1
	s_waitcnt_depctr 0xfff
	v_ldexp_f32 v33, v33, v48
	s_clause 0x1
	scratch_load_b32 v48, off, off offset:668
	scratch_load_b32 v32, off, off offset:480
	s_waitcnt vmcnt(0) lgkmcnt(0)
	s_barrier
	buffer_gl0_inv
	scratch_load_b32 v135, off, off offset:532 ; 4-byte Folded Reload
	v_cndmask_b32_e64 v33, 0, v33, s2
	v_sub_f32_e32 v35, v35, v89
	v_sub_f32_e32 v37, v37, v89
	s_waitcnt vmcnt(0)
	ds_load_2addr_b32 v[56:57], v135 offset1:16
	ds_load_2addr_b32 v[58:59], v135 offset0:68 offset1:84
	ds_load_2addr_b32 v[60:61], v135 offset0:136 offset1:152
	;; [unrolled: 1-line block ×3, first 2 shown]
	v_add_nc_u32_e32 v118, 0xc00, v135
	v_cmp_eq_u32_e64 s2, 0, v32
	v_cmp_eq_u32_e64 s3, 1, v32
	ds_bpermute_b32 v32, v92, v102
	v_cndmask_b32_e64 v103, 0x7f800000, v33, s4
	v_cmp_eq_u32_e32 vcc_lo, 1, v48
	v_cmp_eq_u32_e64 s1, 0, v48
	v_add_nc_u32_e32 v78, 0x400, v135
	v_sub_f32_e32 v34, v34, v89
	ds_bpermute_b32 v48, v92, v103
	v_dual_sub_f32 v40, v40, v89 :: v_dual_add_nc_u32 v117, 0x800, v135
	ds_load_2addr_b32 v[64:65], v78 offset0:16 offset1:84
	v_cmp_ngt_f32_e64 s4, 0xc2ce8ed0, v34
	v_cmp_nlt_f32_e64 s5, 0x42b17218, v34
	ds_load_2addr_b32 v[66:67], v78 offset0:132 offset1:152
	ds_load_2addr_b32 v[68:69], v78 offset0:200 offset1:220
	;; [unrolled: 1-line block ×9, first 2 shown]
	s_waitcnt lgkmcnt(11)
	v_cndmask_b32_e32 v33, v102, v32, vcc_lo
	v_cndmask_b32_e64 v32, v102, v32, s1
	s_delay_alu instid0(VALU_DEP_2) | instskip(NEXT) | instid1(VALU_DEP_2)
	v_cndmask_b32_e64 v50, v33, v103, s3
	v_cndmask_b32_e64 v49, v32, v103, s2
	v_cvt_f16_f32_e32 v32, v32
	v_cvt_f16_f32_e32 v33, v33
	s_waitcnt lgkmcnt(10)
	s_delay_alu instid0(VALU_DEP_3) | instskip(SKIP_1) | instid1(VALU_DEP_3)
	v_cndmask_b32_e64 v49, v49, v48, s1
	v_cndmask_b32_e32 v48, v50, v48, vcc_lo
	v_pack_b32_f16 v32, v32, v33
	s_waitcnt lgkmcnt(3)
	v_perm_b32 v53, v76, v74, 0x5040100
	s_waitcnt lgkmcnt(2)
	v_perm_b32 v54, v91, v90, 0x5040100
	v_cvt_f16_f32_e32 v50, v49
	v_cvt_f16_f32_e32 v51, v48
	s_waitcnt lgkmcnt(0)
	v_perm_b32 v55, v111, v100, 0x5040100
	s_delay_alu instid0(VALU_DEP_2) | instskip(SKIP_1) | instid1(VALU_DEP_1)
	v_pack_b32_f16 v33, v50, v51
	v_mul_f32_e32 v50, 0x3fb8aa3b, v34
	v_fma_f32 v51, 0x3fb8aa3b, v34, -v50
	v_rndne_f32_e32 v52, v50
	s_delay_alu instid0(VALU_DEP_1) | instskip(NEXT) | instid1(VALU_DEP_1)
	v_dual_fmac_f32 v51, 0x32a5705f, v34 :: v_dual_sub_f32 v50, v50, v52
	v_add_f32_e32 v50, v50, v51
	v_cvt_i32_f32_e32 v51, v52
	s_delay_alu instid0(VALU_DEP_2) | instskip(SKIP_2) | instid1(VALU_DEP_1)
	v_exp_f32_e32 v50, v50
	s_waitcnt_depctr 0xfff
	v_ldexp_f32 v50, v50, v51
	v_cndmask_b32_e64 v34, 0, v50, s4
	v_cmp_ngt_f32_e64 s4, 0xc2ce8ed0, v35
	s_delay_alu instid0(VALU_DEP_2) | instskip(SKIP_1) | instid1(VALU_DEP_2)
	v_cndmask_b32_e64 v104, 0x7f800000, v34, s5
	v_cmp_nlt_f32_e64 s5, 0x42b17218, v35
	v_cndmask_b32_e64 v34, v49, v104, s2
	ds_bpermute_b32 v49, v92, v104
	v_cndmask_b32_e64 v48, v48, v104, s3
	s_waitcnt lgkmcnt(0)
	v_cndmask_b32_e64 v50, v34, v49, s1
	s_delay_alu instid0(VALU_DEP_2) | instskip(NEXT) | instid1(VALU_DEP_2)
	v_cndmask_b32_e32 v48, v48, v49, vcc_lo
	v_cvt_f16_f32_e32 v34, v50
	s_delay_alu instid0(VALU_DEP_2) | instskip(NEXT) | instid1(VALU_DEP_1)
	v_cvt_f16_f32_e32 v49, v48
	v_pack_b32_f16 v34, v34, v49
	v_mul_f32_e32 v49, 0x3fb8aa3b, v35
	s_delay_alu instid0(VALU_DEP_1) | instskip(SKIP_1) | instid1(VALU_DEP_2)
	v_fma_f32 v51, 0x3fb8aa3b, v35, -v49
	v_rndne_f32_e32 v52, v49
	v_fmac_f32_e32 v51, 0x32a5705f, v35
	s_delay_alu instid0(VALU_DEP_2) | instskip(NEXT) | instid1(VALU_DEP_1)
	v_sub_f32_e32 v49, v49, v52
	v_add_f32_e32 v49, v49, v51
	v_cvt_i32_f32_e32 v51, v52
	s_delay_alu instid0(VALU_DEP_2) | instskip(SKIP_2) | instid1(VALU_DEP_1)
	v_exp_f32_e32 v49, v49
	s_waitcnt_depctr 0xfff
	v_ldexp_f32 v49, v49, v51
	v_cndmask_b32_e64 v35, 0, v49, s4
	s_delay_alu instid0(VALU_DEP_1) | instskip(SKIP_4) | instid1(VALU_DEP_2)
	v_cndmask_b32_e64 v105, 0x7f800000, v35, s5
	ds_bpermute_b32 v49, v92, v105
	v_cndmask_b32_e64 v35, v50, v105, s2
	v_cndmask_b32_e64 v48, v48, v105, s3
	s_waitcnt lgkmcnt(0)
	v_cndmask_b32_e64 v50, v35, v49, s1
	s_delay_alu instid0(VALU_DEP_2) | instskip(NEXT) | instid1(VALU_DEP_2)
	v_cndmask_b32_e32 v48, v48, v49, vcc_lo
	v_cvt_f16_f32_e32 v35, v50
	s_delay_alu instid0(VALU_DEP_2) | instskip(NEXT) | instid1(VALU_DEP_1)
	v_cvt_f16_f32_e32 v49, v48
	v_pack_b32_f16 v35, v35, v49
	v_mul_f32_e32 v49, 0x3fb8aa3b, v36
	s_delay_alu instid0(VALU_DEP_1) | instskip(SKIP_1) | instid1(VALU_DEP_1)
	v_fma_f32 v51, 0x3fb8aa3b, v36, -v49
	v_rndne_f32_e32 v52, v49
	v_sub_f32_e32 v49, v49, v52
	s_delay_alu instid0(VALU_DEP_3) | instskip(SKIP_2) | instid1(VALU_DEP_3)
	v_fmac_f32_e32 v51, 0x32a5705f, v36
	v_cmp_ngt_f32_e64 s4, 0xc2ce8ed0, v36
	v_cmp_nlt_f32_e64 s5, 0x42b17218, v36
	v_add_f32_e32 v49, v49, v51
	v_cvt_i32_f32_e32 v51, v52
	s_delay_alu instid0(VALU_DEP_2) | instskip(SKIP_2) | instid1(VALU_DEP_1)
	v_exp_f32_e32 v49, v49
	s_waitcnt_depctr 0xfff
	v_ldexp_f32 v49, v49, v51
	v_cndmask_b32_e64 v36, 0, v49, s4
	v_cmp_ngt_f32_e64 s4, 0xc2ce8ed0, v37
	s_delay_alu instid0(VALU_DEP_2)
	v_cndmask_b32_e64 v106, 0x7f800000, v36, s5
	v_cmp_nlt_f32_e64 s5, 0x42b17218, v37
	ds_bpermute_b32 v49, v92, v106
	v_cndmask_b32_e64 v36, v50, v106, s2
	v_cndmask_b32_e64 v48, v48, v106, s3
	s_waitcnt lgkmcnt(0)
	s_delay_alu instid0(VALU_DEP_2) | instskip(NEXT) | instid1(VALU_DEP_2)
	v_cndmask_b32_e64 v50, v36, v49, s1
	v_cndmask_b32_e32 v48, v48, v49, vcc_lo
	s_delay_alu instid0(VALU_DEP_2) | instskip(NEXT) | instid1(VALU_DEP_2)
	v_cvt_f16_f32_e32 v36, v50
	v_cvt_f16_f32_e32 v49, v48
	s_delay_alu instid0(VALU_DEP_1) | instskip(SKIP_1) | instid1(VALU_DEP_1)
	v_pack_b32_f16 v36, v36, v49
	v_mul_f32_e32 v49, 0x3fb8aa3b, v37
	v_fma_f32 v51, 0x3fb8aa3b, v37, -v49
	v_rndne_f32_e32 v52, v49
	s_delay_alu instid0(VALU_DEP_2) | instskip(NEXT) | instid1(VALU_DEP_2)
	v_fmac_f32_e32 v51, 0x32a5705f, v37
	v_sub_f32_e32 v49, v49, v52
	s_delay_alu instid0(VALU_DEP_1) | instskip(SKIP_1) | instid1(VALU_DEP_2)
	v_add_f32_e32 v49, v49, v51
	v_cvt_i32_f32_e32 v51, v52
	v_exp_f32_e32 v49, v49
	s_waitcnt_depctr 0xfff
	v_ldexp_f32 v49, v49, v51
	s_delay_alu instid0(VALU_DEP_1) | instskip(SKIP_1) | instid1(VALU_DEP_2)
	v_cndmask_b32_e64 v37, 0, v49, s4
	v_cmp_ngt_f32_e64 s4, 0xc2ce8ed0, v38
	v_cndmask_b32_e64 v107, 0x7f800000, v37, s5
	v_cmp_nlt_f32_e64 s5, 0x42b17218, v38
	ds_bpermute_b32 v49, v92, v107
	v_cndmask_b32_e64 v37, v50, v107, s2
	v_cndmask_b32_e64 v48, v48, v107, s3
	s_waitcnt lgkmcnt(0)
	s_delay_alu instid0(VALU_DEP_2) | instskip(NEXT) | instid1(VALU_DEP_2)
	v_cndmask_b32_e64 v50, v37, v49, s1
	v_cndmask_b32_e32 v48, v48, v49, vcc_lo
	s_delay_alu instid0(VALU_DEP_2) | instskip(NEXT) | instid1(VALU_DEP_2)
	v_cvt_f16_f32_e32 v37, v50
	v_cvt_f16_f32_e32 v49, v48
	s_delay_alu instid0(VALU_DEP_1) | instskip(SKIP_1) | instid1(VALU_DEP_1)
	v_pack_b32_f16 v37, v37, v49
	v_mul_f32_e32 v49, 0x3fb8aa3b, v38
	v_fma_f32 v51, 0x3fb8aa3b, v38, -v49
	v_rndne_f32_e32 v52, v49
	s_delay_alu instid0(VALU_DEP_2) | instskip(NEXT) | instid1(VALU_DEP_2)
	v_fmac_f32_e32 v51, 0x32a5705f, v38
	v_sub_f32_e32 v49, v49, v52
	s_delay_alu instid0(VALU_DEP_1) | instskip(SKIP_1) | instid1(VALU_DEP_2)
	v_add_f32_e32 v49, v49, v51
	v_cvt_i32_f32_e32 v51, v52
	v_exp_f32_e32 v49, v49
	s_waitcnt_depctr 0xfff
	v_ldexp_f32 v49, v49, v51
	s_delay_alu instid0(VALU_DEP_1) | instskip(SKIP_1) | instid1(VALU_DEP_2)
	v_cndmask_b32_e64 v38, 0, v49, s4
	v_cmp_ngt_f32_e64 s4, 0xc2ce8ed0, v39
	v_cndmask_b32_e64 v108, 0x7f800000, v38, s5
	v_cmp_nlt_f32_e64 s5, 0x42b17218, v39
	ds_bpermute_b32 v49, v92, v108
	v_cndmask_b32_e64 v38, v50, v108, s2
	v_cndmask_b32_e64 v48, v48, v108, s3
	s_waitcnt lgkmcnt(0)
	s_delay_alu instid0(VALU_DEP_2) | instskip(NEXT) | instid1(VALU_DEP_2)
	v_cndmask_b32_e64 v50, v38, v49, s1
	v_cndmask_b32_e32 v48, v48, v49, vcc_lo
	s_delay_alu instid0(VALU_DEP_2) | instskip(NEXT) | instid1(VALU_DEP_2)
	v_cvt_f16_f32_e32 v38, v50
	v_cvt_f16_f32_e32 v49, v48
	s_delay_alu instid0(VALU_DEP_1) | instskip(SKIP_1) | instid1(VALU_DEP_1)
	v_pack_b32_f16 v38, v38, v49
	v_mul_f32_e32 v49, 0x3fb8aa3b, v39
	v_fma_f32 v51, 0x3fb8aa3b, v39, -v49
	v_rndne_f32_e32 v52, v49
	s_delay_alu instid0(VALU_DEP_2) | instskip(NEXT) | instid1(VALU_DEP_2)
	v_fmac_f32_e32 v51, 0x32a5705f, v39
	v_sub_f32_e32 v49, v49, v52
	s_delay_alu instid0(VALU_DEP_1) | instskip(SKIP_2) | instid1(VALU_DEP_3)
	v_add_f32_e32 v49, v49, v51
	v_cvt_i32_f32_e32 v51, v52
	v_perm_b32 v52, v72, v71, 0x5040100
	v_exp_f32_e32 v49, v49
	s_waitcnt_depctr 0xfff
	v_ldexp_f32 v49, v49, v51
	v_perm_b32 v51, v69, v67, 0x5040100
	s_delay_alu instid0(VALU_DEP_2) | instskip(NEXT) | instid1(VALU_DEP_1)
	v_cndmask_b32_e64 v39, 0, v49, s4
	v_cndmask_b32_e64 v109, 0x7f800000, v39, s5
	ds_bpermute_b32 v49, v92, v109
	v_cndmask_b32_e64 v39, v50, v109, s2
	v_cndmask_b32_e64 v48, v48, v109, s3
	v_perm_b32 v50, v65, v64, 0x5040100
	s_waitcnt lgkmcnt(0)
	s_delay_alu instid0(VALU_DEP_3) | instskip(NEXT) | instid1(VALU_DEP_3)
	v_cndmask_b32_e64 v39, v39, v49, s1
	v_cndmask_b32_e32 v48, v48, v49, vcc_lo
	v_perm_b32 v49, v62, v60, 0x5040100
	s_delay_alu instid0(VALU_DEP_3) | instskip(NEXT) | instid1(VALU_DEP_3)
	v_cvt_f16_f32_e32 v39, v39
	v_cvt_f16_f32_e32 v48, v48
	s_delay_alu instid0(VALU_DEP_1) | instskip(SKIP_1) | instid1(VALU_DEP_1)
	v_pack_b32_f16 v39, v39, v48
	v_perm_b32 v48, v58, v56, 0x5040100
	v_wmma_f16_16x16x16_f16 v[24:31], v[48:55], v[32:39], v[24:31]
	v_perm_b32 v50, v65, v64, 0x7060302
	v_perm_b32 v54, v91, v90, 0x7060302
	;; [unrolled: 1-line block ×8, first 2 shown]
	v_add_nc_u32_e32 v100, 0x1000, v135
	s_delay_alu instid0(VALU_DEP_2)
	v_wmma_f16_16x16x16_f16 v[24:31], v[48:55], v[32:39], v[24:31] op_sel:[0,0,1]
	scratch_load_b32 v54, off, off offset:564 ; 4-byte Folded Reload
	v_perm_b32 v48, v59, v57, 0x5040100
	v_perm_b32 v49, v63, v61, 0x5040100
	;; [unrolled: 1-line block ×3, first 2 shown]
	s_waitcnt vmcnt(0)
	ds_load_b32 v56, v54 offset:1088
	ds_load_2addr_b32 v[64:65], v78 offset0:100 offset1:116
	ds_load_2addr_b32 v[71:72], v78 offset0:168 offset1:184
	;; [unrolled: 1-line block ×3, first 2 shown]
	ds_load_b32 v58, v54 offset:2176
	ds_load_b32 v60, v54 offset:3264
	ds_load_2addr_b32 v[111:112], v118 offset0:132 offset1:148
	ds_load_2addr_b32 v[113:114], v118 offset0:200 offset1:216
	;; [unrolled: 1-line block ×3, first 2 shown]
	s_waitcnt lgkmcnt(7)
	v_perm_b32 v50, v64, v56, 0x5040100
	s_waitcnt lgkmcnt(5)
	v_perm_b32 v51, v90, v71, 0x5040100
	;; [unrolled: 2-line block ×5, first 2 shown]
	s_delay_alu instid0(VALU_DEP_1)
	v_wmma_f16_16x16x16_f16 v[16:23], v[48:55], v[32:39], v[16:23]
	v_perm_b32 v48, v59, v57, 0x7060302
	v_perm_b32 v49, v63, v61, 0x7060302
	;; [unrolled: 1-line block ×8, first 2 shown]
	ds_load_2addr_b32 v[56:57], v135 offset0:32 offset1:48
	ds_load_2addr_b32 v[58:59], v135 offset0:100 offset1:116
	;; [unrolled: 1-line block ×4, first 2 shown]
	v_add_nc_u32_e32 v90, 0x2000, v135
	v_wmma_f16_16x16x16_f16 v[16:23], v[48:55], v[32:39], v[16:23] op_sel:[0,0,1]
	scratch_load_b32 v54, off, off offset:596 ; 4-byte Folded Reload
	v_perm_b32 v51, v91, v72, 0x5040100
	v_perm_b32 v55, v116, v114, 0x5040100
	s_waitcnt lgkmcnt(2)
	v_perm_b32 v48, v58, v56, 0x5040100
	s_waitcnt lgkmcnt(0)
	v_perm_b32 v49, v62, v60, 0x5040100
	s_waitcnt vmcnt(0)
	ds_load_b32 v64, v54 offset:1088
	ds_load_b32 v67, v54 offset:2176
	ds_load_2addr_b32 v[73:74], v117 offset0:132 offset1:148
	ds_load_2addr_b32 v[75:76], v117 offset0:200 offset1:216
	;; [unrolled: 1-line block ×3, first 2 shown]
	ds_load_b32 v69, v54 offset:3264
	s_waitcnt lgkmcnt(5)
	v_perm_b32 v50, v65, v64, 0x5040100
	s_waitcnt lgkmcnt(3)
	v_perm_b32 v52, v73, v67, 0x5040100
	;; [unrolled: 2-line block ×4, first 2 shown]
	s_delay_alu instid0(VALU_DEP_1)
	v_wmma_f16_16x16x16_f16 v[8:15], v[48:55], v[32:39], v[8:15]
	v_perm_b32 v51, v91, v72, 0x7060302
	v_perm_b32 v55, v116, v114, 0x7060302
	;; [unrolled: 1-line block ×8, first 2 shown]
	ds_load_2addr_b32 v[71:72], v100 offset0:44 offset1:64
	v_wmma_f16_16x16x16_f16 v[8:15], v[48:55], v[32:39], v[8:15] op_sel:[0,0,1]
	scratch_load_b32 v54, off, off offset:620 ; 4-byte Folded Reload
	v_perm_b32 v48, v59, v57, 0x5040100
	v_perm_b32 v49, v63, v61, 0x5040100
	;; [unrolled: 1-line block ×4, first 2 shown]
	s_waitcnt lgkmcnt(0)
	v_perm_b32 v55, v71, v110, 0x5040100
	s_waitcnt vmcnt(0)
	ds_load_b32 v56, v54 offset:1088
	ds_load_b32 v58, v54 offset:2176
	;; [unrolled: 1-line block ×3, first 2 shown]
	s_waitcnt lgkmcnt(2)
	v_perm_b32 v50, v66, v56, 0x5040100
	s_waitcnt lgkmcnt(1)
	v_perm_b32 v52, v74, v58, 0x5040100
	;; [unrolled: 2-line block ×3, first 2 shown]
	s_delay_alu instid0(VALU_DEP_1)
	v_wmma_f16_16x16x16_f16 v[0:7], v[48:55], v[32:39], v[0:7]
	v_perm_b32 v48, v59, v57, 0x7060302
	v_perm_b32 v49, v63, v61, 0x7060302
	;; [unrolled: 1-line block ×8, first 2 shown]
	s_delay_alu instid0(VALU_DEP_1) | instskip(SKIP_1) | instid1(VALU_DEP_1)
	v_wmma_f16_16x16x16_f16 v[0:7], v[48:55], v[32:39], v[0:7] op_sel:[0,0,1]
	v_sub_f32_e32 v32, v47, v89
	v_mul_f32_e32 v33, 0x3fb8aa3b, v32
	v_cmp_ngt_f32_e64 s4, 0xc2ce8ed0, v32
	v_cmp_nlt_f32_e64 s5, 0x42b17218, v32
	s_delay_alu instid0(VALU_DEP_3) | instskip(SKIP_1) | instid1(VALU_DEP_1)
	v_fma_f32 v34, 0x3fb8aa3b, v32, -v33
	v_rndne_f32_e32 v35, v33
	v_dual_fmac_f32 v34, 0x32a5705f, v32 :: v_dual_sub_f32 v33, v33, v35
	v_cvt_i32_f32_e32 v35, v35
	s_delay_alu instid0(VALU_DEP_2) | instskip(SKIP_1) | instid1(VALU_DEP_2)
	v_dual_add_f32 v33, v33, v34 :: v_dual_sub_f32 v34, v46, v89
	v_add_nc_u32_e32 v46, 0x1c00, v135
	v_exp_f32_e32 v33, v33
	s_delay_alu instid0(VALU_DEP_2) | instskip(SKIP_2) | instid1(VALU_DEP_3)
	v_mul_f32_e32 v36, 0x3fb8aa3b, v34
	v_cmp_ngt_f32_e64 s6, 0xc2ce8ed0, v34
	v_cmp_nlt_f32_e64 s7, 0x42b17218, v34
	v_fma_f32 v37, 0x3fb8aa3b, v34, -v36
	v_rndne_f32_e32 v38, v36
	s_waitcnt_depctr 0xfff
	v_ldexp_f32 v33, v33, v35
	v_fmac_f32_e32 v37, 0x32a5705f, v34
	v_sub_f32_e32 v36, v36, v38
	v_cvt_i32_f32_e32 v35, v38
	s_delay_alu instid0(VALU_DEP_4) | instskip(NEXT) | instid1(VALU_DEP_3)
	v_cndmask_b32_e64 v33, 0, v33, s4
	v_add_f32_e32 v36, v36, v37
	s_delay_alu instid0(VALU_DEP_2) | instskip(NEXT) | instid1(VALU_DEP_2)
	v_cndmask_b32_e64 v110, 0x7f800000, v33, s5
	v_exp_f32_e32 v32, v36
	s_waitcnt_depctr 0xfff
	v_ldexp_f32 v32, v32, v35
	s_delay_alu instid0(VALU_DEP_1) | instskip(NEXT) | instid1(VALU_DEP_1)
	v_cndmask_b32_e64 v32, 0, v32, s6
	v_cndmask_b32_e64 v111, 0x7f800000, v32, s7
	ds_bpermute_b32 v32, v92, v110
	ds_bpermute_b32 v34, v92, v111
	s_waitcnt lgkmcnt(1)
	v_cndmask_b32_e32 v33, v110, v32, vcc_lo
	v_cndmask_b32_e64 v32, v110, v32, s1
	s_delay_alu instid0(VALU_DEP_2) | instskip(NEXT) | instid1(VALU_DEP_2)
	v_cndmask_b32_e64 v36, v33, v111, s3
	v_cndmask_b32_e64 v35, v32, v111, s2
	v_cvt_f16_f32_e32 v32, v32
	v_cvt_f16_f32_e32 v33, v33
	s_waitcnt lgkmcnt(0)
	s_delay_alu instid0(VALU_DEP_3) | instskip(SKIP_1) | instid1(VALU_DEP_3)
	v_cndmask_b32_e64 v35, v35, v34, s1
	v_cndmask_b32_e32 v34, v36, v34, vcc_lo
	v_pack_b32_f16 v32, v32, v33
	s_delay_alu instid0(VALU_DEP_3) | instskip(NEXT) | instid1(VALU_DEP_3)
	v_cvt_f16_f32_e32 v36, v35
	v_cvt_f16_f32_e32 v37, v34
	s_delay_alu instid0(VALU_DEP_1) | instskip(SKIP_1) | instid1(VALU_DEP_1)
	v_pack_b32_f16 v33, v36, v37
	v_dual_sub_f32 v36, v45, v89 :: v_dual_add_nc_u32 v45, 0x1a00, v135
	v_mul_f32_e32 v37, 0x3fb8aa3b, v36
	v_cmp_ngt_f32_e64 s4, 0xc2ce8ed0, v36
	v_cmp_nlt_f32_e64 s5, 0x42b17218, v36
	s_delay_alu instid0(VALU_DEP_3) | instskip(SKIP_1) | instid1(VALU_DEP_1)
	v_fma_f32 v38, 0x3fb8aa3b, v36, -v37
	v_rndne_f32_e32 v39, v37
	v_dual_fmac_f32 v38, 0x32a5705f, v36 :: v_dual_sub_f32 v37, v37, v39
	s_delay_alu instid0(VALU_DEP_1) | instskip(SKIP_1) | instid1(VALU_DEP_2)
	v_add_f32_e32 v37, v37, v38
	v_cvt_i32_f32_e32 v38, v39
	v_exp_f32_e32 v37, v37
	s_waitcnt_depctr 0xfff
	v_ldexp_f32 v37, v37, v38
	s_delay_alu instid0(VALU_DEP_1) | instskip(NEXT) | instid1(VALU_DEP_1)
	v_cndmask_b32_e64 v36, 0, v37, s4
	v_cndmask_b32_e64 v112, 0x7f800000, v36, s5
	ds_bpermute_b32 v36, v92, v112
	v_cndmask_b32_e64 v35, v35, v112, s2
	v_cndmask_b32_e64 v34, v34, v112, s3
	s_waitcnt lgkmcnt(0)
	s_delay_alu instid0(VALU_DEP_2) | instskip(NEXT) | instid1(VALU_DEP_2)
	v_cndmask_b32_e64 v35, v35, v36, s1
	v_cndmask_b32_e32 v36, v34, v36, vcc_lo
	s_delay_alu instid0(VALU_DEP_2) | instskip(NEXT) | instid1(VALU_DEP_2)
	v_cvt_f16_f32_e32 v34, v35
	v_cvt_f16_f32_e32 v37, v36
	s_delay_alu instid0(VALU_DEP_1) | instskip(SKIP_1) | instid1(VALU_DEP_1)
	v_pack_b32_f16 v34, v34, v37
	v_sub_f32_e32 v37, v44, v89
	v_mul_f32_e32 v38, 0x3fb8aa3b, v37
	v_cmp_ngt_f32_e64 s4, 0xc2ce8ed0, v37
	v_cmp_nlt_f32_e64 s5, 0x42b17218, v37
	s_delay_alu instid0(VALU_DEP_3) | instskip(SKIP_1) | instid1(VALU_DEP_1)
	v_fma_f32 v39, 0x3fb8aa3b, v37, -v38
	v_rndne_f32_e32 v44, v38
	v_dual_fmac_f32 v39, 0x32a5705f, v37 :: v_dual_sub_f32 v38, v38, v44
	s_delay_alu instid0(VALU_DEP_1) | instskip(SKIP_1) | instid1(VALU_DEP_2)
	v_add_f32_e32 v38, v38, v39
	v_cvt_i32_f32_e32 v39, v44
	v_exp_f32_e32 v38, v38
	s_waitcnt_depctr 0xfff
	v_ldexp_f32 v38, v38, v39
	s_delay_alu instid0(VALU_DEP_1) | instskip(NEXT) | instid1(VALU_DEP_1)
	v_cndmask_b32_e64 v37, 0, v38, s4
	v_cndmask_b32_e64 v113, 0x7f800000, v37, s5
	ds_bpermute_b32 v37, v92, v113
	v_cndmask_b32_e64 v35, v35, v113, s2
	v_cndmask_b32_e64 v36, v36, v113, s3
	s_waitcnt lgkmcnt(0)
	s_delay_alu instid0(VALU_DEP_2) | instskip(NEXT) | instid1(VALU_DEP_2)
	v_cndmask_b32_e64 v38, v35, v37, s1
	v_cndmask_b32_e32 v36, v36, v37, vcc_lo
	s_delay_alu instid0(VALU_DEP_2) | instskip(NEXT) | instid1(VALU_DEP_2)
	v_cvt_f16_f32_e32 v35, v38
	v_cvt_f16_f32_e32 v37, v36
	s_delay_alu instid0(VALU_DEP_1) | instskip(SKIP_1) | instid1(VALU_DEP_1)
	v_pack_b32_f16 v35, v35, v37
	v_sub_f32_e32 v37, v43, v89
	v_mul_f32_e32 v39, 0x3fb8aa3b, v37
	v_cmp_ngt_f32_e64 s4, 0xc2ce8ed0, v37
	v_cmp_nlt_f32_e64 s5, 0x42b17218, v37
	s_delay_alu instid0(VALU_DEP_3) | instskip(SKIP_1) | instid1(VALU_DEP_2)
	v_fma_f32 v43, 0x3fb8aa3b, v37, -v39
	v_rndne_f32_e32 v44, v39
	v_fmac_f32_e32 v43, 0x32a5705f, v37
	s_delay_alu instid0(VALU_DEP_2) | instskip(NEXT) | instid1(VALU_DEP_1)
	v_sub_f32_e32 v39, v39, v44
	v_add_f32_e32 v39, v39, v43
	v_cvt_i32_f32_e32 v43, v44
	s_delay_alu instid0(VALU_DEP_2) | instskip(SKIP_2) | instid1(VALU_DEP_1)
	v_exp_f32_e32 v39, v39
	s_waitcnt_depctr 0xfff
	v_ldexp_f32 v39, v39, v43
	v_cndmask_b32_e64 v37, 0, v39, s4
	s_delay_alu instid0(VALU_DEP_1) | instskip(NEXT) | instid1(VALU_DEP_1)
	v_cndmask_b32_e64 v114, 0x7f800000, v37, s5
	v_cndmask_b32_e64 v37, v38, v114, s2
	ds_bpermute_b32 v38, v92, v114
	v_cndmask_b32_e64 v36, v36, v114, s3
	s_waitcnt lgkmcnt(0)
	v_cndmask_b32_e64 v37, v37, v38, s1
	s_delay_alu instid0(VALU_DEP_2) | instskip(NEXT) | instid1(VALU_DEP_2)
	v_cndmask_b32_e32 v38, v36, v38, vcc_lo
	v_cvt_f16_f32_e32 v36, v37
	s_delay_alu instid0(VALU_DEP_2) | instskip(NEXT) | instid1(VALU_DEP_1)
	v_cvt_f16_f32_e32 v39, v38
	v_pack_b32_f16 v36, v36, v39
	v_sub_f32_e32 v39, v42, v89
	s_delay_alu instid0(VALU_DEP_1) | instskip(SKIP_2) | instid1(VALU_DEP_3)
	v_mul_f32_e32 v42, 0x3fb8aa3b, v39
	v_cmp_ngt_f32_e64 s4, 0xc2ce8ed0, v39
	v_cmp_nlt_f32_e64 s5, 0x42b17218, v39
	v_fma_f32 v43, 0x3fb8aa3b, v39, -v42
	v_rndne_f32_e32 v44, v42
	s_delay_alu instid0(VALU_DEP_1) | instskip(NEXT) | instid1(VALU_DEP_1)
	v_dual_fmac_f32 v43, 0x32a5705f, v39 :: v_dual_sub_f32 v42, v42, v44
	v_add_f32_e32 v42, v42, v43
	v_cvt_i32_f32_e32 v43, v44
	s_delay_alu instid0(VALU_DEP_2) | instskip(SKIP_2) | instid1(VALU_DEP_1)
	v_exp_f32_e32 v42, v42
	s_waitcnt_depctr 0xfff
	v_ldexp_f32 v42, v42, v43
	v_cndmask_b32_e64 v39, 0, v42, s4
	s_delay_alu instid0(VALU_DEP_1) | instskip(SKIP_4) | instid1(VALU_DEP_2)
	v_cndmask_b32_e64 v115, 0x7f800000, v39, s5
	ds_bpermute_b32 v39, v92, v115
	v_cndmask_b32_e64 v37, v37, v115, s2
	v_cndmask_b32_e64 v38, v38, v115, s3
	s_waitcnt lgkmcnt(0)
	v_cndmask_b32_e64 v42, v37, v39, s1
	s_delay_alu instid0(VALU_DEP_2) | instskip(NEXT) | instid1(VALU_DEP_2)
	v_cndmask_b32_e32 v38, v38, v39, vcc_lo
	v_cvt_f16_f32_e32 v37, v42
	s_delay_alu instid0(VALU_DEP_2) | instskip(NEXT) | instid1(VALU_DEP_1)
	v_cvt_f16_f32_e32 v39, v38
	v_pack_b32_f16 v37, v37, v39
	v_sub_f32_e32 v39, v41, v89
	s_delay_alu instid0(VALU_DEP_1) | instskip(SKIP_2) | instid1(VALU_DEP_3)
	v_mul_f32_e32 v41, 0x3fb8aa3b, v39
	v_cmp_ngt_f32_e64 s4, 0xc2ce8ed0, v39
	v_cmp_nlt_f32_e64 s5, 0x42b17218, v39
	v_fma_f32 v43, 0x3fb8aa3b, v39, -v41
	v_rndne_f32_e32 v44, v41
	s_delay_alu instid0(VALU_DEP_2) | instskip(NEXT) | instid1(VALU_DEP_2)
	v_fmac_f32_e32 v43, 0x32a5705f, v39
	v_sub_f32_e32 v41, v41, v44
	s_delay_alu instid0(VALU_DEP_1) | instskip(SKIP_1) | instid1(VALU_DEP_2)
	v_add_f32_e32 v41, v41, v43
	v_cvt_i32_f32_e32 v43, v44
	v_exp_f32_e32 v41, v41
	s_waitcnt_depctr 0xfff
	v_ldexp_f32 v41, v41, v43
	s_delay_alu instid0(VALU_DEP_1) | instskip(NEXT) | instid1(VALU_DEP_1)
	v_cndmask_b32_e64 v39, 0, v41, s4
	v_cndmask_b32_e64 v116, 0x7f800000, v39, s5
	ds_bpermute_b32 v41, v92, v116
	v_cndmask_b32_e64 v39, v42, v116, s2
	v_cndmask_b32_e64 v38, v38, v116, s3
	s_waitcnt lgkmcnt(0)
	s_delay_alu instid0(VALU_DEP_2) | instskip(NEXT) | instid1(VALU_DEP_2)
	v_cndmask_b32_e64 v39, v39, v41, s1
	v_cndmask_b32_e32 v41, v38, v41, vcc_lo
	s_delay_alu instid0(VALU_DEP_2) | instskip(NEXT) | instid1(VALU_DEP_2)
	v_cvt_f16_f32_e32 v38, v39
	v_cvt_f16_f32_e32 v42, v41
	s_delay_alu instid0(VALU_DEP_1) | instskip(SKIP_1) | instid1(VALU_DEP_1)
	v_pack_b32_f16 v38, v38, v42
	v_mul_f32_e32 v42, 0x3fb8aa3b, v40
	v_fma_f32 v43, 0x3fb8aa3b, v40, -v42
	v_rndne_f32_e32 v44, v42
	s_delay_alu instid0(VALU_DEP_2) | instskip(NEXT) | instid1(VALU_DEP_2)
	v_fmac_f32_e32 v43, 0x32a5705f, v40
	v_sub_f32_e32 v42, v42, v44
	s_delay_alu instid0(VALU_DEP_1) | instskip(SKIP_2) | instid1(VALU_DEP_3)
	v_add_f32_e32 v42, v42, v43
	v_cvt_i32_f32_e32 v43, v44
	v_add_nc_u32_e32 v44, 0x1800, v135
	v_exp_f32_e32 v42, v42
	s_waitcnt_depctr 0xfff
	v_ldexp_f32 v42, v42, v43
	v_add_nc_u32_e32 v43, 0x1400, v135
	v_cmp_ngt_f32_e64 s4, 0xc2ce8ed0, v40
	v_cmp_nlt_f32_e64 s5, 0x42b17218, v40
	s_delay_alu instid0(VALU_DEP_2) | instskip(NEXT) | instid1(VALU_DEP_1)
	v_cndmask_b32_e64 v40, 0, v42, s4
	v_cndmask_b32_e64 v117, 0x7f800000, v40, s5
	s_delay_alu instid0(VALU_DEP_1) | instskip(SKIP_3) | instid1(VALU_DEP_1)
	v_cndmask_b32_e64 v40, v41, v117, s3
	ds_bpermute_b32 v41, v92, v117
	v_cndmask_b32_e64 v39, v39, v117, s2
	s_waitcnt lgkmcnt(0)
	v_cndmask_b32_e64 v39, v39, v41, s1
	v_cndmask_b32_e32 v40, v40, v41, vcc_lo
	s_delay_alu instid0(VALU_DEP_2) | instskip(NEXT) | instid1(VALU_DEP_2)
	v_cvt_f16_f32_e32 v39, v39
	v_cvt_f16_f32_e32 v40, v40
	s_delay_alu instid0(VALU_DEP_1)
	v_pack_b32_f16 v39, v39, v40
	v_add_nc_u32_e32 v40, 0x1200, v135
	ds_load_2addr_b32 v[48:49], v40 offset0:120 offset1:140
	ds_load_2addr_b32 v[50:51], v100 offset0:112 offset1:132
	;; [unrolled: 1-line block ×3, first 2 shown]
	scratch_load_b32 v42, off, off offset:540 ; 4-byte Folded Reload
	s_waitcnt vmcnt(0)
	ds_load_b32 v40, v42 offset:1088
	ds_load_2addr_b32 v[54:55], v43 offset0:60 offset1:148
	ds_load_2addr_b32 v[56:57], v43 offset0:196 offset1:216
	ds_load_2addr_b32 v[58:59], v44 offset0:8 offset1:28
	ds_load_b32 v41, v42 offset:2176
	ds_load_2addr_b32 v[60:61], v44 offset0:76 offset1:164
	ds_load_2addr_b32 v[62:63], v44 offset0:212 offset1:232
	ds_load_2addr_b32 v[64:65], v46 offset0:24 offset1:44
	;; [unrolled: 4-line block ×3, first 2 shown]
	s_waitcnt lgkmcnt(13)
	v_perm_b32 v121, v51, v72, 0x5040100
	s_waitcnt lgkmcnt(12)
	v_perm_b32 v122, v49, v53, 0x5040100
	;; [unrolled: 2-line block ×8, first 2 shown]
	s_delay_alu instid0(VALU_DEP_1)
	v_wmma_f16_16x16x16_f16 v[24:31], v[121:128], v[32:39], v[24:31]
	v_perm_b32 v121, v51, v72, 0x7060302
	v_perm_b32 v128, v71, v69, 0x7060302
	ds_load_2addr_b32 v[71:72], v100 offset0:80 offset1:96
	ds_load_2addr_b32 v[73:74], v100 offset0:148 offset1:164
	ds_load_2addr_b32 v[75:76], v100 offset0:216 offset1:232
	ds_load_2addr_b32 v[77:78], v43 offset0:28 offset1:44
	scratch_load_b32 v47, off, off offset:572 ; 4-byte Folded Reload
	v_perm_b32 v123, v55, v40, 0x7060302
	v_perm_b32 v125, v61, v41, 0x7060302
	;; [unrolled: 1-line block ×6, first 2 shown]
	s_waitcnt vmcnt(0)
	ds_load_b32 v49, v47 offset:1088
	ds_load_2addr_b32 v[99:100], v43 offset0:164 offset1:180
	v_wmma_f16_16x16x16_f16 v[24:31], v[121:128], v[32:39], v[24:31] op_sel:[0,0,1]
	ds_load_2addr_b32 v[118:119], v43 offset0:232 offset1:248
	ds_load_2addr_b32 v[121:122], v44 offset0:44 offset1:60
	ds_load_b32 v51, v47 offset:2176
	ds_load_2addr_b32 v[123:124], v44 offset0:180 offset1:196
	ds_load_2addr_b32 v[125:126], v45 offset0:120 offset1:136
	ds_load_2addr_b32 v[127:128], v46 offset0:60 offset1:76
	ds_load_b32 v53, v47 offset:3264
	ds_load_2addr_b32 v[129:130], v46 offset0:196 offset1:212
	ds_load_2addr_b32 v[131:132], v90 offset0:8 offset1:24
	;; [unrolled: 1-line block ×3, first 2 shown]
	s_waitcnt lgkmcnt(14)
	v_perm_b32 v40, v73, v71, 0x5040100
	s_waitcnt lgkmcnt(12)
	v_perm_b32 v41, v77, v75, 0x5040100
	;; [unrolled: 2-line block ×8, first 2 shown]
	s_delay_alu instid0(VALU_DEP_1)
	v_wmma_f16_16x16x16_f16 v[16:23], v[40:47], v[32:39], v[16:23]
	v_perm_b32 v42, v99, v49, 0x7060302
	v_perm_b32 v44, v123, v51, 0x7060302
	;; [unrolled: 1-line block ×8, first 2 shown]
	v_add_nc_u32_e32 v127, 0x2c00, v135
	v_add_nc_u32_e32 v73, 0x3000, v135
	s_delay_alu instid0(VALU_DEP_3)
	v_wmma_f16_16x16x16_f16 v[16:23], v[40:47], v[32:39], v[16:23] op_sel:[0,0,1]
	scratch_load_b32 v46, off, off offset:604 ; 4-byte Folded Reload
	v_perm_b32 v40, v74, v72, 0x5040100
	v_perm_b32 v41, v78, v76, 0x5040100
	;; [unrolled: 1-line block ×5, first 2 shown]
	s_waitcnt vmcnt(0)
	ds_load_b32 v49, v46 offset:1088
	ds_load_b32 v51, v46 offset:2176
	;; [unrolled: 1-line block ×3, first 2 shown]
	s_waitcnt lgkmcnt(2)
	v_perm_b32 v42, v100, v49, 0x5040100
	s_waitcnt lgkmcnt(1)
	v_perm_b32 v44, v124, v51, 0x5040100
	;; [unrolled: 2-line block ×3, first 2 shown]
	s_delay_alu instid0(VALU_DEP_1)
	v_wmma_f16_16x16x16_f16 v[8:15], v[40:47], v[32:39], v[8:15]
	v_perm_b32 v40, v74, v72, 0x7060302
	v_perm_b32 v41, v78, v76, 0x7060302
	;; [unrolled: 1-line block ×8, first 2 shown]
	ds_load_2addr_b32 v[71:72], v90 offset0:108 offset1:128
	v_add_nc_u32_e32 v78, 0x2400, v135
	v_wmma_f16_16x16x16_f16 v[8:15], v[40:47], v[32:39], v[8:15] op_sel:[0,0,1]
	scratch_load_b32 v46, off, off offset:624 ; 4-byte Folded Reload
	v_perm_b32 v40, v52, v50, 0x5040100
	v_perm_b32 v41, v54, v48, 0x5040100
	;; [unrolled: 1-line block ×4, first 2 shown]
	s_waitcnt lgkmcnt(0)
	v_perm_b32 v47, v71, v70, 0x5040100
	s_waitcnt vmcnt(0)
	ds_load_b32 v49, v46 offset:1088
	ds_load_b32 v51, v46 offset:2176
	;; [unrolled: 1-line block ×3, first 2 shown]
	s_waitcnt lgkmcnt(2)
	v_perm_b32 v42, v56, v49, 0x5040100
	s_waitcnt lgkmcnt(1)
	v_perm_b32 v44, v62, v51, 0x5040100
	;; [unrolled: 2-line block ×3, first 2 shown]
	s_delay_alu instid0(VALU_DEP_1)
	v_wmma_f16_16x16x16_f16 v[0:7], v[40:47], v[32:39], v[0:7]
	v_perm_b32 v40, v52, v50, 0x7060302
	v_perm_b32 v41, v54, v48, 0x7060302
	;; [unrolled: 1-line block ×8, first 2 shown]
	s_delay_alu instid0(VALU_DEP_1) | instskip(SKIP_1) | instid1(VALU_DEP_1)
	v_wmma_f16_16x16x16_f16 v[0:7], v[40:47], v[32:39], v[0:7] op_sel:[0,0,1]
	v_sub_f32_e32 v32, v98, v89
	v_mul_f32_e32 v33, 0x3fb8aa3b, v32
	v_cmp_ngt_f32_e64 s4, 0xc2ce8ed0, v32
	v_cmp_nlt_f32_e64 s5, 0x42b17218, v32
	s_delay_alu instid0(VALU_DEP_3) | instskip(SKIP_1) | instid1(VALU_DEP_1)
	v_fma_f32 v34, 0x3fb8aa3b, v32, -v33
	v_rndne_f32_e32 v35, v33
	v_dual_fmac_f32 v34, 0x32a5705f, v32 :: v_dual_sub_f32 v33, v33, v35
	v_cvt_i32_f32_e32 v35, v35
	s_delay_alu instid0(VALU_DEP_2) | instskip(SKIP_1) | instid1(VALU_DEP_2)
	v_add_f32_e32 v33, v33, v34
	v_sub_f32_e32 v34, v97, v89
	v_exp_f32_e32 v33, v33
	s_delay_alu instid0(VALU_DEP_1) | instskip(SKIP_2) | instid1(VALU_DEP_3)
	v_mul_f32_e32 v36, 0x3fb8aa3b, v34
	v_cmp_ngt_f32_e64 s6, 0xc2ce8ed0, v34
	v_cmp_nlt_f32_e64 s7, 0x42b17218, v34
	v_fma_f32 v37, 0x3fb8aa3b, v34, -v36
	v_rndne_f32_e32 v38, v36
	s_waitcnt_depctr 0xfff
	v_ldexp_f32 v33, v33, v35
	v_fmac_f32_e32 v37, 0x32a5705f, v34
	v_sub_f32_e32 v36, v36, v38
	v_cvt_i32_f32_e32 v35, v38
	s_delay_alu instid0(VALU_DEP_4) | instskip(NEXT) | instid1(VALU_DEP_3)
	v_cndmask_b32_e64 v33, 0, v33, s4
	v_add_f32_e32 v36, v36, v37
	s_delay_alu instid0(VALU_DEP_2) | instskip(NEXT) | instid1(VALU_DEP_2)
	v_cndmask_b32_e64 v118, 0x7f800000, v33, s5
	v_exp_f32_e32 v32, v36
	s_waitcnt_depctr 0xfff
	v_ldexp_f32 v32, v32, v35
	s_delay_alu instid0(VALU_DEP_1) | instskip(NEXT) | instid1(VALU_DEP_1)
	v_cndmask_b32_e64 v32, 0, v32, s6
	v_cndmask_b32_e64 v119, 0x7f800000, v32, s7
	ds_bpermute_b32 v32, v92, v118
	ds_bpermute_b32 v34, v92, v119
	s_waitcnt lgkmcnt(1)
	v_cndmask_b32_e32 v33, v118, v32, vcc_lo
	v_cndmask_b32_e64 v32, v118, v32, s1
	s_delay_alu instid0(VALU_DEP_2) | instskip(NEXT) | instid1(VALU_DEP_2)
	v_cndmask_b32_e64 v36, v33, v119, s3
	v_cndmask_b32_e64 v35, v32, v119, s2
	v_cvt_f16_f32_e32 v32, v32
	v_cvt_f16_f32_e32 v33, v33
	s_waitcnt lgkmcnt(0)
	s_delay_alu instid0(VALU_DEP_3) | instskip(SKIP_1) | instid1(VALU_DEP_3)
	v_cndmask_b32_e64 v35, v35, v34, s1
	v_cndmask_b32_e32 v34, v36, v34, vcc_lo
	v_pack_b32_f16 v32, v32, v33
	s_delay_alu instid0(VALU_DEP_3) | instskip(NEXT) | instid1(VALU_DEP_3)
	v_cvt_f16_f32_e32 v36, v35
	v_cvt_f16_f32_e32 v37, v34
	s_delay_alu instid0(VALU_DEP_1) | instskip(SKIP_1) | instid1(VALU_DEP_1)
	v_pack_b32_f16 v33, v36, v37
	v_sub_f32_e32 v36, v96, v89
	v_mul_f32_e32 v37, 0x3fb8aa3b, v36
	v_cmp_ngt_f32_e64 s4, 0xc2ce8ed0, v36
	v_cmp_nlt_f32_e64 s5, 0x42b17218, v36
	s_delay_alu instid0(VALU_DEP_3) | instskip(SKIP_1) | instid1(VALU_DEP_1)
	v_fma_f32 v38, 0x3fb8aa3b, v36, -v37
	v_rndne_f32_e32 v39, v37
	v_dual_fmac_f32 v38, 0x32a5705f, v36 :: v_dual_sub_f32 v37, v37, v39
	s_delay_alu instid0(VALU_DEP_1) | instskip(SKIP_1) | instid1(VALU_DEP_2)
	v_add_f32_e32 v37, v37, v38
	v_cvt_i32_f32_e32 v38, v39
	v_exp_f32_e32 v37, v37
	s_waitcnt_depctr 0xfff
	v_ldexp_f32 v37, v37, v38
	s_delay_alu instid0(VALU_DEP_1) | instskip(NEXT) | instid1(VALU_DEP_1)
	v_cndmask_b32_e64 v36, 0, v37, s4
	v_cndmask_b32_e64 v121, 0x7f800000, v36, s5
	ds_bpermute_b32 v36, v92, v121
	v_cndmask_b32_e64 v35, v35, v121, s2
	v_cndmask_b32_e64 v34, v34, v121, s3
	s_waitcnt lgkmcnt(0)
	s_delay_alu instid0(VALU_DEP_2) | instskip(NEXT) | instid1(VALU_DEP_2)
	v_cndmask_b32_e64 v35, v35, v36, s1
	v_cndmask_b32_e32 v36, v34, v36, vcc_lo
	s_delay_alu instid0(VALU_DEP_2) | instskip(NEXT) | instid1(VALU_DEP_2)
	v_cvt_f16_f32_e32 v34, v35
	v_cvt_f16_f32_e32 v37, v36
	s_delay_alu instid0(VALU_DEP_1) | instskip(SKIP_2) | instid1(VALU_DEP_2)
	v_pack_b32_f16 v34, v34, v37
	v_sub_f32_e32 v37, v95, v89
	v_add_nc_u32_e32 v95, 0x2800, v135
	v_mul_f32_e32 v38, 0x3fb8aa3b, v37
	v_cmp_ngt_f32_e64 s4, 0xc2ce8ed0, v37
	v_cmp_nlt_f32_e64 s5, 0x42b17218, v37
	s_delay_alu instid0(VALU_DEP_3) | instskip(SKIP_1) | instid1(VALU_DEP_1)
	v_fma_f32 v39, 0x3fb8aa3b, v37, -v38
	v_rndne_f32_e32 v40, v38
	v_dual_fmac_f32 v39, 0x32a5705f, v37 :: v_dual_sub_f32 v38, v38, v40
	s_delay_alu instid0(VALU_DEP_1) | instskip(SKIP_1) | instid1(VALU_DEP_2)
	v_add_f32_e32 v38, v38, v39
	v_cvt_i32_f32_e32 v39, v40
	v_exp_f32_e32 v38, v38
	s_waitcnt_depctr 0xfff
	v_ldexp_f32 v38, v38, v39
	s_delay_alu instid0(VALU_DEP_1) | instskip(NEXT) | instid1(VALU_DEP_1)
	v_cndmask_b32_e64 v37, 0, v38, s4
	v_cndmask_b32_e64 v122, 0x7f800000, v37, s5
	ds_bpermute_b32 v37, v92, v122
	v_cndmask_b32_e64 v35, v35, v122, s2
	v_cndmask_b32_e64 v36, v36, v122, s3
	s_waitcnt lgkmcnt(0)
	s_delay_alu instid0(VALU_DEP_2) | instskip(NEXT) | instid1(VALU_DEP_2)
	v_cndmask_b32_e64 v38, v35, v37, s1
	v_cndmask_b32_e32 v36, v36, v37, vcc_lo
	s_delay_alu instid0(VALU_DEP_2) | instskip(NEXT) | instid1(VALU_DEP_2)
	v_cvt_f16_f32_e32 v35, v38
	v_cvt_f16_f32_e32 v37, v36
	s_delay_alu instid0(VALU_DEP_1) | instskip(SKIP_1) | instid1(VALU_DEP_1)
	v_pack_b32_f16 v35, v35, v37
	v_sub_f32_e32 v37, v94, v89
	v_mul_f32_e32 v39, 0x3fb8aa3b, v37
	v_cmp_ngt_f32_e64 s4, 0xc2ce8ed0, v37
	v_cmp_nlt_f32_e64 s5, 0x42b17218, v37
	s_delay_alu instid0(VALU_DEP_3) | instskip(SKIP_1) | instid1(VALU_DEP_2)
	v_fma_f32 v40, 0x3fb8aa3b, v37, -v39
	v_rndne_f32_e32 v41, v39
	v_fmac_f32_e32 v40, 0x32a5705f, v37
	s_delay_alu instid0(VALU_DEP_2) | instskip(NEXT) | instid1(VALU_DEP_1)
	v_sub_f32_e32 v39, v39, v41
	v_add_f32_e32 v39, v39, v40
	v_cvt_i32_f32_e32 v40, v41
	s_delay_alu instid0(VALU_DEP_2) | instskip(SKIP_2) | instid1(VALU_DEP_1)
	v_exp_f32_e32 v39, v39
	s_waitcnt_depctr 0xfff
	v_ldexp_f32 v39, v39, v40
	v_cndmask_b32_e64 v37, 0, v39, s4
	s_delay_alu instid0(VALU_DEP_1) | instskip(NEXT) | instid1(VALU_DEP_1)
	v_cndmask_b32_e64 v123, 0x7f800000, v37, s5
	v_cndmask_b32_e64 v37, v38, v123, s2
	ds_bpermute_b32 v38, v92, v123
	v_cndmask_b32_e64 v36, v36, v123, s3
	s_waitcnt lgkmcnt(0)
	v_cndmask_b32_e64 v37, v37, v38, s1
	s_delay_alu instid0(VALU_DEP_2) | instskip(NEXT) | instid1(VALU_DEP_2)
	v_cndmask_b32_e32 v38, v36, v38, vcc_lo
	v_cvt_f16_f32_e32 v36, v37
	s_delay_alu instid0(VALU_DEP_2) | instskip(NEXT) | instid1(VALU_DEP_1)
	v_cvt_f16_f32_e32 v39, v38
	v_pack_b32_f16 v36, v36, v39
	v_sub_f32_e32 v39, v93, v89
	s_delay_alu instid0(VALU_DEP_1) | instskip(SKIP_2) | instid1(VALU_DEP_3)
	v_mul_f32_e32 v40, 0x3fb8aa3b, v39
	v_cmp_ngt_f32_e64 s4, 0xc2ce8ed0, v39
	v_cmp_nlt_f32_e64 s5, 0x42b17218, v39
	v_fma_f32 v41, 0x3fb8aa3b, v39, -v40
	v_rndne_f32_e32 v42, v40
	s_delay_alu instid0(VALU_DEP_1) | instskip(NEXT) | instid1(VALU_DEP_1)
	v_dual_fmac_f32 v41, 0x32a5705f, v39 :: v_dual_sub_f32 v40, v40, v42
	v_add_f32_e32 v40, v40, v41
	v_cvt_i32_f32_e32 v41, v42
	s_delay_alu instid0(VALU_DEP_2) | instskip(SKIP_2) | instid1(VALU_DEP_1)
	v_exp_f32_e32 v40, v40
	s_waitcnt_depctr 0xfff
	v_ldexp_f32 v40, v40, v41
	v_cndmask_b32_e64 v39, 0, v40, s4
	s_delay_alu instid0(VALU_DEP_1) | instskip(SKIP_4) | instid1(VALU_DEP_2)
	v_cndmask_b32_e64 v124, 0x7f800000, v39, s5
	ds_bpermute_b32 v39, v92, v124
	v_cndmask_b32_e64 v37, v37, v124, s2
	v_cndmask_b32_e64 v38, v38, v124, s3
	s_waitcnt lgkmcnt(0)
	v_cndmask_b32_e64 v40, v37, v39, s1
	s_delay_alu instid0(VALU_DEP_2) | instskip(NEXT) | instid1(VALU_DEP_2)
	v_cndmask_b32_e32 v38, v38, v39, vcc_lo
	v_cvt_f16_f32_e32 v37, v40
	s_delay_alu instid0(VALU_DEP_2) | instskip(NEXT) | instid1(VALU_DEP_1)
	v_cvt_f16_f32_e32 v39, v38
	v_pack_b32_f16 v37, v37, v39
	v_sub_f32_e32 v39, v88, v89
	s_delay_alu instid0(VALU_DEP_1) | instskip(SKIP_2) | instid1(VALU_DEP_3)
	v_mul_f32_e32 v41, 0x3fb8aa3b, v39
	v_cmp_ngt_f32_e64 s4, 0xc2ce8ed0, v39
	v_cmp_nlt_f32_e64 s5, 0x42b17218, v39
	v_fma_f32 v42, 0x3fb8aa3b, v39, -v41
	v_rndne_f32_e32 v43, v41
	s_delay_alu instid0(VALU_DEP_2) | instskip(NEXT) | instid1(VALU_DEP_2)
	v_fmac_f32_e32 v42, 0x32a5705f, v39
	v_sub_f32_e32 v41, v41, v43
	s_delay_alu instid0(VALU_DEP_1) | instskip(SKIP_1) | instid1(VALU_DEP_2)
	v_add_f32_e32 v41, v41, v42
	v_cvt_i32_f32_e32 v42, v43
	v_exp_f32_e32 v41, v41
	s_waitcnt_depctr 0xfff
	v_ldexp_f32 v41, v41, v42
	s_delay_alu instid0(VALU_DEP_1) | instskip(NEXT) | instid1(VALU_DEP_1)
	v_cndmask_b32_e64 v39, 0, v41, s4
	v_cndmask_b32_e64 v125, 0x7f800000, v39, s5
	s_delay_alu instid0(VALU_DEP_1) | instskip(SKIP_4) | instid1(VALU_DEP_2)
	v_cndmask_b32_e64 v39, v40, v125, s2
	ds_bpermute_b32 v40, v92, v125
	v_cndmask_b32_e64 v38, v38, v125, s3
	s_waitcnt lgkmcnt(0)
	v_cndmask_b32_e64 v39, v39, v40, s1
	v_cndmask_b32_e32 v40, v38, v40, vcc_lo
	s_delay_alu instid0(VALU_DEP_2) | instskip(NEXT) | instid1(VALU_DEP_2)
	v_cvt_f16_f32_e32 v38, v39
	v_cvt_f16_f32_e32 v41, v40
	s_delay_alu instid0(VALU_DEP_1) | instskip(SKIP_1) | instid1(VALU_DEP_1)
	v_pack_b32_f16 v38, v38, v41
	v_sub_f32_e32 v41, v87, v89
	v_mul_f32_e32 v42, 0x3fb8aa3b, v41
	v_cmp_ngt_f32_e64 s4, 0xc2ce8ed0, v41
	v_cmp_nlt_f32_e64 s5, 0x42b17218, v41
	s_delay_alu instid0(VALU_DEP_3) | instskip(SKIP_1) | instid1(VALU_DEP_1)
	v_fma_f32 v43, 0x3fb8aa3b, v41, -v42
	v_rndne_f32_e32 v44, v42
	v_dual_fmac_f32 v43, 0x32a5705f, v41 :: v_dual_sub_f32 v42, v42, v44
	s_delay_alu instid0(VALU_DEP_1) | instskip(SKIP_1) | instid1(VALU_DEP_2)
	v_add_f32_e32 v42, v42, v43
	v_cvt_i32_f32_e32 v43, v44
	v_exp_f32_e32 v42, v42
	s_waitcnt_depctr 0xfff
	v_ldexp_f32 v42, v42, v43
	s_delay_alu instid0(VALU_DEP_1) | instskip(NEXT) | instid1(VALU_DEP_1)
	v_cndmask_b32_e64 v41, 0, v42, s4
	v_cndmask_b32_e64 v126, 0x7f800000, v41, s5
	ds_bpermute_b32 v41, v92, v126
	v_cndmask_b32_e64 v39, v39, v126, s2
	v_cndmask_b32_e64 v40, v40, v126, s3
	s_waitcnt lgkmcnt(0)
	s_delay_alu instid0(VALU_DEP_2) | instskip(NEXT) | instid1(VALU_DEP_2)
	v_cndmask_b32_e64 v39, v39, v41, s1
	v_cndmask_b32_e32 v40, v40, v41, vcc_lo
	s_delay_alu instid0(VALU_DEP_2) | instskip(NEXT) | instid1(VALU_DEP_2)
	v_cvt_f16_f32_e32 v39, v39
	v_cvt_f16_f32_e32 v40, v40
	s_delay_alu instid0(VALU_DEP_1)
	v_pack_b32_f16 v39, v39, v40
	v_add_nc_u32_e32 v40, 0x2200, v135
	ds_load_2addr_b32 v[48:49], v40 offset0:116 offset1:136
	ds_load_2addr_b32 v[50:51], v90 offset0:176 offset1:196
	;; [unrolled: 1-line block ×3, first 2 shown]
	scratch_load_b32 v46, off, off offset:548 ; 4-byte Folded Reload
	s_waitcnt vmcnt(0)
	ds_load_b32 v74, v46 offset:1088
	ds_load_2addr_b32 v[54:55], v78 offset0:124 offset1:212
	ds_load_2addr_b32 v[56:57], v95 offset0:4 offset1:24
	ds_load_2addr_b32 v[58:59], v95 offset0:72 offset1:92
	ds_load_b32 v75, v46 offset:2176
	ds_load_2addr_b32 v[60:61], v95 offset0:140 offset1:228
	ds_load_2addr_b32 v[62:63], v127 offset0:20 offset1:40
	ds_load_2addr_b32 v[64:65], v127 offset0:88 offset1:108
	ds_load_b32 v76, v46 offset:3264
	ds_load_2addr_b32 v[66:67], v127 offset0:156 offset1:244
	ds_load_2addr_b32 v[68:69], v73 offset0:36 offset1:56
	ds_load_2addr_b32 v[70:71], v73 offset0:104 offset1:124
	s_waitcnt lgkmcnt(13)
	v_perm_b32 v40, v51, v72, 0x5040100
	s_waitcnt lgkmcnt(12)
	v_perm_b32 v41, v53, v49, 0x5040100
	;; [unrolled: 2-line block ×8, first 2 shown]
	s_delay_alu instid0(VALU_DEP_1)
	v_wmma_f16_16x16x16_f16 v[24:31], v[40:47], v[32:39], v[24:31]
	v_perm_b32 v40, v51, v72, 0x7060302
	v_perm_b32 v42, v55, v74, 0x7060302
	;; [unrolled: 1-line block ×8, first 2 shown]
	ds_load_2addr_b32 v[71:72], v90 offset0:144 offset1:160
	ds_load_2addr_b32 v[74:75], v90 offset0:212 offset1:228
	;; [unrolled: 1-line block ×4, first 2 shown]
	v_wmma_f16_16x16x16_f16 v[24:31], v[40:47], v[32:39], v[24:31] op_sel:[0,0,1]
	scratch_load_b32 v46, off, off offset:580 ; 4-byte Folded Reload
	v_add_nc_u32_e32 v44, 0x2a00, v135
	s_waitcnt vmcnt(0)
	ds_load_b32 v49, v46 offset:1088
	ds_load_2addr_b32 v[90:91], v78 offset0:228 offset1:244
	ds_load_2addr_b32 v[93:94], v95 offset0:40 offset1:56
	ds_load_2addr_b32 v[95:96], v95 offset0:108 offset1:124
	ds_load_b32 v51, v46 offset:2176
	ds_load_2addr_b32 v[97:98], v44 offset0:116 offset1:132
	ds_load_2addr_b32 v[99:100], v127 offset0:56 offset1:72
	ds_load_2addr_b32 v[127:128], v127 offset0:124 offset1:140
	;; [unrolled: 4-line block ×3, first 2 shown]
	s_waitcnt lgkmcnt(14)
	v_perm_b32 v40, v74, v71, 0x5040100
	s_waitcnt lgkmcnt(12)
	v_perm_b32 v41, v87, v76, 0x5040100
	;; [unrolled: 2-line block ×8, first 2 shown]
	s_delay_alu instid0(VALU_DEP_1)
	v_wmma_f16_16x16x16_f16 v[16:23], v[40:47], v[32:39], v[16:23]
	v_perm_b32 v42, v90, v49, 0x7060302
	v_perm_b32 v44, v97, v51, 0x7060302
	;; [unrolled: 1-line block ×8, first 2 shown]
	v_add_nc_u32_e32 v74, 0x3400, v135
	v_add_nc_u32_e32 v90, 0x3c00, v135
	s_delay_alu instid0(VALU_DEP_3)
	v_wmma_f16_16x16x16_f16 v[16:23], v[40:47], v[32:39], v[16:23] op_sel:[0,0,1]
	scratch_load_b32 v46, off, off offset:612 ; 4-byte Folded Reload
	v_perm_b32 v40, v75, v72, 0x5040100
	v_perm_b32 v41, v88, v77, 0x5040100
	;; [unrolled: 1-line block ×5, first 2 shown]
	s_waitcnt vmcnt(0)
	ds_load_b32 v49, v46 offset:1088
	ds_load_b32 v51, v46 offset:2176
	;; [unrolled: 1-line block ×3, first 2 shown]
	s_waitcnt lgkmcnt(2)
	v_perm_b32 v42, v91, v49, 0x5040100
	s_waitcnt lgkmcnt(1)
	v_perm_b32 v44, v98, v51, 0x5040100
	;; [unrolled: 2-line block ×3, first 2 shown]
	s_delay_alu instid0(VALU_DEP_1)
	v_wmma_f16_16x16x16_f16 v[8:15], v[40:47], v[32:39], v[8:15]
	v_perm_b32 v40, v75, v72, 0x7060302
	v_perm_b32 v41, v88, v77, 0x7060302
	;; [unrolled: 1-line block ×8, first 2 shown]
	ds_load_2addr_b32 v[71:72], v73 offset0:172 offset1:192
	v_add_nc_u32_e32 v91, 0x4000, v135
	v_wmma_f16_16x16x16_f16 v[8:15], v[40:47], v[32:39], v[8:15] op_sel:[0,0,1]
	scratch_load_b32 v46, off, off offset:628 ; 4-byte Folded Reload
	v_perm_b32 v40, v48, v50, 0x5040100
	v_perm_b32 v41, v54, v52, 0x5040100
	;; [unrolled: 1-line block ×4, first 2 shown]
	s_waitcnt lgkmcnt(0)
	v_perm_b32 v47, v71, v70, 0x5040100
	s_waitcnt vmcnt(0)
	ds_load_b32 v49, v46 offset:1088
	ds_load_b32 v51, v46 offset:2176
	;; [unrolled: 1-line block ×3, first 2 shown]
	s_waitcnt lgkmcnt(2)
	v_perm_b32 v42, v56, v49, 0x5040100
	s_waitcnt lgkmcnt(1)
	v_perm_b32 v44, v62, v51, 0x5040100
	s_waitcnt lgkmcnt(0)
	v_perm_b32 v46, v68, v53, 0x5040100
	s_delay_alu instid0(VALU_DEP_1)
	v_wmma_f16_16x16x16_f16 v[0:7], v[40:47], v[32:39], v[0:7]
	v_perm_b32 v40, v48, v50, 0x7060302
	v_perm_b32 v41, v54, v52, 0x7060302
	v_perm_b32 v43, v60, v58, 0x7060302
	v_perm_b32 v45, v66, v64, 0x7060302
	v_perm_b32 v42, v56, v49, 0x7060302
	v_perm_b32 v44, v62, v51, 0x7060302
	v_perm_b32 v46, v68, v53, 0x7060302
	v_perm_b32 v47, v71, v70, 0x7060302
	s_delay_alu instid0(VALU_DEP_1) | instskip(SKIP_2) | instid1(VALU_DEP_2)
	v_wmma_f16_16x16x16_f16 v[0:7], v[40:47], v[32:39], v[0:7] op_sel:[0,0,1]
	v_sub_f32_e32 v32, v86, v89
	v_add_nc_u32_e32 v46, 0x3e00, v135
	v_mul_f32_e32 v33, 0x3fb8aa3b, v32
	v_cmp_ngt_f32_e64 s4, 0xc2ce8ed0, v32
	v_cmp_nlt_f32_e64 s5, 0x42b17218, v32
	s_delay_alu instid0(VALU_DEP_3) | instskip(SKIP_1) | instid1(VALU_DEP_1)
	v_fma_f32 v34, 0x3fb8aa3b, v32, -v33
	v_rndne_f32_e32 v35, v33
	v_dual_fmac_f32 v34, 0x32a5705f, v32 :: v_dual_sub_f32 v33, v33, v35
	v_cvt_i32_f32_e32 v35, v35
	s_delay_alu instid0(VALU_DEP_2) | instskip(SKIP_1) | instid1(VALU_DEP_1)
	v_add_f32_e32 v33, v33, v34
	v_dual_sub_f32 v34, v85, v89 :: v_dual_add_nc_u32 v85, 0x3800, v135
	v_mul_f32_e32 v36, 0x3fb8aa3b, v34
	v_cmp_ngt_f32_e64 s6, 0xc2ce8ed0, v34
	v_cmp_nlt_f32_e64 s7, 0x42b17218, v34
	s_delay_alu instid0(VALU_DEP_3) | instskip(SKIP_1) | instid1(VALU_DEP_2)
	v_fma_f32 v37, 0x3fb8aa3b, v34, -v36
	v_rndne_f32_e32 v38, v36
	v_fmac_f32_e32 v37, 0x32a5705f, v34
	s_delay_alu instid0(VALU_DEP_2) | instskip(NEXT) | instid1(VALU_DEP_1)
	v_sub_f32_e32 v36, v36, v38
	v_add_f32_e32 v36, v36, v37
	v_exp_f32_e32 v33, v33
	s_delay_alu instid0(VALU_DEP_1) | instskip(SKIP_3) | instid1(VALU_DEP_2)
	v_exp_f32_e32 v32, v36
	s_waitcnt_depctr 0xfff
	v_ldexp_f32 v33, v33, v35
	v_cvt_i32_f32_e32 v35, v38
	v_cndmask_b32_e64 v33, 0, v33, s4
	s_delay_alu instid0(VALU_DEP_2) | instskip(NEXT) | instid1(VALU_DEP_2)
	v_ldexp_f32 v32, v32, v35
	v_cndmask_b32_e64 v127, 0x7f800000, v33, s5
	s_delay_alu instid0(VALU_DEP_2) | instskip(NEXT) | instid1(VALU_DEP_1)
	v_cndmask_b32_e64 v32, 0, v32, s6
	v_cndmask_b32_e64 v128, 0x7f800000, v32, s7
	ds_bpermute_b32 v32, v92, v127
	ds_bpermute_b32 v34, v92, v128
	s_waitcnt lgkmcnt(1)
	v_cndmask_b32_e32 v33, v127, v32, vcc_lo
	v_cndmask_b32_e64 v32, v127, v32, s1
	s_delay_alu instid0(VALU_DEP_2) | instskip(NEXT) | instid1(VALU_DEP_2)
	v_cndmask_b32_e64 v36, v33, v128, s3
	v_cndmask_b32_e64 v35, v32, v128, s2
	v_cvt_f16_f32_e32 v32, v32
	s_waitcnt lgkmcnt(0)
	s_delay_alu instid0(VALU_DEP_2) | instskip(SKIP_2) | instid1(VALU_DEP_3)
	v_cndmask_b32_e64 v35, v35, v34, s1
	v_cndmask_b32_e32 v34, v36, v34, vcc_lo
	v_cvt_f16_f32_e32 v33, v33
	v_cvt_f16_f32_e32 v36, v35
	s_delay_alu instid0(VALU_DEP_3) | instskip(NEXT) | instid1(VALU_DEP_3)
	v_cvt_f16_f32_e32 v37, v34
	v_pack_b32_f16 v32, v32, v33
	s_delay_alu instid0(VALU_DEP_2) | instskip(SKIP_1) | instid1(VALU_DEP_1)
	v_pack_b32_f16 v33, v36, v37
	v_sub_f32_e32 v36, v84, v89
	v_mul_f32_e32 v37, 0x3fb8aa3b, v36
	v_cmp_ngt_f32_e64 s4, 0xc2ce8ed0, v36
	v_cmp_nlt_f32_e64 s5, 0x42b17218, v36
	s_delay_alu instid0(VALU_DEP_3) | instskip(SKIP_1) | instid1(VALU_DEP_1)
	v_fma_f32 v38, 0x3fb8aa3b, v36, -v37
	v_rndne_f32_e32 v39, v37
	v_dual_fmac_f32 v38, 0x32a5705f, v36 :: v_dual_sub_f32 v37, v37, v39
	s_delay_alu instid0(VALU_DEP_1) | instskip(SKIP_1) | instid1(VALU_DEP_2)
	v_add_f32_e32 v37, v37, v38
	v_cvt_i32_f32_e32 v38, v39
	v_exp_f32_e32 v37, v37
	s_waitcnt_depctr 0xfff
	v_ldexp_f32 v37, v37, v38
	s_delay_alu instid0(VALU_DEP_1) | instskip(NEXT) | instid1(VALU_DEP_1)
	v_cndmask_b32_e64 v36, 0, v37, s4
	v_cndmask_b32_e64 v129, 0x7f800000, v36, s5
	ds_bpermute_b32 v36, v92, v129
	v_cndmask_b32_e64 v35, v35, v129, s2
	v_cndmask_b32_e64 v34, v34, v129, s3
	s_waitcnt lgkmcnt(0)
	s_delay_alu instid0(VALU_DEP_2) | instskip(NEXT) | instid1(VALU_DEP_2)
	v_cndmask_b32_e64 v35, v35, v36, s1
	v_cndmask_b32_e32 v36, v34, v36, vcc_lo
	s_delay_alu instid0(VALU_DEP_2) | instskip(NEXT) | instid1(VALU_DEP_2)
	v_cvt_f16_f32_e32 v34, v35
	v_cvt_f16_f32_e32 v37, v36
	s_delay_alu instid0(VALU_DEP_1) | instskip(SKIP_1) | instid1(VALU_DEP_1)
	v_pack_b32_f16 v34, v34, v37
	v_sub_f32_e32 v37, v83, v89
	v_mul_f32_e32 v38, 0x3fb8aa3b, v37
	s_delay_alu instid0(VALU_DEP_1) | instskip(SKIP_1) | instid1(VALU_DEP_1)
	v_fma_f32 v39, 0x3fb8aa3b, v37, -v38
	v_rndne_f32_e32 v40, v38
	v_dual_sub_f32 v38, v38, v40 :: v_dual_fmac_f32 v39, 0x32a5705f, v37
	v_cmp_ngt_f32_e64 s4, 0xc2ce8ed0, v37
	v_cmp_nlt_f32_e64 s5, 0x42b17218, v37
	s_delay_alu instid0(VALU_DEP_3) | instskip(SKIP_1) | instid1(VALU_DEP_2)
	v_add_f32_e32 v38, v38, v39
	v_cvt_i32_f32_e32 v39, v40
	v_exp_f32_e32 v38, v38
	s_waitcnt_depctr 0xfff
	v_ldexp_f32 v38, v38, v39
	s_delay_alu instid0(VALU_DEP_1) | instskip(NEXT) | instid1(VALU_DEP_1)
	v_cndmask_b32_e64 v37, 0, v38, s4
	v_cndmask_b32_e64 v130, 0x7f800000, v37, s5
	ds_bpermute_b32 v37, v92, v130
	v_cndmask_b32_e64 v35, v35, v130, s2
	v_cndmask_b32_e64 v36, v36, v130, s3
	s_waitcnt lgkmcnt(0)
	s_delay_alu instid0(VALU_DEP_2) | instskip(NEXT) | instid1(VALU_DEP_2)
	v_cndmask_b32_e64 v38, v35, v37, s1
	v_cndmask_b32_e32 v36, v36, v37, vcc_lo
	s_delay_alu instid0(VALU_DEP_2) | instskip(NEXT) | instid1(VALU_DEP_2)
	v_cvt_f16_f32_e32 v35, v38
	v_cvt_f16_f32_e32 v37, v36
	s_delay_alu instid0(VALU_DEP_1) | instskip(SKIP_1) | instid1(VALU_DEP_1)
	v_pack_b32_f16 v35, v35, v37
	v_sub_f32_e32 v37, v82, v89
	v_mul_f32_e32 v39, 0x3fb8aa3b, v37
	v_cmp_ngt_f32_e64 s4, 0xc2ce8ed0, v37
	v_cmp_nlt_f32_e64 s5, 0x42b17218, v37
	s_delay_alu instid0(VALU_DEP_3) | instskip(SKIP_1) | instid1(VALU_DEP_2)
	v_fma_f32 v40, 0x3fb8aa3b, v37, -v39
	v_rndne_f32_e32 v41, v39
	v_fmac_f32_e32 v40, 0x32a5705f, v37
	s_delay_alu instid0(VALU_DEP_2) | instskip(NEXT) | instid1(VALU_DEP_1)
	v_sub_f32_e32 v39, v39, v41
	v_add_f32_e32 v39, v39, v40
	v_cvt_i32_f32_e32 v40, v41
	s_delay_alu instid0(VALU_DEP_2) | instskip(SKIP_2) | instid1(VALU_DEP_1)
	v_exp_f32_e32 v39, v39
	s_waitcnt_depctr 0xfff
	v_ldexp_f32 v39, v39, v40
	v_cndmask_b32_e64 v37, 0, v39, s4
	s_delay_alu instid0(VALU_DEP_1) | instskip(NEXT) | instid1(VALU_DEP_1)
	v_cndmask_b32_e64 v131, 0x7f800000, v37, s5
	v_cndmask_b32_e64 v37, v38, v131, s2
	ds_bpermute_b32 v38, v92, v131
	v_cndmask_b32_e64 v36, v36, v131, s3
	s_waitcnt lgkmcnt(0)
	v_cndmask_b32_e64 v37, v37, v38, s1
	s_delay_alu instid0(VALU_DEP_2) | instskip(NEXT) | instid1(VALU_DEP_2)
	v_cndmask_b32_e32 v38, v36, v38, vcc_lo
	v_cvt_f16_f32_e32 v36, v37
	s_delay_alu instid0(VALU_DEP_2) | instskip(NEXT) | instid1(VALU_DEP_1)
	v_cvt_f16_f32_e32 v39, v38
	v_pack_b32_f16 v36, v36, v39
	v_sub_f32_e32 v39, v81, v89
	s_delay_alu instid0(VALU_DEP_1) | instskip(SKIP_2) | instid1(VALU_DEP_3)
	v_mul_f32_e32 v40, 0x3fb8aa3b, v39
	v_cmp_ngt_f32_e64 s4, 0xc2ce8ed0, v39
	v_cmp_nlt_f32_e64 s5, 0x42b17218, v39
	v_fma_f32 v41, 0x3fb8aa3b, v39, -v40
	v_rndne_f32_e32 v42, v40
	s_delay_alu instid0(VALU_DEP_1) | instskip(NEXT) | instid1(VALU_DEP_1)
	v_dual_fmac_f32 v41, 0x32a5705f, v39 :: v_dual_sub_f32 v40, v40, v42
	v_add_f32_e32 v40, v40, v41
	v_cvt_i32_f32_e32 v41, v42
	s_delay_alu instid0(VALU_DEP_2) | instskip(SKIP_2) | instid1(VALU_DEP_1)
	v_exp_f32_e32 v40, v40
	s_waitcnt_depctr 0xfff
	v_ldexp_f32 v40, v40, v41
	v_cndmask_b32_e64 v39, 0, v40, s4
	s_delay_alu instid0(VALU_DEP_1) | instskip(SKIP_4) | instid1(VALU_DEP_2)
	v_cndmask_b32_e64 v132, 0x7f800000, v39, s5
	ds_bpermute_b32 v39, v92, v132
	v_cndmask_b32_e64 v37, v37, v132, s2
	v_cndmask_b32_e64 v38, v38, v132, s3
	s_waitcnt lgkmcnt(0)
	v_cndmask_b32_e64 v40, v37, v39, s1
	s_delay_alu instid0(VALU_DEP_2) | instskip(NEXT) | instid1(VALU_DEP_2)
	v_cndmask_b32_e32 v38, v38, v39, vcc_lo
	v_cvt_f16_f32_e32 v37, v40
	s_delay_alu instid0(VALU_DEP_2) | instskip(NEXT) | instid1(VALU_DEP_1)
	v_cvt_f16_f32_e32 v39, v38
	v_pack_b32_f16 v37, v37, v39
	v_sub_f32_e32 v39, v80, v89
	s_delay_alu instid0(VALU_DEP_1) | instskip(SKIP_2) | instid1(VALU_DEP_3)
	v_mul_f32_e32 v41, 0x3fb8aa3b, v39
	v_cmp_ngt_f32_e64 s4, 0xc2ce8ed0, v39
	v_cmp_nlt_f32_e64 s5, 0x42b17218, v39
	v_fma_f32 v42, 0x3fb8aa3b, v39, -v41
	v_rndne_f32_e32 v43, v41
	s_delay_alu instid0(VALU_DEP_2) | instskip(NEXT) | instid1(VALU_DEP_2)
	v_fmac_f32_e32 v42, 0x32a5705f, v39
	v_sub_f32_e32 v41, v41, v43
	s_delay_alu instid0(VALU_DEP_1) | instskip(SKIP_1) | instid1(VALU_DEP_2)
	v_add_f32_e32 v41, v41, v42
	v_cvt_i32_f32_e32 v42, v43
	v_exp_f32_e32 v41, v41
	s_waitcnt_depctr 0xfff
	v_ldexp_f32 v41, v41, v42
	s_delay_alu instid0(VALU_DEP_1) | instskip(NEXT) | instid1(VALU_DEP_1)
	v_cndmask_b32_e64 v39, 0, v41, s4
	v_cndmask_b32_e64 v133, 0x7f800000, v39, s5
	s_delay_alu instid0(VALU_DEP_1) | instskip(SKIP_4) | instid1(VALU_DEP_2)
	v_cndmask_b32_e64 v39, v40, v133, s2
	ds_bpermute_b32 v40, v92, v133
	v_cndmask_b32_e64 v38, v38, v133, s3
	s_waitcnt lgkmcnt(0)
	v_cndmask_b32_e64 v39, v39, v40, s1
	v_cndmask_b32_e32 v40, v38, v40, vcc_lo
	s_delay_alu instid0(VALU_DEP_2) | instskip(NEXT) | instid1(VALU_DEP_2)
	v_cvt_f16_f32_e32 v38, v39
	v_cvt_f16_f32_e32 v41, v40
	s_delay_alu instid0(VALU_DEP_1) | instskip(SKIP_1) | instid1(VALU_DEP_1)
	v_pack_b32_f16 v38, v38, v41
	v_sub_f32_e32 v41, v79, v89
	v_mul_f32_e32 v42, 0x3fb8aa3b, v41
	v_cmp_ngt_f32_e64 s4, 0xc2ce8ed0, v41
	v_cmp_nlt_f32_e64 s5, 0x42b17218, v41
	s_delay_alu instid0(VALU_DEP_3) | instskip(SKIP_1) | instid1(VALU_DEP_1)
	v_fma_f32 v43, 0x3fb8aa3b, v41, -v42
	v_rndne_f32_e32 v44, v42
	v_dual_fmac_f32 v43, 0x32a5705f, v41 :: v_dual_sub_f32 v42, v42, v44
	s_delay_alu instid0(VALU_DEP_1) | instskip(SKIP_2) | instid1(VALU_DEP_3)
	v_add_f32_e32 v42, v42, v43
	v_cvt_i32_f32_e32 v43, v44
	v_add_nc_u32_e32 v44, 0x3a00, v135
	v_exp_f32_e32 v42, v42
	s_waitcnt_depctr 0xfff
	v_ldexp_f32 v42, v42, v43
	s_delay_alu instid0(VALU_DEP_1) | instskip(SKIP_1) | instid1(VALU_DEP_2)
	v_cndmask_b32_e64 v41, 0, v42, s4
	v_add_nc_u32_e32 v42, 0x3600, v135
	v_cndmask_b32_e64 v134, 0x7f800000, v41, s5
	ds_bpermute_b32 v41, v92, v134
	v_cndmask_b32_e64 v39, v39, v134, s2
	v_cndmask_b32_e64 v40, v40, v134, s3
	s_waitcnt lgkmcnt(0)
	s_delay_alu instid0(VALU_DEP_2) | instskip(NEXT) | instid1(VALU_DEP_2)
	v_cndmask_b32_e64 v39, v39, v41, s1
	v_cndmask_b32_e32 v40, v40, v41, vcc_lo
	s_delay_alu instid0(VALU_DEP_2) | instskip(NEXT) | instid1(VALU_DEP_2)
	v_cvt_f16_f32_e32 v39, v39
	v_cvt_f16_f32_e32 v40, v40
	s_delay_alu instid0(VALU_DEP_1)
	v_pack_b32_f16 v39, v39, v40
	v_add_nc_u32_e32 v40, 0x3200, v135
	ds_load_2addr_b32 v[48:49], v40 offset0:112 offset1:132
	ds_load_2addr_b32 v[52:53], v74 offset0:52 offset1:72
	;; [unrolled: 1-line block ×3, first 2 shown]
	scratch_load_b32 v47, off, off offset:556 ; 4-byte Folded Reload
	s_waitcnt vmcnt(0)
	ds_load_b32 v75, v47 offset:1088
	ds_load_2addr_b32 v[56:57], v42 offset0:60 offset1:148
	ds_load_2addr_b32 v[50:51], v85 offset0:68 offset1:88
	ds_load_2addr_b32 v[60:61], v85 offset0:136 offset1:156
	ds_load_b32 v76, v47 offset:2176
	ds_load_2addr_b32 v[62:63], v44 offset0:76 offset1:164
	ds_load_2addr_b32 v[58:59], v90 offset0:84 offset1:104
	ds_load_2addr_b32 v[64:65], v90 offset0:152 offset1:172
	;; [unrolled: 4-line block ×3, first 2 shown]
	s_waitcnt lgkmcnt(14)
	v_perm_b32 v40, v49, v72, 0x5040100
	s_waitcnt lgkmcnt(12)
	v_perm_b32 v41, v55, v53, 0x5040100
	;; [unrolled: 2-line block ×8, first 2 shown]
	s_delay_alu instid0(VALU_DEP_1)
	v_wmma_f16_16x16x16_f16 v[24:31], v[40:47], v[32:39], v[24:31]
	v_perm_b32 v40, v49, v72, 0x7060302
	v_perm_b32 v42, v57, v75, 0x7060302
	;; [unrolled: 1-line block ×8, first 2 shown]
	ds_load_2addr_b32 v[75:76], v73 offset0:208 offset1:224
	ds_load_2addr_b32 v[77:78], v74 offset0:20 offset1:36
	;; [unrolled: 1-line block ×4, first 2 shown]
	v_wmma_f16_16x16x16_f16 v[24:31], v[40:47], v[32:39], v[24:31] op_sel:[0,0,1]
	scratch_load_b32 v46, off, off offset:588 ; 4-byte Folded Reload
	s_waitcnt vmcnt(0)
	ds_load_b32 v49, v46 offset:1088
	ds_load_2addr_b32 v[71:72], v85 offset0:36 offset1:52
	ds_load_2addr_b32 v[83:84], v85 offset0:104 offset1:120
	ds_load_2addr_b32 v[85:86], v85 offset0:172 offset1:188
	ds_load_b32 v51, v46 offset:2176
	ds_load_2addr_b32 v[73:74], v90 offset0:52 offset1:68
	ds_load_2addr_b32 v[87:88], v90 offset0:120 offset1:136
	ds_load_2addr_b32 v[97:98], v90 offset0:188 offset1:204
	;; [unrolled: 4-line block ×3, first 2 shown]
	s_waitcnt lgkmcnt(14)
	v_perm_b32 v40, v77, v75, 0x5040100
	s_waitcnt lgkmcnt(12)
	v_perm_b32 v41, v81, v79, 0x5040100
	ds_load_b32 v67, v135 offset:17328
	s_waitcnt lgkmcnt(11)
	v_perm_b32 v42, v71, v49, 0x5040100
	s_waitcnt lgkmcnt(9)
	v_perm_b32 v43, v85, v83, 0x5040100
	;; [unrolled: 2-line block ×6, first 2 shown]
	s_delay_alu instid0(VALU_DEP_1)
	v_wmma_f16_16x16x16_f16 v[16:23], v[40:47], v[32:39], v[16:23]
	v_perm_b32 v42, v71, v49, 0x7060302
	v_perm_b32 v44, v73, v51, 0x7060302
	;; [unrolled: 1-line block ×11, first 2 shown]
	s_delay_alu instid0(VALU_DEP_4)
	v_wmma_f16_16x16x16_f16 v[16:23], v[40:47], v[32:39], v[16:23] op_sel:[0,0,1]
	scratch_load_b32 v46, off, off offset:616 ; 4-byte Folded Reload
	v_perm_b32 v40, v78, v76, 0x5040100
	v_perm_b32 v41, v82, v80, 0x5040100
	;; [unrolled: 1-line block ×5, first 2 shown]
	s_waitcnt vmcnt(0)
	ds_load_b32 v55, v46 offset:1088
	ds_load_b32 v57, v46 offset:2176
	;; [unrolled: 1-line block ×3, first 2 shown]
	s_waitcnt lgkmcnt(2)
	v_perm_b32 v42, v72, v55, 0x5040100
	s_waitcnt lgkmcnt(1)
	v_perm_b32 v44, v74, v57, 0x5040100
	s_waitcnt lgkmcnt(0)
	v_perm_b32 v46, v100, v59, 0x5040100
	s_delay_alu instid0(VALU_DEP_1)
	v_wmma_f16_16x16x16_f16 v[8:15], v[40:47], v[32:39], v[8:15]
	scratch_load_b32 v46, off, off offset:632 ; 4-byte Folded Reload
	v_perm_b32 v40, v52, v48, 0x5040100
	v_perm_b32 v41, v56, v54, 0x5040100
	;; [unrolled: 1-line block ×6, first 2 shown]
	s_waitcnt vmcnt(0)
	ds_load_b32 v61, v46 offset:1088
	ds_load_b32 v63, v46 offset:2176
	;; [unrolled: 1-line block ×3, first 2 shown]
	s_waitcnt lgkmcnt(0)
	s_barrier
	buffer_gl0_inv
	v_perm_b32 v42, v50, v61, 0x5040100
	v_perm_b32 v44, v58, v63, 0x5040100
	;; [unrolled: 1-line block ×6, first 2 shown]
	s_delay_alu instid0(VALU_DEP_4)
	v_wmma_f16_16x16x16_f16 v[0:7], v[40:47], v[32:39], v[0:7]
	v_perm_b32 v42, v72, v55, 0x7060302
	v_add_f32_e32 v55, v102, v103
	v_perm_b32 v44, v74, v57, 0x7060302
	v_perm_b32 v40, v78, v76, 0x7060302
	;; [unrolled: 1-line block ×4, first 2 shown]
	v_add_f32_e32 v55, v104, v55
	v_perm_b32 v45, v98, v88, 0x7060302
	v_perm_b32 v47, v96, v94, 0x7060302
	v_perm_b32 v46, v100, v59, 0x7060302
	s_delay_alu instid0(VALU_DEP_4) | instskip(NEXT) | instid1(VALU_DEP_2)
	v_add_f32_e32 v55, v105, v55
	v_wmma_f16_16x16x16_f16 v[8:15], v[40:47], v[32:39], v[8:15] op_sel:[0,0,1]
	s_delay_alu instid0(VALU_DEP_2) | instskip(NEXT) | instid1(VALU_DEP_1)
	v_add_f32_e32 v55, v106, v55
	v_add_f32_e32 v55, v107, v55
	s_delay_alu instid0(VALU_DEP_1) | instskip(NEXT) | instid1(VALU_DEP_1)
	v_add_f32_e32 v55, v108, v55
	v_add_f32_e32 v55, v109, v55
	s_delay_alu instid0(VALU_DEP_1) | instskip(NEXT) | instid1(VALU_DEP_1)
	;; [unrolled: 3-line block ×13, first 2 shown]
	v_add_f32_e32 v55, v133, v55
	v_add_f32_e32 v56, v134, v55
	v_perm_b32 v55, v67, v66, 0x7060302
	s_delay_alu instid0(VALU_DEP_2) | instskip(NEXT) | instid1(VALU_DEP_2)
	v_fmac_f32_e32 v56, v120, v101
	v_wmma_f16_16x16x16_f16 v[0:7], v[48:55], v[32:39], v[0:7] op_sel:[0,0,1]
	ds_bpermute_b32 v57, v92, v56
	s_waitcnt lgkmcnt(0)
	v_add_f32_e32 v32, v56, v57
	s_cbranch_scc1 .LBB25_771
; %bb.770:                              ;   in Loop: Header=BB25_14 Depth=1
	scratch_load_b32 v33, off, off offset:1412 ; 4-byte Folded Reload
	v_max_f32_e32 v34, v89, v89
	s_waitcnt vmcnt(0)
	v_lshlrev_b32_e32 v33, 2, v33
	global_load_b32 v33, v33, s[74:75]
	s_waitcnt vmcnt(0)
	v_max_f32_e32 v35, v33, v33
	s_delay_alu instid0(VALU_DEP_1) | instskip(NEXT) | instid1(VALU_DEP_1)
	v_max_f32_e32 v34, v34, v35
	v_sub_f32_e32 v35, v89, v34
	v_mov_b32_e32 v89, v34
	s_delay_alu instid0(VALU_DEP_2) | instskip(NEXT) | instid1(VALU_DEP_1)
	v_dual_sub_f32 v33, v33, v34 :: v_dual_mul_f32 v36, 0x3fb8aa3b, v35
	v_fma_f32 v37, 0x3fb8aa3b, v35, -v36
	v_rndne_f32_e32 v38, v36
	s_delay_alu instid0(VALU_DEP_1) | instskip(SKIP_1) | instid1(VALU_DEP_2)
	v_dual_fmac_f32 v37, 0x32a5705f, v35 :: v_dual_sub_f32 v36, v36, v38
	v_cvt_i32_f32_e32 v38, v38
	v_add_f32_e32 v36, v36, v37
	v_cmp_ngt_f32_e32 vcc_lo, 0xc2ce8ed0, v35
	s_delay_alu instid0(VALU_DEP_2) | instskip(SKIP_2) | instid1(VALU_DEP_1)
	v_exp_f32_e32 v36, v36
	s_waitcnt_depctr 0xfff
	v_ldexp_f32 v36, v36, v38
	v_dual_mul_f32 v39, 0x3fb8aa3b, v33 :: v_dual_cndmask_b32 v36, 0, v36
	s_delay_alu instid0(VALU_DEP_1) | instskip(SKIP_2) | instid1(VALU_DEP_2)
	v_fma_f32 v40, 0x3fb8aa3b, v33, -v39
	v_rndne_f32_e32 v41, v39
	v_cmp_nlt_f32_e32 vcc_lo, 0x42b17218, v35
	v_dual_sub_f32 v37, v39, v41 :: v_dual_cndmask_b32 v36, 0x7f800000, v36
	s_delay_alu instid0(VALU_DEP_4) | instskip(SKIP_2) | instid1(VALU_DEP_3)
	v_fmac_f32_e32 v40, 0x32a5705f, v33
	v_cvt_i32_f32_e32 v38, v41
	v_cmp_ngt_f32_e32 vcc_lo, 0xc2ce8ed0, v33
	v_add_f32_e32 v37, v37, v40
	s_delay_alu instid0(VALU_DEP_1) | instskip(SKIP_2) | instid1(VALU_DEP_1)
	v_exp_f32_e32 v37, v37
	s_waitcnt_depctr 0xfff
	v_ldexp_f32 v37, v37, v38
	v_cndmask_b32_e32 v37, 0, v37, vcc_lo
	v_cmp_le_f32_e32 vcc_lo, 0xc1a00000, v35
	v_cndmask_b32_e32 v35, 0, v36, vcc_lo
	v_cmp_nlt_f32_e32 vcc_lo, 0x42b17218, v33
	s_delay_alu instid0(VALU_DEP_2) | instskip(SKIP_1) | instid1(VALU_DEP_2)
	v_cvt_f16_f32_e32 v36, v35
	v_cndmask_b32_e32 v33, 0x7f800000, v37, vcc_lo
	v_pk_mul_f16 v24, v36, v24 op_sel_hi:[0,1]
	s_delay_alu instid0(VALU_DEP_2)
	v_fmac_f32_e32 v33, v32, v35
	v_pk_mul_f16 v25, v36, v25 op_sel_hi:[0,1]
	v_pk_mul_f16 v26, v36, v26 op_sel_hi:[0,1]
	;; [unrolled: 1-line block ×4, first 2 shown]
	v_mov_b32_e32 v32, v33
	v_pk_mul_f16 v29, v36, v29 op_sel_hi:[0,1]
	v_pk_mul_f16 v30, v36, v30 op_sel_hi:[0,1]
	;; [unrolled: 1-line block ×27, first 2 shown]
.LBB25_771:                             ;   in Loop: Header=BB25_14 Depth=1
	s_mov_b32 s1, exec_lo
	v_readlane_b32 s2, v255, 16
	s_delay_alu instid0(VALU_DEP_1) | instskip(NEXT) | instid1(SALU_CYCLE_1)
	s_and_b32 s2, s1, s2
	s_mov_b32 exec_lo, s2
	s_cbranch_execz .LBB25_773
; %bb.772:                              ;   in Loop: Header=BB25_14 Depth=1
	scratch_load_b32 v33, off, off offset:1440 ; 4-byte Folded Reload
	s_waitcnt vmcnt(0)
	ds_store_2addr_b32 v33, v89, v32 offset0:64 offset1:65
.LBB25_773:                             ;   in Loop: Header=BB25_14 Depth=1
	s_or_b32 exec_lo, exec_lo, s1
	s_waitcnt lgkmcnt(0)
	s_barrier
	buffer_gl0_inv
	scratch_load_b32 v32, off, off offset:1316 ; 4-byte Folded Reload
	s_waitcnt vmcnt(0)
	ds_store_2addr_b32 v32, v24, v25 offset1:2
	ds_store_2addr_b32 v32, v26, v27 offset0:4 offset1:6
	ds_store_2addr_b32 v32, v28, v29 offset0:8 offset1:10
	;; [unrolled: 1-line block ×14, first 2 shown]
	v_mov_b32_e32 v0, 50
	ds_store_2addr_b32 v32, v6, v7 offset0:60 offset1:62
	s_waitcnt lgkmcnt(0)
	s_barrier
	buffer_gl0_inv
	s_and_saveexec_b32 s1, s34
	s_cbranch_execz .LBB25_775
; %bb.774:                              ;   in Loop: Header=BB25_14 Depth=1
	scratch_load_b32 v0, off, off offset:1420 ; 4-byte Folded Reload
	s_waitcnt vmcnt(0)
	ds_load_b32 v5, v0 offset:260
	s_clause 0x1
	scratch_load_b64 v[2:3], off, off offset:1196
	scratch_load_b32 v4, off, off offset:1324
	s_waitcnt vmcnt(0)
	v_mad_u64_u32 v[0:1], null, v4, s9, v[2:3]
	scratch_load_b32 v1, off, off offset:1320 ; 4-byte Folded Reload
	s_waitcnt vmcnt(0)
	ds_load_2addr_b32 v[1:2], v1 offset1:32
	s_waitcnt lgkmcnt(0)
	v_cvt_f32_f16_e32 v3, v1
	v_lshrrev_b32_e32 v1, 16, v1
	s_delay_alu instid0(VALU_DEP_2) | instskip(NEXT) | instid1(VALU_DEP_2)
	v_add_f32_e32 v3, 0, v3
	v_cvt_f32_f16_e32 v1, v1
	s_delay_alu instid0(VALU_DEP_2) | instskip(NEXT) | instid1(VALU_DEP_1)
	v_div_scale_f32 v4, null, v5, v5, v3
	v_rcp_f32_e32 v6, v4
	s_waitcnt_depctr 0xfff
	v_fma_f32 v7, -v4, v6, 1.0
	s_delay_alu instid0(VALU_DEP_1) | instskip(SKIP_1) | instid1(VALU_DEP_1)
	v_fmac_f32_e32 v6, v7, v6
	v_div_scale_f32 v7, vcc_lo, v3, v5, v3
	v_dual_add_f32 v1, 0, v1 :: v_dual_mul_f32 v8, v7, v6
	s_delay_alu instid0(VALU_DEP_1) | instskip(NEXT) | instid1(VALU_DEP_1)
	v_fma_f32 v9, -v4, v8, v7
	v_fmac_f32_e32 v8, v9, v6
	s_delay_alu instid0(VALU_DEP_1) | instskip(NEXT) | instid1(VALU_DEP_1)
	v_fma_f32 v4, -v4, v8, v7
	v_div_fmas_f32 v4, v4, v6, v8
	s_delay_alu instid0(VALU_DEP_1) | instskip(SKIP_1) | instid1(VALU_DEP_1)
	v_div_fixup_f32 v3, v4, v5, v3
	v_div_scale_f32 v4, null, v5, v5, v1
	v_rcp_f32_e32 v6, v4
	s_waitcnt_depctr 0xfff
	v_fma_f32 v7, -v4, v6, 1.0
	s_delay_alu instid0(VALU_DEP_1) | instskip(SKIP_1) | instid1(VALU_DEP_1)
	v_fmac_f32_e32 v6, v7, v6
	v_div_scale_f32 v7, vcc_lo, v1, v5, v1
	v_mul_f32_e32 v8, v7, v6
	s_delay_alu instid0(VALU_DEP_1) | instskip(NEXT) | instid1(VALU_DEP_1)
	v_fma_f32 v9, -v4, v8, v7
	v_fmac_f32_e32 v8, v9, v6
	s_delay_alu instid0(VALU_DEP_1) | instskip(NEXT) | instid1(VALU_DEP_1)
	v_fma_f32 v4, -v4, v8, v7
	v_div_fmas_f32 v4, v4, v6, v8
	s_delay_alu instid0(VALU_DEP_1) | instskip(SKIP_3) | instid1(VALU_DEP_1)
	v_div_fixup_f32 v4, v4, v5, v1
	scratch_load_b32 v1, off, off offset:1048 ; 4-byte Folded Reload
	s_waitcnt vmcnt(0)
	v_lshl_add_u32 v0, v0, 6, v1
	v_ashrrev_i32_e32 v1, 31, v0
	s_delay_alu instid0(VALU_DEP_1) | instskip(NEXT) | instid1(VALU_DEP_1)
	v_lshlrev_b64 v[0:1], 3, v[0:1]
	v_add_co_u32 v0, vcc_lo, s69, v0
	s_delay_alu instid0(VALU_DEP_2) | instskip(SKIP_3) | instid1(VALU_DEP_2)
	v_add_co_ci_u32_e32 v1, vcc_lo, s98, v1, vcc_lo
	global_store_b64 v[0:1], v[3:4], off
	v_cvt_f32_f16_e32 v3, v2
	v_lshrrev_b32_e32 v2, 16, v2
	v_add_f32_e32 v3, 0, v3
	s_delay_alu instid0(VALU_DEP_2) | instskip(NEXT) | instid1(VALU_DEP_1)
	v_cvt_f32_f16_e32 v2, v2
	v_add_f32_e32 v4, 0, v2
	s_delay_alu instid0(VALU_DEP_3) | instskip(NEXT) | instid1(VALU_DEP_1)
	v_div_scale_f32 v2, null, v5, v5, v3
	v_rcp_f32_e32 v6, v2
	s_waitcnt_depctr 0xfff
	v_fma_f32 v7, -v2, v6, 1.0
	s_delay_alu instid0(VALU_DEP_1) | instskip(SKIP_1) | instid1(VALU_DEP_1)
	v_fmac_f32_e32 v6, v7, v6
	v_div_scale_f32 v7, vcc_lo, v3, v5, v3
	v_mul_f32_e32 v8, v7, v6
	s_delay_alu instid0(VALU_DEP_1) | instskip(NEXT) | instid1(VALU_DEP_1)
	v_fma_f32 v9, -v2, v8, v7
	v_fmac_f32_e32 v8, v9, v6
	s_delay_alu instid0(VALU_DEP_1) | instskip(NEXT) | instid1(VALU_DEP_1)
	v_fma_f32 v2, -v2, v8, v7
	v_div_fmas_f32 v2, v2, v6, v8
	s_delay_alu instid0(VALU_DEP_1) | instskip(SKIP_1) | instid1(VALU_DEP_1)
	v_div_fixup_f32 v2, v2, v5, v3
	v_div_scale_f32 v3, null, v5, v5, v4
	v_rcp_f32_e32 v6, v3
	s_waitcnt_depctr 0xfff
	v_fma_f32 v7, -v3, v6, 1.0
	s_delay_alu instid0(VALU_DEP_1) | instskip(SKIP_1) | instid1(VALU_DEP_1)
	v_fmac_f32_e32 v6, v7, v6
	v_div_scale_f32 v7, vcc_lo, v4, v5, v4
	v_mul_f32_e32 v8, v7, v6
	s_delay_alu instid0(VALU_DEP_1) | instskip(NEXT) | instid1(VALU_DEP_1)
	v_fma_f32 v9, -v3, v8, v7
	v_fmac_f32_e32 v8, v9, v6
	s_delay_alu instid0(VALU_DEP_1) | instskip(NEXT) | instid1(VALU_DEP_1)
	v_fma_f32 v3, -v3, v8, v7
	v_div_fmas_f32 v3, v3, v6, v8
	s_delay_alu instid0(VALU_DEP_1)
	v_div_fixup_f32 v3, v3, v5, v4
	global_store_b64 v[0:1], v[2:3], off offset:256
	v_mov_b32_e32 v0, 0
.LBB25_775:                             ;   in Loop: Header=BB25_14 Depth=1
	s_or_b32 exec_lo, exec_lo, s1
	s_mov_b32 s2, -1
	s_mov_b32 s1, exec_lo
	s_delay_alu instid0(VALU_DEP_1)
	v_cmpx_gt_i32_e32 50, v0
; %bb.776:                              ;   in Loop: Header=BB25_14 Depth=1
	v_cmp_eq_u32_e32 vcc_lo, 0, v0
	s_or_not1_b32 s2, vcc_lo, exec_lo
; %bb.777:                              ;   in Loop: Header=BB25_14 Depth=1
	s_or_b32 exec_lo, exec_lo, s1
                                        ; implicit-def: $vgpr1
                                        ; implicit-def: $vgpr2
	s_and_saveexec_b32 s1, s2
	s_cbranch_execz .LBB25_865
; %bb.778:                              ;   in Loop: Header=BB25_14 Depth=1
	v_mov_b32_e32 v0, 50
	s_and_saveexec_b32 s2, s76
	s_cbranch_execz .LBB25_780
; %bb.779:                              ;   in Loop: Header=BB25_14 Depth=1
	scratch_load_b32 v0, off, off offset:1420 ; 4-byte Folded Reload
	s_waitcnt vmcnt(0)
	ds_load_b32 v5, v0 offset:1348
	s_clause 0x1
	scratch_load_b64 v[2:3], off, off offset:1196
	scratch_load_b32 v4, off, off offset:1360
	s_waitcnt vmcnt(0)
	v_mad_u64_u32 v[0:1], null, v4, s9, v[2:3]
	scratch_load_b32 v1, off, off offset:1212 ; 4-byte Folded Reload
	s_waitcnt vmcnt(0)
	ds_load_2addr_b32 v[1:2], v1 offset1:32
	s_waitcnt lgkmcnt(0)
	v_cvt_f32_f16_e32 v3, v1
	v_lshrrev_b32_e32 v1, 16, v1
	s_delay_alu instid0(VALU_DEP_2) | instskip(NEXT) | instid1(VALU_DEP_2)
	v_add_f32_e32 v3, 0, v3
	v_cvt_f32_f16_e32 v1, v1
	s_delay_alu instid0(VALU_DEP_2) | instskip(NEXT) | instid1(VALU_DEP_1)
	v_div_scale_f32 v4, null, v5, v5, v3
	v_rcp_f32_e32 v6, v4
	s_waitcnt_depctr 0xfff
	v_fma_f32 v7, -v4, v6, 1.0
	s_delay_alu instid0(VALU_DEP_1) | instskip(SKIP_1) | instid1(VALU_DEP_1)
	v_fmac_f32_e32 v6, v7, v6
	v_div_scale_f32 v7, vcc_lo, v3, v5, v3
	v_dual_add_f32 v1, 0, v1 :: v_dual_mul_f32 v8, v7, v6
	s_delay_alu instid0(VALU_DEP_1) | instskip(NEXT) | instid1(VALU_DEP_1)
	v_fma_f32 v9, -v4, v8, v7
	v_fmac_f32_e32 v8, v9, v6
	s_delay_alu instid0(VALU_DEP_1) | instskip(NEXT) | instid1(VALU_DEP_1)
	v_fma_f32 v4, -v4, v8, v7
	v_div_fmas_f32 v4, v4, v6, v8
	s_delay_alu instid0(VALU_DEP_1) | instskip(SKIP_1) | instid1(VALU_DEP_1)
	v_div_fixup_f32 v3, v4, v5, v3
	v_div_scale_f32 v4, null, v5, v5, v1
	v_rcp_f32_e32 v6, v4
	s_waitcnt_depctr 0xfff
	v_fma_f32 v7, -v4, v6, 1.0
	s_delay_alu instid0(VALU_DEP_1) | instskip(SKIP_1) | instid1(VALU_DEP_1)
	v_fmac_f32_e32 v6, v7, v6
	v_div_scale_f32 v7, vcc_lo, v1, v5, v1
	v_mul_f32_e32 v8, v7, v6
	s_delay_alu instid0(VALU_DEP_1) | instskip(NEXT) | instid1(VALU_DEP_1)
	v_fma_f32 v9, -v4, v8, v7
	v_fmac_f32_e32 v8, v9, v6
	s_delay_alu instid0(VALU_DEP_1) | instskip(NEXT) | instid1(VALU_DEP_1)
	v_fma_f32 v4, -v4, v8, v7
	v_div_fmas_f32 v4, v4, v6, v8
	s_delay_alu instid0(VALU_DEP_1) | instskip(SKIP_3) | instid1(VALU_DEP_1)
	v_div_fixup_f32 v4, v4, v5, v1
	scratch_load_b32 v1, off, off offset:1048 ; 4-byte Folded Reload
	s_waitcnt vmcnt(0)
	v_lshl_add_u32 v0, v0, 6, v1
	v_ashrrev_i32_e32 v1, 31, v0
	s_delay_alu instid0(VALU_DEP_1) | instskip(NEXT) | instid1(VALU_DEP_1)
	v_lshlrev_b64 v[0:1], 3, v[0:1]
	v_add_co_u32 v0, vcc_lo, s69, v0
	s_delay_alu instid0(VALU_DEP_2) | instskip(SKIP_3) | instid1(VALU_DEP_2)
	v_add_co_ci_u32_e32 v1, vcc_lo, s98, v1, vcc_lo
	global_store_b64 v[0:1], v[3:4], off
	v_cvt_f32_f16_e32 v3, v2
	v_lshrrev_b32_e32 v2, 16, v2
	v_add_f32_e32 v3, 0, v3
	s_delay_alu instid0(VALU_DEP_2) | instskip(NEXT) | instid1(VALU_DEP_1)
	v_cvt_f32_f16_e32 v2, v2
	v_add_f32_e32 v4, 0, v2
	s_delay_alu instid0(VALU_DEP_3) | instskip(NEXT) | instid1(VALU_DEP_1)
	v_div_scale_f32 v2, null, v5, v5, v3
	v_rcp_f32_e32 v6, v2
	s_waitcnt_depctr 0xfff
	v_fma_f32 v7, -v2, v6, 1.0
	s_delay_alu instid0(VALU_DEP_1) | instskip(SKIP_1) | instid1(VALU_DEP_1)
	v_fmac_f32_e32 v6, v7, v6
	v_div_scale_f32 v7, vcc_lo, v3, v5, v3
	v_mul_f32_e32 v8, v7, v6
	s_delay_alu instid0(VALU_DEP_1) | instskip(NEXT) | instid1(VALU_DEP_1)
	v_fma_f32 v9, -v2, v8, v7
	v_fmac_f32_e32 v8, v9, v6
	s_delay_alu instid0(VALU_DEP_1) | instskip(NEXT) | instid1(VALU_DEP_1)
	v_fma_f32 v2, -v2, v8, v7
	v_div_fmas_f32 v2, v2, v6, v8
	s_delay_alu instid0(VALU_DEP_1) | instskip(SKIP_1) | instid1(VALU_DEP_1)
	v_div_fixup_f32 v2, v2, v5, v3
	v_div_scale_f32 v3, null, v5, v5, v4
	v_rcp_f32_e32 v6, v3
	s_waitcnt_depctr 0xfff
	v_fma_f32 v7, -v3, v6, 1.0
	s_delay_alu instid0(VALU_DEP_1) | instskip(SKIP_1) | instid1(VALU_DEP_1)
	v_fmac_f32_e32 v6, v7, v6
	v_div_scale_f32 v7, vcc_lo, v4, v5, v4
	v_mul_f32_e32 v8, v7, v6
	s_delay_alu instid0(VALU_DEP_1) | instskip(NEXT) | instid1(VALU_DEP_1)
	v_fma_f32 v9, -v3, v8, v7
	v_fmac_f32_e32 v8, v9, v6
	s_delay_alu instid0(VALU_DEP_1) | instskip(NEXT) | instid1(VALU_DEP_1)
	v_fma_f32 v3, -v3, v8, v7
	v_div_fmas_f32 v3, v3, v6, v8
	s_delay_alu instid0(VALU_DEP_1)
	v_div_fixup_f32 v3, v3, v5, v4
	global_store_b64 v[0:1], v[2:3], off offset:256
	v_mov_b32_e32 v0, 0
.LBB25_780:                             ;   in Loop: Header=BB25_14 Depth=1
	s_or_b32 exec_lo, exec_lo, s2
	s_mov_b32 s4, -1
	s_mov_b32 s2, exec_lo
	s_delay_alu instid0(VALU_DEP_1)
	v_cmpx_gt_i32_e32 50, v0
; %bb.781:                              ;   in Loop: Header=BB25_14 Depth=1
	v_cmp_eq_u32_e32 vcc_lo, 0, v0
	s_or_not1_b32 s4, vcc_lo, exec_lo
; %bb.782:                              ;   in Loop: Header=BB25_14 Depth=1
	s_or_b32 exec_lo, exec_lo, s2
	s_mov_b32 s3, s77
                                        ; implicit-def: $vgpr1
                                        ; implicit-def: $vgpr2
	s_and_saveexec_b32 s2, s4
	s_cbranch_execz .LBB25_864
; %bb.783:                              ;   in Loop: Header=BB25_14 Depth=1
	v_mov_b32_e32 v0, 50
	s_and_saveexec_b32 s3, s0
	s_cbranch_execz .LBB25_785
; %bb.784:                              ;   in Loop: Header=BB25_14 Depth=1
	scratch_load_b32 v0, off, off offset:1420 ; 4-byte Folded Reload
	s_waitcnt vmcnt(0)
	ds_load_b32 v5, v0 offset:2436
	s_clause 0x1
	scratch_load_b64 v[2:3], off, off offset:1196
	scratch_load_b32 v4, off, off offset:1364
	s_waitcnt vmcnt(0)
	v_mad_u64_u32 v[0:1], null, v4, s9, v[2:3]
	scratch_load_b32 v1, off, off offset:1216 ; 4-byte Folded Reload
	s_waitcnt vmcnt(0)
	ds_load_2addr_b32 v[1:2], v1 offset1:32
	s_waitcnt lgkmcnt(0)
	v_cvt_f32_f16_e32 v3, v1
	v_lshrrev_b32_e32 v1, 16, v1
	s_delay_alu instid0(VALU_DEP_2) | instskip(NEXT) | instid1(VALU_DEP_2)
	v_add_f32_e32 v3, 0, v3
	v_cvt_f32_f16_e32 v1, v1
	s_delay_alu instid0(VALU_DEP_2) | instskip(NEXT) | instid1(VALU_DEP_1)
	v_div_scale_f32 v4, null, v5, v5, v3
	v_rcp_f32_e32 v6, v4
	s_waitcnt_depctr 0xfff
	v_fma_f32 v7, -v4, v6, 1.0
	s_delay_alu instid0(VALU_DEP_1) | instskip(SKIP_1) | instid1(VALU_DEP_1)
	v_fmac_f32_e32 v6, v7, v6
	v_div_scale_f32 v7, vcc_lo, v3, v5, v3
	v_dual_add_f32 v1, 0, v1 :: v_dual_mul_f32 v8, v7, v6
	s_delay_alu instid0(VALU_DEP_1) | instskip(NEXT) | instid1(VALU_DEP_1)
	v_fma_f32 v9, -v4, v8, v7
	v_fmac_f32_e32 v8, v9, v6
	s_delay_alu instid0(VALU_DEP_1) | instskip(NEXT) | instid1(VALU_DEP_1)
	v_fma_f32 v4, -v4, v8, v7
	v_div_fmas_f32 v4, v4, v6, v8
	s_delay_alu instid0(VALU_DEP_1) | instskip(SKIP_1) | instid1(VALU_DEP_1)
	v_div_fixup_f32 v3, v4, v5, v3
	v_div_scale_f32 v4, null, v5, v5, v1
	v_rcp_f32_e32 v6, v4
	s_waitcnt_depctr 0xfff
	v_fma_f32 v7, -v4, v6, 1.0
	s_delay_alu instid0(VALU_DEP_1) | instskip(SKIP_1) | instid1(VALU_DEP_1)
	v_fmac_f32_e32 v6, v7, v6
	v_div_scale_f32 v7, vcc_lo, v1, v5, v1
	v_mul_f32_e32 v8, v7, v6
	s_delay_alu instid0(VALU_DEP_1) | instskip(NEXT) | instid1(VALU_DEP_1)
	v_fma_f32 v9, -v4, v8, v7
	v_fmac_f32_e32 v8, v9, v6
	s_delay_alu instid0(VALU_DEP_1) | instskip(NEXT) | instid1(VALU_DEP_1)
	v_fma_f32 v4, -v4, v8, v7
	v_div_fmas_f32 v4, v4, v6, v8
	s_delay_alu instid0(VALU_DEP_1) | instskip(SKIP_3) | instid1(VALU_DEP_1)
	v_div_fixup_f32 v4, v4, v5, v1
	scratch_load_b32 v1, off, off offset:1048 ; 4-byte Folded Reload
	s_waitcnt vmcnt(0)
	v_lshl_add_u32 v0, v0, 6, v1
	v_ashrrev_i32_e32 v1, 31, v0
	s_delay_alu instid0(VALU_DEP_1) | instskip(NEXT) | instid1(VALU_DEP_1)
	v_lshlrev_b64 v[0:1], 3, v[0:1]
	v_add_co_u32 v0, vcc_lo, s69, v0
	s_delay_alu instid0(VALU_DEP_2) | instskip(SKIP_3) | instid1(VALU_DEP_2)
	v_add_co_ci_u32_e32 v1, vcc_lo, s98, v1, vcc_lo
	global_store_b64 v[0:1], v[3:4], off
	v_cvt_f32_f16_e32 v3, v2
	v_lshrrev_b32_e32 v2, 16, v2
	v_add_f32_e32 v3, 0, v3
	s_delay_alu instid0(VALU_DEP_2) | instskip(NEXT) | instid1(VALU_DEP_1)
	v_cvt_f32_f16_e32 v2, v2
	v_add_f32_e32 v4, 0, v2
	s_delay_alu instid0(VALU_DEP_3) | instskip(NEXT) | instid1(VALU_DEP_1)
	v_div_scale_f32 v2, null, v5, v5, v3
	v_rcp_f32_e32 v6, v2
	s_waitcnt_depctr 0xfff
	v_fma_f32 v7, -v2, v6, 1.0
	s_delay_alu instid0(VALU_DEP_1) | instskip(SKIP_1) | instid1(VALU_DEP_1)
	v_fmac_f32_e32 v6, v7, v6
	v_div_scale_f32 v7, vcc_lo, v3, v5, v3
	v_mul_f32_e32 v8, v7, v6
	s_delay_alu instid0(VALU_DEP_1) | instskip(NEXT) | instid1(VALU_DEP_1)
	v_fma_f32 v9, -v2, v8, v7
	v_fmac_f32_e32 v8, v9, v6
	s_delay_alu instid0(VALU_DEP_1) | instskip(NEXT) | instid1(VALU_DEP_1)
	v_fma_f32 v2, -v2, v8, v7
	v_div_fmas_f32 v2, v2, v6, v8
	s_delay_alu instid0(VALU_DEP_1) | instskip(SKIP_1) | instid1(VALU_DEP_1)
	v_div_fixup_f32 v2, v2, v5, v3
	v_div_scale_f32 v3, null, v5, v5, v4
	v_rcp_f32_e32 v6, v3
	s_waitcnt_depctr 0xfff
	v_fma_f32 v7, -v3, v6, 1.0
	s_delay_alu instid0(VALU_DEP_1) | instskip(SKIP_1) | instid1(VALU_DEP_1)
	v_fmac_f32_e32 v6, v7, v6
	v_div_scale_f32 v7, vcc_lo, v4, v5, v4
	v_mul_f32_e32 v8, v7, v6
	s_delay_alu instid0(VALU_DEP_1) | instskip(NEXT) | instid1(VALU_DEP_1)
	v_fma_f32 v9, -v3, v8, v7
	v_fmac_f32_e32 v8, v9, v6
	s_delay_alu instid0(VALU_DEP_1) | instskip(NEXT) | instid1(VALU_DEP_1)
	v_fma_f32 v3, -v3, v8, v7
	v_div_fmas_f32 v3, v3, v6, v8
	s_delay_alu instid0(VALU_DEP_1)
	v_div_fixup_f32 v3, v3, v5, v4
	global_store_b64 v[0:1], v[2:3], off offset:256
	v_mov_b32_e32 v0, 0
.LBB25_785:                             ;   in Loop: Header=BB25_14 Depth=1
	s_or_b32 exec_lo, exec_lo, s3
	s_mov_b32 s4, -1
	s_mov_b32 s0, exec_lo
	s_delay_alu instid0(VALU_DEP_1)
	v_cmpx_gt_i32_e32 50, v0
; %bb.786:                              ;   in Loop: Header=BB25_14 Depth=1
	v_cmp_eq_u32_e32 vcc_lo, 0, v0
	s_or_not1_b32 s4, vcc_lo, exec_lo
; %bb.787:                              ;   in Loop: Header=BB25_14 Depth=1
	s_or_b32 exec_lo, exec_lo, s0
	s_mov_b32 s3, s77
                                        ; implicit-def: $vgpr1
                                        ; implicit-def: $vgpr2
	s_and_saveexec_b32 s0, s4
	s_cbranch_execz .LBB25_863
; %bb.788:                              ;   in Loop: Header=BB25_14 Depth=1
	v_mov_b32_e32 v0, 50
	s_and_saveexec_b32 s3, s85
	s_cbranch_execz .LBB25_790
; %bb.789:                              ;   in Loop: Header=BB25_14 Depth=1
	scratch_load_b32 v0, off, off offset:1420 ; 4-byte Folded Reload
	s_waitcnt vmcnt(0)
	ds_load_b32 v5, v0 offset:3524
	s_clause 0x1
	scratch_load_b64 v[2:3], off, off offset:1196
	scratch_load_b32 v4, off, off offset:1368
	s_waitcnt vmcnt(0)
	v_mad_u64_u32 v[0:1], null, v4, s9, v[2:3]
	scratch_load_b32 v1, off, off offset:1220 ; 4-byte Folded Reload
	s_waitcnt vmcnt(0)
	ds_load_2addr_b32 v[1:2], v1 offset1:32
	s_waitcnt lgkmcnt(0)
	v_cvt_f32_f16_e32 v3, v1
	v_lshrrev_b32_e32 v1, 16, v1
	s_delay_alu instid0(VALU_DEP_2) | instskip(NEXT) | instid1(VALU_DEP_2)
	v_add_f32_e32 v3, 0, v3
	v_cvt_f32_f16_e32 v1, v1
	s_delay_alu instid0(VALU_DEP_2) | instskip(NEXT) | instid1(VALU_DEP_1)
	v_div_scale_f32 v4, null, v5, v5, v3
	v_rcp_f32_e32 v6, v4
	s_waitcnt_depctr 0xfff
	v_fma_f32 v7, -v4, v6, 1.0
	s_delay_alu instid0(VALU_DEP_1) | instskip(SKIP_1) | instid1(VALU_DEP_1)
	v_fmac_f32_e32 v6, v7, v6
	v_div_scale_f32 v7, vcc_lo, v3, v5, v3
	v_dual_add_f32 v1, 0, v1 :: v_dual_mul_f32 v8, v7, v6
	s_delay_alu instid0(VALU_DEP_1) | instskip(NEXT) | instid1(VALU_DEP_1)
	v_fma_f32 v9, -v4, v8, v7
	v_fmac_f32_e32 v8, v9, v6
	s_delay_alu instid0(VALU_DEP_1) | instskip(NEXT) | instid1(VALU_DEP_1)
	v_fma_f32 v4, -v4, v8, v7
	v_div_fmas_f32 v4, v4, v6, v8
	s_delay_alu instid0(VALU_DEP_1) | instskip(SKIP_1) | instid1(VALU_DEP_1)
	v_div_fixup_f32 v3, v4, v5, v3
	v_div_scale_f32 v4, null, v5, v5, v1
	v_rcp_f32_e32 v6, v4
	s_waitcnt_depctr 0xfff
	v_fma_f32 v7, -v4, v6, 1.0
	s_delay_alu instid0(VALU_DEP_1) | instskip(SKIP_1) | instid1(VALU_DEP_1)
	v_fmac_f32_e32 v6, v7, v6
	v_div_scale_f32 v7, vcc_lo, v1, v5, v1
	v_mul_f32_e32 v8, v7, v6
	s_delay_alu instid0(VALU_DEP_1) | instskip(NEXT) | instid1(VALU_DEP_1)
	v_fma_f32 v9, -v4, v8, v7
	v_fmac_f32_e32 v8, v9, v6
	s_delay_alu instid0(VALU_DEP_1) | instskip(NEXT) | instid1(VALU_DEP_1)
	v_fma_f32 v4, -v4, v8, v7
	v_div_fmas_f32 v4, v4, v6, v8
	s_delay_alu instid0(VALU_DEP_1) | instskip(SKIP_3) | instid1(VALU_DEP_1)
	v_div_fixup_f32 v4, v4, v5, v1
	scratch_load_b32 v1, off, off offset:1048 ; 4-byte Folded Reload
	s_waitcnt vmcnt(0)
	v_lshl_add_u32 v0, v0, 6, v1
	v_ashrrev_i32_e32 v1, 31, v0
	s_delay_alu instid0(VALU_DEP_1) | instskip(NEXT) | instid1(VALU_DEP_1)
	v_lshlrev_b64 v[0:1], 3, v[0:1]
	v_add_co_u32 v0, vcc_lo, s69, v0
	s_delay_alu instid0(VALU_DEP_2) | instskip(SKIP_3) | instid1(VALU_DEP_2)
	v_add_co_ci_u32_e32 v1, vcc_lo, s98, v1, vcc_lo
	global_store_b64 v[0:1], v[3:4], off
	v_cvt_f32_f16_e32 v3, v2
	v_lshrrev_b32_e32 v2, 16, v2
	v_add_f32_e32 v3, 0, v3
	s_delay_alu instid0(VALU_DEP_2) | instskip(NEXT) | instid1(VALU_DEP_1)
	v_cvt_f32_f16_e32 v2, v2
	v_add_f32_e32 v4, 0, v2
	s_delay_alu instid0(VALU_DEP_3) | instskip(NEXT) | instid1(VALU_DEP_1)
	v_div_scale_f32 v2, null, v5, v5, v3
	v_rcp_f32_e32 v6, v2
	s_waitcnt_depctr 0xfff
	v_fma_f32 v7, -v2, v6, 1.0
	s_delay_alu instid0(VALU_DEP_1) | instskip(SKIP_1) | instid1(VALU_DEP_1)
	v_fmac_f32_e32 v6, v7, v6
	v_div_scale_f32 v7, vcc_lo, v3, v5, v3
	v_mul_f32_e32 v8, v7, v6
	s_delay_alu instid0(VALU_DEP_1) | instskip(NEXT) | instid1(VALU_DEP_1)
	v_fma_f32 v9, -v2, v8, v7
	v_fmac_f32_e32 v8, v9, v6
	s_delay_alu instid0(VALU_DEP_1) | instskip(NEXT) | instid1(VALU_DEP_1)
	v_fma_f32 v2, -v2, v8, v7
	v_div_fmas_f32 v2, v2, v6, v8
	s_delay_alu instid0(VALU_DEP_1) | instskip(SKIP_1) | instid1(VALU_DEP_1)
	v_div_fixup_f32 v2, v2, v5, v3
	v_div_scale_f32 v3, null, v5, v5, v4
	v_rcp_f32_e32 v6, v3
	s_waitcnt_depctr 0xfff
	v_fma_f32 v7, -v3, v6, 1.0
	s_delay_alu instid0(VALU_DEP_1) | instskip(SKIP_1) | instid1(VALU_DEP_1)
	v_fmac_f32_e32 v6, v7, v6
	v_div_scale_f32 v7, vcc_lo, v4, v5, v4
	v_mul_f32_e32 v8, v7, v6
	s_delay_alu instid0(VALU_DEP_1) | instskip(NEXT) | instid1(VALU_DEP_1)
	v_fma_f32 v9, -v3, v8, v7
	v_fmac_f32_e32 v8, v9, v6
	s_delay_alu instid0(VALU_DEP_1) | instskip(NEXT) | instid1(VALU_DEP_1)
	v_fma_f32 v3, -v3, v8, v7
	v_div_fmas_f32 v3, v3, v6, v8
	s_delay_alu instid0(VALU_DEP_1)
	v_div_fixup_f32 v3, v3, v5, v4
	global_store_b64 v[0:1], v[2:3], off offset:256
	v_mov_b32_e32 v0, 0
.LBB25_790:                             ;   in Loop: Header=BB25_14 Depth=1
	s_or_b32 exec_lo, exec_lo, s3
	s_mov_b32 s5, -1
	s_mov_b32 s3, exec_lo
	s_delay_alu instid0(VALU_DEP_1)
	v_cmpx_gt_i32_e32 50, v0
; %bb.791:                              ;   in Loop: Header=BB25_14 Depth=1
	v_cmp_eq_u32_e32 vcc_lo, 0, v0
	s_or_not1_b32 s5, vcc_lo, exec_lo
; %bb.792:                              ;   in Loop: Header=BB25_14 Depth=1
	s_or_b32 exec_lo, exec_lo, s3
	s_mov_b32 s4, s77
                                        ; implicit-def: $vgpr1
                                        ; implicit-def: $vgpr2
	s_and_saveexec_b32 s3, s5
	s_cbranch_execz .LBB25_862
; %bb.793:                              ;   in Loop: Header=BB25_14 Depth=1
	v_mov_b32_e32 v0, 50
	s_and_saveexec_b32 s4, s59
	s_cbranch_execz .LBB25_795
; %bb.794:                              ;   in Loop: Header=BB25_14 Depth=1
	scratch_load_b32 v0, off, off offset:1648 ; 4-byte Folded Reload
	s_waitcnt vmcnt(0)
	ds_load_b32 v5, v0 offset:260
	s_clause 0x1
	scratch_load_b64 v[2:3], off, off offset:1196
	scratch_load_b32 v4, off, off offset:1372
	s_waitcnt vmcnt(0)
	v_mad_u64_u32 v[0:1], null, v4, s9, v[2:3]
	scratch_load_b32 v1, off, off offset:1644 ; 4-byte Folded Reload
	s_waitcnt vmcnt(0)
	ds_load_2addr_b32 v[1:2], v1 offset1:32
	s_waitcnt lgkmcnt(0)
	v_cvt_f32_f16_e32 v3, v1
	v_lshrrev_b32_e32 v1, 16, v1
	s_delay_alu instid0(VALU_DEP_2) | instskip(NEXT) | instid1(VALU_DEP_2)
	v_add_f32_e32 v3, 0, v3
	v_cvt_f32_f16_e32 v1, v1
	s_delay_alu instid0(VALU_DEP_2) | instskip(NEXT) | instid1(VALU_DEP_1)
	v_div_scale_f32 v4, null, v5, v5, v3
	v_rcp_f32_e32 v6, v4
	s_waitcnt_depctr 0xfff
	v_fma_f32 v7, -v4, v6, 1.0
	s_delay_alu instid0(VALU_DEP_1) | instskip(SKIP_1) | instid1(VALU_DEP_1)
	v_fmac_f32_e32 v6, v7, v6
	v_div_scale_f32 v7, vcc_lo, v3, v5, v3
	v_dual_add_f32 v1, 0, v1 :: v_dual_mul_f32 v8, v7, v6
	s_delay_alu instid0(VALU_DEP_1) | instskip(NEXT) | instid1(VALU_DEP_1)
	v_fma_f32 v9, -v4, v8, v7
	v_fmac_f32_e32 v8, v9, v6
	s_delay_alu instid0(VALU_DEP_1) | instskip(NEXT) | instid1(VALU_DEP_1)
	v_fma_f32 v4, -v4, v8, v7
	v_div_fmas_f32 v4, v4, v6, v8
	s_delay_alu instid0(VALU_DEP_1) | instskip(SKIP_1) | instid1(VALU_DEP_1)
	v_div_fixup_f32 v3, v4, v5, v3
	v_div_scale_f32 v4, null, v5, v5, v1
	v_rcp_f32_e32 v6, v4
	s_waitcnt_depctr 0xfff
	v_fma_f32 v7, -v4, v6, 1.0
	s_delay_alu instid0(VALU_DEP_1) | instskip(SKIP_1) | instid1(VALU_DEP_1)
	v_fmac_f32_e32 v6, v7, v6
	v_div_scale_f32 v7, vcc_lo, v1, v5, v1
	v_mul_f32_e32 v8, v7, v6
	s_delay_alu instid0(VALU_DEP_1) | instskip(NEXT) | instid1(VALU_DEP_1)
	v_fma_f32 v9, -v4, v8, v7
	v_fmac_f32_e32 v8, v9, v6
	s_delay_alu instid0(VALU_DEP_1) | instskip(NEXT) | instid1(VALU_DEP_1)
	v_fma_f32 v4, -v4, v8, v7
	v_div_fmas_f32 v4, v4, v6, v8
	s_delay_alu instid0(VALU_DEP_1) | instskip(SKIP_3) | instid1(VALU_DEP_1)
	v_div_fixup_f32 v4, v4, v5, v1
	scratch_load_b32 v1, off, off offset:1048 ; 4-byte Folded Reload
	s_waitcnt vmcnt(0)
	v_lshl_add_u32 v0, v0, 6, v1
	v_ashrrev_i32_e32 v1, 31, v0
	s_delay_alu instid0(VALU_DEP_1) | instskip(NEXT) | instid1(VALU_DEP_1)
	v_lshlrev_b64 v[0:1], 3, v[0:1]
	v_add_co_u32 v0, vcc_lo, s69, v0
	s_delay_alu instid0(VALU_DEP_2) | instskip(SKIP_3) | instid1(VALU_DEP_2)
	v_add_co_ci_u32_e32 v1, vcc_lo, s98, v1, vcc_lo
	global_store_b64 v[0:1], v[3:4], off
	v_cvt_f32_f16_e32 v3, v2
	v_lshrrev_b32_e32 v2, 16, v2
	v_add_f32_e32 v3, 0, v3
	s_delay_alu instid0(VALU_DEP_2) | instskip(NEXT) | instid1(VALU_DEP_1)
	v_cvt_f32_f16_e32 v2, v2
	v_add_f32_e32 v4, 0, v2
	s_delay_alu instid0(VALU_DEP_3) | instskip(NEXT) | instid1(VALU_DEP_1)
	v_div_scale_f32 v2, null, v5, v5, v3
	v_rcp_f32_e32 v6, v2
	s_waitcnt_depctr 0xfff
	v_fma_f32 v7, -v2, v6, 1.0
	s_delay_alu instid0(VALU_DEP_1) | instskip(SKIP_1) | instid1(VALU_DEP_1)
	v_fmac_f32_e32 v6, v7, v6
	v_div_scale_f32 v7, vcc_lo, v3, v5, v3
	v_mul_f32_e32 v8, v7, v6
	s_delay_alu instid0(VALU_DEP_1) | instskip(NEXT) | instid1(VALU_DEP_1)
	v_fma_f32 v9, -v2, v8, v7
	v_fmac_f32_e32 v8, v9, v6
	s_delay_alu instid0(VALU_DEP_1) | instskip(NEXT) | instid1(VALU_DEP_1)
	v_fma_f32 v2, -v2, v8, v7
	v_div_fmas_f32 v2, v2, v6, v8
	s_delay_alu instid0(VALU_DEP_1) | instskip(SKIP_1) | instid1(VALU_DEP_1)
	v_div_fixup_f32 v2, v2, v5, v3
	v_div_scale_f32 v3, null, v5, v5, v4
	v_rcp_f32_e32 v6, v3
	s_waitcnt_depctr 0xfff
	v_fma_f32 v7, -v3, v6, 1.0
	s_delay_alu instid0(VALU_DEP_1) | instskip(SKIP_1) | instid1(VALU_DEP_1)
	v_fmac_f32_e32 v6, v7, v6
	v_div_scale_f32 v7, vcc_lo, v4, v5, v4
	v_mul_f32_e32 v8, v7, v6
	s_delay_alu instid0(VALU_DEP_1) | instskip(NEXT) | instid1(VALU_DEP_1)
	v_fma_f32 v9, -v3, v8, v7
	v_fmac_f32_e32 v8, v9, v6
	s_delay_alu instid0(VALU_DEP_1) | instskip(NEXT) | instid1(VALU_DEP_1)
	v_fma_f32 v3, -v3, v8, v7
	v_div_fmas_f32 v3, v3, v6, v8
	s_delay_alu instid0(VALU_DEP_1)
	v_div_fixup_f32 v3, v3, v5, v4
	global_store_b64 v[0:1], v[2:3], off offset:256
	v_mov_b32_e32 v0, 0
.LBB25_795:                             ;   in Loop: Header=BB25_14 Depth=1
	s_or_b32 exec_lo, exec_lo, s4
	s_mov_b32 s6, -1
	s_mov_b32 s4, exec_lo
	s_delay_alu instid0(VALU_DEP_1)
	v_cmpx_gt_i32_e32 50, v0
; %bb.796:                              ;   in Loop: Header=BB25_14 Depth=1
	v_cmp_eq_u32_e32 vcc_lo, 0, v0
	s_or_not1_b32 s6, vcc_lo, exec_lo
; %bb.797:                              ;   in Loop: Header=BB25_14 Depth=1
	s_or_b32 exec_lo, exec_lo, s4
	s_mov_b32 s5, s77
                                        ; implicit-def: $vgpr1
                                        ; implicit-def: $vgpr2
	s_and_saveexec_b32 s4, s6
	s_cbranch_execz .LBB25_861
; %bb.798:                              ;   in Loop: Header=BB25_14 Depth=1
	v_mov_b32_e32 v0, 50
	s_and_saveexec_b32 s5, s58
	s_cbranch_execz .LBB25_800
; %bb.799:                              ;   in Loop: Header=BB25_14 Depth=1
	scratch_load_b32 v0, off, off offset:1420 ; 4-byte Folded Reload
	s_waitcnt vmcnt(0)
	ds_load_b32 v5, v0 offset:5700
	s_clause 0x1
	scratch_load_b64 v[2:3], off, off offset:1196
	scratch_load_b32 v4, off, off offset:1376
	s_waitcnt vmcnt(0)
	v_mad_u64_u32 v[0:1], null, v4, s9, v[2:3]
	scratch_load_b32 v1, off, off offset:1220 ; 4-byte Folded Reload
	s_waitcnt vmcnt(0)
	v_add_nc_u32_e32 v1, 0x800, v1
	ds_load_2addr_b32 v[1:2], v1 offset0:32 offset1:64
	s_waitcnt lgkmcnt(0)
	v_cvt_f32_f16_e32 v3, v1
	v_lshrrev_b32_e32 v1, 16, v1
	s_delay_alu instid0(VALU_DEP_2) | instskip(NEXT) | instid1(VALU_DEP_2)
	v_add_f32_e32 v3, 0, v3
	v_cvt_f32_f16_e32 v1, v1
	s_delay_alu instid0(VALU_DEP_2) | instskip(NEXT) | instid1(VALU_DEP_1)
	v_div_scale_f32 v4, null, v5, v5, v3
	v_rcp_f32_e32 v6, v4
	s_waitcnt_depctr 0xfff
	v_fma_f32 v7, -v4, v6, 1.0
	s_delay_alu instid0(VALU_DEP_1) | instskip(SKIP_1) | instid1(VALU_DEP_1)
	v_fmac_f32_e32 v6, v7, v6
	v_div_scale_f32 v7, vcc_lo, v3, v5, v3
	v_mul_f32_e32 v8, v7, v6
	s_delay_alu instid0(VALU_DEP_1) | instskip(NEXT) | instid1(VALU_DEP_1)
	v_fma_f32 v9, -v4, v8, v7
	v_dual_add_f32 v1, 0, v1 :: v_dual_fmac_f32 v8, v9, v6
	s_delay_alu instid0(VALU_DEP_1) | instskip(NEXT) | instid1(VALU_DEP_1)
	v_fma_f32 v4, -v4, v8, v7
	v_div_fmas_f32 v4, v4, v6, v8
	s_delay_alu instid0(VALU_DEP_1) | instskip(NEXT) | instid1(VALU_DEP_4)
	v_div_fixup_f32 v3, v4, v5, v3
	v_div_scale_f32 v4, null, v5, v5, v1
	s_delay_alu instid0(VALU_DEP_1) | instskip(SKIP_2) | instid1(VALU_DEP_1)
	v_rcp_f32_e32 v6, v4
	s_waitcnt_depctr 0xfff
	v_fma_f32 v7, -v4, v6, 1.0
	v_fmac_f32_e32 v6, v7, v6
	v_div_scale_f32 v7, vcc_lo, v1, v5, v1
	s_delay_alu instid0(VALU_DEP_1) | instskip(NEXT) | instid1(VALU_DEP_1)
	v_mul_f32_e32 v8, v7, v6
	v_fma_f32 v9, -v4, v8, v7
	s_delay_alu instid0(VALU_DEP_1) | instskip(NEXT) | instid1(VALU_DEP_1)
	v_fmac_f32_e32 v8, v9, v6
	v_fma_f32 v4, -v4, v8, v7
	s_delay_alu instid0(VALU_DEP_1) | instskip(NEXT) | instid1(VALU_DEP_1)
	v_div_fmas_f32 v4, v4, v6, v8
	v_div_fixup_f32 v4, v4, v5, v1
	scratch_load_b32 v1, off, off offset:1048 ; 4-byte Folded Reload
	s_waitcnt vmcnt(0)
	v_lshl_add_u32 v0, v0, 6, v1
	s_delay_alu instid0(VALU_DEP_1) | instskip(NEXT) | instid1(VALU_DEP_1)
	v_ashrrev_i32_e32 v1, 31, v0
	v_lshlrev_b64 v[0:1], 3, v[0:1]
	s_delay_alu instid0(VALU_DEP_1) | instskip(NEXT) | instid1(VALU_DEP_2)
	v_add_co_u32 v0, vcc_lo, s69, v0
	v_add_co_ci_u32_e32 v1, vcc_lo, s98, v1, vcc_lo
	global_store_b64 v[0:1], v[3:4], off
	v_cvt_f32_f16_e32 v3, v2
	v_lshrrev_b32_e32 v2, 16, v2
	s_delay_alu instid0(VALU_DEP_2) | instskip(NEXT) | instid1(VALU_DEP_2)
	v_add_f32_e32 v3, 0, v3
	v_cvt_f32_f16_e32 v2, v2
	s_delay_alu instid0(VALU_DEP_1) | instskip(NEXT) | instid1(VALU_DEP_3)
	v_add_f32_e32 v4, 0, v2
	v_div_scale_f32 v2, null, v5, v5, v3
	s_delay_alu instid0(VALU_DEP_1) | instskip(SKIP_2) | instid1(VALU_DEP_1)
	v_rcp_f32_e32 v6, v2
	s_waitcnt_depctr 0xfff
	v_fma_f32 v7, -v2, v6, 1.0
	v_fmac_f32_e32 v6, v7, v6
	v_div_scale_f32 v7, vcc_lo, v3, v5, v3
	s_delay_alu instid0(VALU_DEP_1) | instskip(NEXT) | instid1(VALU_DEP_1)
	v_mul_f32_e32 v8, v7, v6
	v_fma_f32 v9, -v2, v8, v7
	s_delay_alu instid0(VALU_DEP_1) | instskip(NEXT) | instid1(VALU_DEP_1)
	v_fmac_f32_e32 v8, v9, v6
	v_fma_f32 v2, -v2, v8, v7
	s_delay_alu instid0(VALU_DEP_1) | instskip(NEXT) | instid1(VALU_DEP_1)
	v_div_fmas_f32 v2, v2, v6, v8
	v_div_fixup_f32 v2, v2, v5, v3
	v_div_scale_f32 v3, null, v5, v5, v4
	s_delay_alu instid0(VALU_DEP_1) | instskip(SKIP_2) | instid1(VALU_DEP_1)
	v_rcp_f32_e32 v6, v3
	s_waitcnt_depctr 0xfff
	v_fma_f32 v7, -v3, v6, 1.0
	v_fmac_f32_e32 v6, v7, v6
	v_div_scale_f32 v7, vcc_lo, v4, v5, v4
	s_delay_alu instid0(VALU_DEP_1) | instskip(NEXT) | instid1(VALU_DEP_1)
	v_mul_f32_e32 v8, v7, v6
	v_fma_f32 v9, -v3, v8, v7
	s_delay_alu instid0(VALU_DEP_1) | instskip(NEXT) | instid1(VALU_DEP_1)
	v_fmac_f32_e32 v8, v9, v6
	v_fma_f32 v3, -v3, v8, v7
	s_delay_alu instid0(VALU_DEP_1) | instskip(NEXT) | instid1(VALU_DEP_1)
	v_div_fmas_f32 v3, v3, v6, v8
	v_div_fixup_f32 v3, v3, v5, v4
	global_store_b64 v[0:1], v[2:3], off offset:256
	v_mov_b32_e32 v0, 0
.LBB25_800:                             ;   in Loop: Header=BB25_14 Depth=1
	s_or_b32 exec_lo, exec_lo, s5
	s_mov_b32 s7, -1
	s_mov_b32 s5, exec_lo
	s_delay_alu instid0(VALU_DEP_1)
	v_cmpx_gt_i32_e32 50, v0
; %bb.801:                              ;   in Loop: Header=BB25_14 Depth=1
	v_cmp_eq_u32_e32 vcc_lo, 0, v0
	s_or_not1_b32 s7, vcc_lo, exec_lo
; %bb.802:                              ;   in Loop: Header=BB25_14 Depth=1
	s_or_b32 exec_lo, exec_lo, s5
	s_mov_b32 s6, s77
                                        ; implicit-def: $vgpr1
                                        ; implicit-def: $vgpr2
	s_and_saveexec_b32 s5, s7
	s_cbranch_execz .LBB25_860
; %bb.803:                              ;   in Loop: Header=BB25_14 Depth=1
	v_mov_b32_e32 v0, 50
	s_and_saveexec_b32 s6, s68
	s_cbranch_execz .LBB25_805
; %bb.804:                              ;   in Loop: Header=BB25_14 Depth=1
	scratch_load_b32 v0, off, off offset:1420 ; 4-byte Folded Reload
	s_waitcnt vmcnt(0)
	ds_load_b32 v5, v0 offset:6788
	s_clause 0x1
	scratch_load_b64 v[2:3], off, off offset:1196
	scratch_load_b32 v4, off, off offset:1380
	s_waitcnt vmcnt(0)
	v_mad_u64_u32 v[0:1], null, v4, s9, v[2:3]
	scratch_load_b32 v1, off, off offset:1220 ; 4-byte Folded Reload
	s_waitcnt vmcnt(0)
	v_add_nc_u32_e32 v1, 0xc00, v1
	ds_load_2addr_b32 v[1:2], v1 offset0:48 offset1:80
	s_waitcnt lgkmcnt(0)
	v_cvt_f32_f16_e32 v3, v1
	v_lshrrev_b32_e32 v1, 16, v1
	s_delay_alu instid0(VALU_DEP_2) | instskip(NEXT) | instid1(VALU_DEP_2)
	v_add_f32_e32 v3, 0, v3
	v_cvt_f32_f16_e32 v1, v1
	s_delay_alu instid0(VALU_DEP_2) | instskip(NEXT) | instid1(VALU_DEP_1)
	v_div_scale_f32 v4, null, v5, v5, v3
	v_rcp_f32_e32 v6, v4
	s_waitcnt_depctr 0xfff
	v_fma_f32 v7, -v4, v6, 1.0
	s_delay_alu instid0(VALU_DEP_1) | instskip(SKIP_1) | instid1(VALU_DEP_1)
	v_fmac_f32_e32 v6, v7, v6
	v_div_scale_f32 v7, vcc_lo, v3, v5, v3
	v_mul_f32_e32 v8, v7, v6
	s_delay_alu instid0(VALU_DEP_1) | instskip(NEXT) | instid1(VALU_DEP_1)
	v_fma_f32 v9, -v4, v8, v7
	v_dual_add_f32 v1, 0, v1 :: v_dual_fmac_f32 v8, v9, v6
	s_delay_alu instid0(VALU_DEP_1) | instskip(NEXT) | instid1(VALU_DEP_1)
	v_fma_f32 v4, -v4, v8, v7
	v_div_fmas_f32 v4, v4, v6, v8
	s_delay_alu instid0(VALU_DEP_1) | instskip(NEXT) | instid1(VALU_DEP_4)
	v_div_fixup_f32 v3, v4, v5, v3
	v_div_scale_f32 v4, null, v5, v5, v1
	s_delay_alu instid0(VALU_DEP_1) | instskip(SKIP_2) | instid1(VALU_DEP_1)
	v_rcp_f32_e32 v6, v4
	s_waitcnt_depctr 0xfff
	v_fma_f32 v7, -v4, v6, 1.0
	v_fmac_f32_e32 v6, v7, v6
	v_div_scale_f32 v7, vcc_lo, v1, v5, v1
	s_delay_alu instid0(VALU_DEP_1) | instskip(NEXT) | instid1(VALU_DEP_1)
	v_mul_f32_e32 v8, v7, v6
	v_fma_f32 v9, -v4, v8, v7
	s_delay_alu instid0(VALU_DEP_1) | instskip(NEXT) | instid1(VALU_DEP_1)
	v_fmac_f32_e32 v8, v9, v6
	v_fma_f32 v4, -v4, v8, v7
	s_delay_alu instid0(VALU_DEP_1) | instskip(NEXT) | instid1(VALU_DEP_1)
	v_div_fmas_f32 v4, v4, v6, v8
	v_div_fixup_f32 v4, v4, v5, v1
	scratch_load_b32 v1, off, off offset:1048 ; 4-byte Folded Reload
	s_waitcnt vmcnt(0)
	v_lshl_add_u32 v0, v0, 6, v1
	s_delay_alu instid0(VALU_DEP_1) | instskip(NEXT) | instid1(VALU_DEP_1)
	v_ashrrev_i32_e32 v1, 31, v0
	v_lshlrev_b64 v[0:1], 3, v[0:1]
	s_delay_alu instid0(VALU_DEP_1) | instskip(NEXT) | instid1(VALU_DEP_2)
	v_add_co_u32 v0, vcc_lo, s69, v0
	v_add_co_ci_u32_e32 v1, vcc_lo, s98, v1, vcc_lo
	global_store_b64 v[0:1], v[3:4], off
	v_cvt_f32_f16_e32 v3, v2
	v_lshrrev_b32_e32 v2, 16, v2
	s_delay_alu instid0(VALU_DEP_2) | instskip(NEXT) | instid1(VALU_DEP_2)
	v_add_f32_e32 v3, 0, v3
	v_cvt_f32_f16_e32 v2, v2
	s_delay_alu instid0(VALU_DEP_1) | instskip(NEXT) | instid1(VALU_DEP_3)
	v_add_f32_e32 v4, 0, v2
	v_div_scale_f32 v2, null, v5, v5, v3
	s_delay_alu instid0(VALU_DEP_1) | instskip(SKIP_2) | instid1(VALU_DEP_1)
	v_rcp_f32_e32 v6, v2
	s_waitcnt_depctr 0xfff
	v_fma_f32 v7, -v2, v6, 1.0
	v_fmac_f32_e32 v6, v7, v6
	v_div_scale_f32 v7, vcc_lo, v3, v5, v3
	s_delay_alu instid0(VALU_DEP_1) | instskip(NEXT) | instid1(VALU_DEP_1)
	v_mul_f32_e32 v8, v7, v6
	v_fma_f32 v9, -v2, v8, v7
	s_delay_alu instid0(VALU_DEP_1) | instskip(NEXT) | instid1(VALU_DEP_1)
	v_fmac_f32_e32 v8, v9, v6
	v_fma_f32 v2, -v2, v8, v7
	s_delay_alu instid0(VALU_DEP_1) | instskip(NEXT) | instid1(VALU_DEP_1)
	v_div_fmas_f32 v2, v2, v6, v8
	v_div_fixup_f32 v2, v2, v5, v3
	v_div_scale_f32 v3, null, v5, v5, v4
	s_delay_alu instid0(VALU_DEP_1) | instskip(SKIP_2) | instid1(VALU_DEP_1)
	v_rcp_f32_e32 v6, v3
	s_waitcnt_depctr 0xfff
	v_fma_f32 v7, -v3, v6, 1.0
	v_fmac_f32_e32 v6, v7, v6
	v_div_scale_f32 v7, vcc_lo, v4, v5, v4
	s_delay_alu instid0(VALU_DEP_1) | instskip(NEXT) | instid1(VALU_DEP_1)
	v_mul_f32_e32 v8, v7, v6
	v_fma_f32 v9, -v3, v8, v7
	s_delay_alu instid0(VALU_DEP_1) | instskip(NEXT) | instid1(VALU_DEP_1)
	v_fmac_f32_e32 v8, v9, v6
	v_fma_f32 v3, -v3, v8, v7
	s_delay_alu instid0(VALU_DEP_1) | instskip(NEXT) | instid1(VALU_DEP_1)
	v_div_fmas_f32 v3, v3, v6, v8
	v_div_fixup_f32 v3, v3, v5, v4
	global_store_b64 v[0:1], v[2:3], off offset:256
	v_mov_b32_e32 v0, 0
.LBB25_805:                             ;   in Loop: Header=BB25_14 Depth=1
	s_or_b32 exec_lo, exec_lo, s6
	s_mov_b32 s15, -1
	s_mov_b32 s6, exec_lo
	s_delay_alu instid0(VALU_DEP_1)
	v_cmpx_gt_i32_e32 50, v0
; %bb.806:                              ;   in Loop: Header=BB25_14 Depth=1
	v_cmp_eq_u32_e32 vcc_lo, 0, v0
	s_or_not1_b32 s15, vcc_lo, exec_lo
; %bb.807:                              ;   in Loop: Header=BB25_14 Depth=1
	s_or_b32 exec_lo, exec_lo, s6
	s_mov_b32 s7, s77
                                        ; implicit-def: $vgpr1
                                        ; implicit-def: $vgpr2
	s_and_saveexec_b32 s6, s15
	s_cbranch_execz .LBB25_859
; %bb.808:                              ;   in Loop: Header=BB25_14 Depth=1
	v_mov_b32_e32 v0, 50
	s_and_saveexec_b32 s7, s97
	s_cbranch_execz .LBB25_810
; %bb.809:                              ;   in Loop: Header=BB25_14 Depth=1
	scratch_load_b32 v0, off, off offset:1420 ; 4-byte Folded Reload
	s_waitcnt vmcnt(0)
	ds_load_b32 v5, v0 offset:7876
	s_clause 0x1
	scratch_load_b64 v[2:3], off, off offset:1196
	scratch_load_b32 v4, off, off offset:1384
	s_waitcnt vmcnt(0)
	v_mad_u64_u32 v[0:1], null, v4, s9, v[2:3]
	scratch_load_b32 v1, off, off offset:1220 ; 4-byte Folded Reload
	s_waitcnt vmcnt(0)
	v_add_nc_u32_e32 v1, 0x1000, v1
	ds_load_2addr_b32 v[1:2], v1 offset0:64 offset1:96
	s_waitcnt lgkmcnt(0)
	v_cvt_f32_f16_e32 v3, v1
	v_lshrrev_b32_e32 v1, 16, v1
	s_delay_alu instid0(VALU_DEP_2) | instskip(NEXT) | instid1(VALU_DEP_2)
	v_add_f32_e32 v3, 0, v3
	v_cvt_f32_f16_e32 v1, v1
	s_delay_alu instid0(VALU_DEP_2) | instskip(NEXT) | instid1(VALU_DEP_1)
	v_div_scale_f32 v4, null, v5, v5, v3
	v_rcp_f32_e32 v6, v4
	s_waitcnt_depctr 0xfff
	v_fma_f32 v7, -v4, v6, 1.0
	s_delay_alu instid0(VALU_DEP_1) | instskip(SKIP_1) | instid1(VALU_DEP_1)
	v_fmac_f32_e32 v6, v7, v6
	v_div_scale_f32 v7, vcc_lo, v3, v5, v3
	v_mul_f32_e32 v8, v7, v6
	s_delay_alu instid0(VALU_DEP_1) | instskip(NEXT) | instid1(VALU_DEP_1)
	v_fma_f32 v9, -v4, v8, v7
	v_dual_add_f32 v1, 0, v1 :: v_dual_fmac_f32 v8, v9, v6
	s_delay_alu instid0(VALU_DEP_1) | instskip(NEXT) | instid1(VALU_DEP_1)
	v_fma_f32 v4, -v4, v8, v7
	v_div_fmas_f32 v4, v4, v6, v8
	s_delay_alu instid0(VALU_DEP_1) | instskip(NEXT) | instid1(VALU_DEP_4)
	v_div_fixup_f32 v3, v4, v5, v3
	v_div_scale_f32 v4, null, v5, v5, v1
	s_delay_alu instid0(VALU_DEP_1) | instskip(SKIP_2) | instid1(VALU_DEP_1)
	v_rcp_f32_e32 v6, v4
	s_waitcnt_depctr 0xfff
	v_fma_f32 v7, -v4, v6, 1.0
	v_fmac_f32_e32 v6, v7, v6
	v_div_scale_f32 v7, vcc_lo, v1, v5, v1
	s_delay_alu instid0(VALU_DEP_1) | instskip(NEXT) | instid1(VALU_DEP_1)
	v_mul_f32_e32 v8, v7, v6
	v_fma_f32 v9, -v4, v8, v7
	s_delay_alu instid0(VALU_DEP_1) | instskip(NEXT) | instid1(VALU_DEP_1)
	v_fmac_f32_e32 v8, v9, v6
	v_fma_f32 v4, -v4, v8, v7
	s_delay_alu instid0(VALU_DEP_1) | instskip(NEXT) | instid1(VALU_DEP_1)
	v_div_fmas_f32 v4, v4, v6, v8
	v_div_fixup_f32 v4, v4, v5, v1
	scratch_load_b32 v1, off, off offset:1048 ; 4-byte Folded Reload
	s_waitcnt vmcnt(0)
	v_lshl_add_u32 v0, v0, 6, v1
	s_delay_alu instid0(VALU_DEP_1) | instskip(NEXT) | instid1(VALU_DEP_1)
	v_ashrrev_i32_e32 v1, 31, v0
	v_lshlrev_b64 v[0:1], 3, v[0:1]
	s_delay_alu instid0(VALU_DEP_1) | instskip(NEXT) | instid1(VALU_DEP_2)
	v_add_co_u32 v0, vcc_lo, s69, v0
	v_add_co_ci_u32_e32 v1, vcc_lo, s98, v1, vcc_lo
	global_store_b64 v[0:1], v[3:4], off
	v_cvt_f32_f16_e32 v3, v2
	v_lshrrev_b32_e32 v2, 16, v2
	s_delay_alu instid0(VALU_DEP_2) | instskip(NEXT) | instid1(VALU_DEP_2)
	v_add_f32_e32 v3, 0, v3
	v_cvt_f32_f16_e32 v2, v2
	s_delay_alu instid0(VALU_DEP_1) | instskip(NEXT) | instid1(VALU_DEP_3)
	v_add_f32_e32 v4, 0, v2
	v_div_scale_f32 v2, null, v5, v5, v3
	s_delay_alu instid0(VALU_DEP_1) | instskip(SKIP_2) | instid1(VALU_DEP_1)
	v_rcp_f32_e32 v6, v2
	s_waitcnt_depctr 0xfff
	v_fma_f32 v7, -v2, v6, 1.0
	v_fmac_f32_e32 v6, v7, v6
	v_div_scale_f32 v7, vcc_lo, v3, v5, v3
	s_delay_alu instid0(VALU_DEP_1) | instskip(NEXT) | instid1(VALU_DEP_1)
	v_mul_f32_e32 v8, v7, v6
	v_fma_f32 v9, -v2, v8, v7
	s_delay_alu instid0(VALU_DEP_1) | instskip(NEXT) | instid1(VALU_DEP_1)
	v_fmac_f32_e32 v8, v9, v6
	v_fma_f32 v2, -v2, v8, v7
	s_delay_alu instid0(VALU_DEP_1) | instskip(NEXT) | instid1(VALU_DEP_1)
	v_div_fmas_f32 v2, v2, v6, v8
	v_div_fixup_f32 v2, v2, v5, v3
	v_div_scale_f32 v3, null, v5, v5, v4
	s_delay_alu instid0(VALU_DEP_1) | instskip(SKIP_2) | instid1(VALU_DEP_1)
	v_rcp_f32_e32 v6, v3
	s_waitcnt_depctr 0xfff
	v_fma_f32 v7, -v3, v6, 1.0
	v_fmac_f32_e32 v6, v7, v6
	v_div_scale_f32 v7, vcc_lo, v4, v5, v4
	s_delay_alu instid0(VALU_DEP_1) | instskip(NEXT) | instid1(VALU_DEP_1)
	v_mul_f32_e32 v8, v7, v6
	v_fma_f32 v9, -v3, v8, v7
	s_delay_alu instid0(VALU_DEP_1) | instskip(NEXT) | instid1(VALU_DEP_1)
	v_fmac_f32_e32 v8, v9, v6
	v_fma_f32 v3, -v3, v8, v7
	s_delay_alu instid0(VALU_DEP_1) | instskip(NEXT) | instid1(VALU_DEP_1)
	v_div_fmas_f32 v3, v3, v6, v8
	v_div_fixup_f32 v3, v3, v5, v4
	global_store_b64 v[0:1], v[2:3], off offset:256
	v_mov_b32_e32 v0, 0
.LBB25_810:                             ;   in Loop: Header=BB25_14 Depth=1
	s_or_b32 exec_lo, exec_lo, s7
	s_mov_b32 s34, -1
	s_mov_b32 s7, exec_lo
	s_delay_alu instid0(VALU_DEP_1)
	v_cmpx_gt_i32_e32 50, v0
; %bb.811:                              ;   in Loop: Header=BB25_14 Depth=1
	v_cmp_eq_u32_e32 vcc_lo, 0, v0
	s_or_not1_b32 s34, vcc_lo, exec_lo
; %bb.812:                              ;   in Loop: Header=BB25_14 Depth=1
	s_or_b32 exec_lo, exec_lo, s7
	s_mov_b32 s15, s77
                                        ; implicit-def: $vgpr1
                                        ; implicit-def: $vgpr2
	s_and_saveexec_b32 s7, s34
	s_cbranch_execz .LBB25_858
; %bb.813:                              ;   in Loop: Header=BB25_14 Depth=1
	v_mov_b32_e32 v0, 50
	s_and_saveexec_b32 s15, s96
	s_cbranch_execz .LBB25_815
; %bb.814:                              ;   in Loop: Header=BB25_14 Depth=1
	scratch_load_b32 v0, off, off offset:1656 ; 4-byte Folded Reload
	s_waitcnt vmcnt(0)
	ds_load_b32 v5, v0 offset:260
	s_clause 0x1
	scratch_load_b64 v[2:3], off, off offset:1196
	scratch_load_b32 v4, off, off offset:1388
	s_waitcnt vmcnt(0)
	v_mad_u64_u32 v[0:1], null, v4, s9, v[2:3]
	scratch_load_b32 v1, off, off offset:1652 ; 4-byte Folded Reload
	s_waitcnt vmcnt(0)
	ds_load_2addr_b32 v[1:2], v1 offset1:32
	s_waitcnt lgkmcnt(0)
	v_cvt_f32_f16_e32 v3, v1
	v_lshrrev_b32_e32 v1, 16, v1
	s_delay_alu instid0(VALU_DEP_2) | instskip(NEXT) | instid1(VALU_DEP_2)
	v_add_f32_e32 v3, 0, v3
	v_cvt_f32_f16_e32 v1, v1
	s_delay_alu instid0(VALU_DEP_2) | instskip(NEXT) | instid1(VALU_DEP_1)
	v_div_scale_f32 v4, null, v5, v5, v3
	v_rcp_f32_e32 v6, v4
	s_waitcnt_depctr 0xfff
	v_fma_f32 v7, -v4, v6, 1.0
	s_delay_alu instid0(VALU_DEP_1) | instskip(SKIP_1) | instid1(VALU_DEP_1)
	v_fmac_f32_e32 v6, v7, v6
	v_div_scale_f32 v7, vcc_lo, v3, v5, v3
	v_dual_add_f32 v1, 0, v1 :: v_dual_mul_f32 v8, v7, v6
	s_delay_alu instid0(VALU_DEP_1) | instskip(NEXT) | instid1(VALU_DEP_1)
	v_fma_f32 v9, -v4, v8, v7
	v_fmac_f32_e32 v8, v9, v6
	s_delay_alu instid0(VALU_DEP_1) | instskip(NEXT) | instid1(VALU_DEP_1)
	v_fma_f32 v4, -v4, v8, v7
	v_div_fmas_f32 v4, v4, v6, v8
	s_delay_alu instid0(VALU_DEP_1) | instskip(SKIP_1) | instid1(VALU_DEP_1)
	v_div_fixup_f32 v3, v4, v5, v3
	v_div_scale_f32 v4, null, v5, v5, v1
	v_rcp_f32_e32 v6, v4
	s_waitcnt_depctr 0xfff
	v_fma_f32 v7, -v4, v6, 1.0
	s_delay_alu instid0(VALU_DEP_1) | instskip(SKIP_1) | instid1(VALU_DEP_1)
	v_fmac_f32_e32 v6, v7, v6
	v_div_scale_f32 v7, vcc_lo, v1, v5, v1
	v_mul_f32_e32 v8, v7, v6
	s_delay_alu instid0(VALU_DEP_1) | instskip(NEXT) | instid1(VALU_DEP_1)
	v_fma_f32 v9, -v4, v8, v7
	v_fmac_f32_e32 v8, v9, v6
	s_delay_alu instid0(VALU_DEP_1) | instskip(NEXT) | instid1(VALU_DEP_1)
	v_fma_f32 v4, -v4, v8, v7
	v_div_fmas_f32 v4, v4, v6, v8
	s_delay_alu instid0(VALU_DEP_1) | instskip(SKIP_3) | instid1(VALU_DEP_1)
	v_div_fixup_f32 v4, v4, v5, v1
	scratch_load_b32 v1, off, off offset:1048 ; 4-byte Folded Reload
	s_waitcnt vmcnt(0)
	v_lshl_add_u32 v0, v0, 6, v1
	v_ashrrev_i32_e32 v1, 31, v0
	s_delay_alu instid0(VALU_DEP_1) | instskip(NEXT) | instid1(VALU_DEP_1)
	v_lshlrev_b64 v[0:1], 3, v[0:1]
	v_add_co_u32 v0, vcc_lo, s69, v0
	s_delay_alu instid0(VALU_DEP_2) | instskip(SKIP_3) | instid1(VALU_DEP_2)
	v_add_co_ci_u32_e32 v1, vcc_lo, s98, v1, vcc_lo
	global_store_b64 v[0:1], v[3:4], off
	v_cvt_f32_f16_e32 v3, v2
	v_lshrrev_b32_e32 v2, 16, v2
	v_add_f32_e32 v3, 0, v3
	s_delay_alu instid0(VALU_DEP_2) | instskip(NEXT) | instid1(VALU_DEP_1)
	v_cvt_f32_f16_e32 v2, v2
	v_add_f32_e32 v4, 0, v2
	s_delay_alu instid0(VALU_DEP_3) | instskip(NEXT) | instid1(VALU_DEP_1)
	v_div_scale_f32 v2, null, v5, v5, v3
	v_rcp_f32_e32 v6, v2
	s_waitcnt_depctr 0xfff
	v_fma_f32 v7, -v2, v6, 1.0
	s_delay_alu instid0(VALU_DEP_1) | instskip(SKIP_1) | instid1(VALU_DEP_1)
	v_fmac_f32_e32 v6, v7, v6
	v_div_scale_f32 v7, vcc_lo, v3, v5, v3
	v_mul_f32_e32 v8, v7, v6
	s_delay_alu instid0(VALU_DEP_1) | instskip(NEXT) | instid1(VALU_DEP_1)
	v_fma_f32 v9, -v2, v8, v7
	v_fmac_f32_e32 v8, v9, v6
	s_delay_alu instid0(VALU_DEP_1) | instskip(NEXT) | instid1(VALU_DEP_1)
	v_fma_f32 v2, -v2, v8, v7
	v_div_fmas_f32 v2, v2, v6, v8
	s_delay_alu instid0(VALU_DEP_1) | instskip(SKIP_1) | instid1(VALU_DEP_1)
	v_div_fixup_f32 v2, v2, v5, v3
	v_div_scale_f32 v3, null, v5, v5, v4
	v_rcp_f32_e32 v6, v3
	s_waitcnt_depctr 0xfff
	v_fma_f32 v7, -v3, v6, 1.0
	s_delay_alu instid0(VALU_DEP_1) | instskip(SKIP_1) | instid1(VALU_DEP_1)
	v_fmac_f32_e32 v6, v7, v6
	v_div_scale_f32 v7, vcc_lo, v4, v5, v4
	v_mul_f32_e32 v8, v7, v6
	s_delay_alu instid0(VALU_DEP_1) | instskip(NEXT) | instid1(VALU_DEP_1)
	v_fma_f32 v9, -v3, v8, v7
	v_fmac_f32_e32 v8, v9, v6
	s_delay_alu instid0(VALU_DEP_1) | instskip(NEXT) | instid1(VALU_DEP_1)
	v_fma_f32 v3, -v3, v8, v7
	v_div_fmas_f32 v3, v3, v6, v8
	s_delay_alu instid0(VALU_DEP_1)
	v_div_fixup_f32 v3, v3, v5, v4
	global_store_b64 v[0:1], v[2:3], off offset:256
	v_mov_b32_e32 v0, 0
.LBB25_815:                             ;   in Loop: Header=BB25_14 Depth=1
	s_or_b32 exec_lo, exec_lo, s15
	s_mov_b32 s56, -1
	s_mov_b32 s15, exec_lo
	s_delay_alu instid0(VALU_DEP_1)
	v_cmpx_gt_i32_e32 50, v0
; %bb.816:                              ;   in Loop: Header=BB25_14 Depth=1
	v_cmp_eq_u32_e32 vcc_lo, 0, v0
	s_or_not1_b32 s56, vcc_lo, exec_lo
; %bb.817:                              ;   in Loop: Header=BB25_14 Depth=1
	s_or_b32 exec_lo, exec_lo, s15
	s_mov_b32 s34, s77
                                        ; implicit-def: $vgpr1
                                        ; implicit-def: $vgpr2
	s_and_saveexec_b32 s15, s56
	s_cbranch_execz .LBB25_857
; %bb.818:                              ;   in Loop: Header=BB25_14 Depth=1
	v_mov_b32_e32 v0, 50
	s_and_saveexec_b32 s34, s93
	s_cbranch_execz .LBB25_820
; %bb.819:                              ;   in Loop: Header=BB25_14 Depth=1
	scratch_load_b32 v0, off, off offset:1420 ; 4-byte Folded Reload
	s_waitcnt vmcnt(0)
	ds_load_b32 v5, v0 offset:10052
	s_clause 0x1
	scratch_load_b64 v[2:3], off, off offset:1196
	scratch_load_b32 v4, off, off offset:1392
	s_waitcnt vmcnt(0)
	v_mad_u64_u32 v[0:1], null, v4, s9, v[2:3]
	scratch_load_b32 v1, off, off offset:1220 ; 4-byte Folded Reload
	s_waitcnt vmcnt(0)
	v_add_nc_u32_e32 v1, 0x1800, v1
	ds_load_2addr_b32 v[1:2], v1 offset0:96 offset1:128
	s_waitcnt lgkmcnt(0)
	v_cvt_f32_f16_e32 v3, v1
	v_lshrrev_b32_e32 v1, 16, v1
	s_delay_alu instid0(VALU_DEP_2) | instskip(NEXT) | instid1(VALU_DEP_2)
	v_add_f32_e32 v3, 0, v3
	v_cvt_f32_f16_e32 v1, v1
	s_delay_alu instid0(VALU_DEP_2) | instskip(NEXT) | instid1(VALU_DEP_1)
	v_div_scale_f32 v4, null, v5, v5, v3
	v_rcp_f32_e32 v6, v4
	s_waitcnt_depctr 0xfff
	v_fma_f32 v7, -v4, v6, 1.0
	s_delay_alu instid0(VALU_DEP_1) | instskip(SKIP_1) | instid1(VALU_DEP_1)
	v_fmac_f32_e32 v6, v7, v6
	v_div_scale_f32 v7, vcc_lo, v3, v5, v3
	v_mul_f32_e32 v8, v7, v6
	s_delay_alu instid0(VALU_DEP_1) | instskip(NEXT) | instid1(VALU_DEP_1)
	v_fma_f32 v9, -v4, v8, v7
	v_dual_add_f32 v1, 0, v1 :: v_dual_fmac_f32 v8, v9, v6
	s_delay_alu instid0(VALU_DEP_1) | instskip(NEXT) | instid1(VALU_DEP_1)
	v_fma_f32 v4, -v4, v8, v7
	v_div_fmas_f32 v4, v4, v6, v8
	s_delay_alu instid0(VALU_DEP_1) | instskip(NEXT) | instid1(VALU_DEP_4)
	v_div_fixup_f32 v3, v4, v5, v3
	v_div_scale_f32 v4, null, v5, v5, v1
	s_delay_alu instid0(VALU_DEP_1) | instskip(SKIP_2) | instid1(VALU_DEP_1)
	v_rcp_f32_e32 v6, v4
	s_waitcnt_depctr 0xfff
	v_fma_f32 v7, -v4, v6, 1.0
	v_fmac_f32_e32 v6, v7, v6
	v_div_scale_f32 v7, vcc_lo, v1, v5, v1
	s_delay_alu instid0(VALU_DEP_1) | instskip(NEXT) | instid1(VALU_DEP_1)
	v_mul_f32_e32 v8, v7, v6
	v_fma_f32 v9, -v4, v8, v7
	s_delay_alu instid0(VALU_DEP_1) | instskip(NEXT) | instid1(VALU_DEP_1)
	v_fmac_f32_e32 v8, v9, v6
	v_fma_f32 v4, -v4, v8, v7
	s_delay_alu instid0(VALU_DEP_1) | instskip(NEXT) | instid1(VALU_DEP_1)
	v_div_fmas_f32 v4, v4, v6, v8
	v_div_fixup_f32 v4, v4, v5, v1
	scratch_load_b32 v1, off, off offset:1048 ; 4-byte Folded Reload
	s_waitcnt vmcnt(0)
	v_lshl_add_u32 v0, v0, 6, v1
	s_delay_alu instid0(VALU_DEP_1) | instskip(NEXT) | instid1(VALU_DEP_1)
	v_ashrrev_i32_e32 v1, 31, v0
	v_lshlrev_b64 v[0:1], 3, v[0:1]
	s_delay_alu instid0(VALU_DEP_1) | instskip(NEXT) | instid1(VALU_DEP_2)
	v_add_co_u32 v0, vcc_lo, s69, v0
	v_add_co_ci_u32_e32 v1, vcc_lo, s98, v1, vcc_lo
	global_store_b64 v[0:1], v[3:4], off
	v_cvt_f32_f16_e32 v3, v2
	v_lshrrev_b32_e32 v2, 16, v2
	s_delay_alu instid0(VALU_DEP_2) | instskip(NEXT) | instid1(VALU_DEP_2)
	v_add_f32_e32 v3, 0, v3
	v_cvt_f32_f16_e32 v2, v2
	s_delay_alu instid0(VALU_DEP_1) | instskip(NEXT) | instid1(VALU_DEP_3)
	v_add_f32_e32 v4, 0, v2
	v_div_scale_f32 v2, null, v5, v5, v3
	s_delay_alu instid0(VALU_DEP_1) | instskip(SKIP_2) | instid1(VALU_DEP_1)
	v_rcp_f32_e32 v6, v2
	s_waitcnt_depctr 0xfff
	v_fma_f32 v7, -v2, v6, 1.0
	v_fmac_f32_e32 v6, v7, v6
	v_div_scale_f32 v7, vcc_lo, v3, v5, v3
	s_delay_alu instid0(VALU_DEP_1) | instskip(NEXT) | instid1(VALU_DEP_1)
	v_mul_f32_e32 v8, v7, v6
	v_fma_f32 v9, -v2, v8, v7
	s_delay_alu instid0(VALU_DEP_1) | instskip(NEXT) | instid1(VALU_DEP_1)
	v_fmac_f32_e32 v8, v9, v6
	v_fma_f32 v2, -v2, v8, v7
	s_delay_alu instid0(VALU_DEP_1) | instskip(NEXT) | instid1(VALU_DEP_1)
	v_div_fmas_f32 v2, v2, v6, v8
	v_div_fixup_f32 v2, v2, v5, v3
	v_div_scale_f32 v3, null, v5, v5, v4
	s_delay_alu instid0(VALU_DEP_1) | instskip(SKIP_2) | instid1(VALU_DEP_1)
	v_rcp_f32_e32 v6, v3
	s_waitcnt_depctr 0xfff
	v_fma_f32 v7, -v3, v6, 1.0
	v_fmac_f32_e32 v6, v7, v6
	v_div_scale_f32 v7, vcc_lo, v4, v5, v4
	s_delay_alu instid0(VALU_DEP_1) | instskip(NEXT) | instid1(VALU_DEP_1)
	v_mul_f32_e32 v8, v7, v6
	v_fma_f32 v9, -v3, v8, v7
	s_delay_alu instid0(VALU_DEP_1) | instskip(NEXT) | instid1(VALU_DEP_1)
	v_fmac_f32_e32 v8, v9, v6
	v_fma_f32 v3, -v3, v8, v7
	s_delay_alu instid0(VALU_DEP_1) | instskip(NEXT) | instid1(VALU_DEP_1)
	v_div_fmas_f32 v3, v3, v6, v8
	v_div_fixup_f32 v3, v3, v5, v4
	global_store_b64 v[0:1], v[2:3], off offset:256
	v_mov_b32_e32 v0, 0
.LBB25_820:                             ;   in Loop: Header=BB25_14 Depth=1
	s_or_b32 exec_lo, exec_lo, s34
	s_mov_b32 s57, -1
	s_mov_b32 s34, exec_lo
	s_delay_alu instid0(VALU_DEP_1)
	v_cmpx_gt_i32_e32 50, v0
; %bb.821:                              ;   in Loop: Header=BB25_14 Depth=1
	v_cmp_eq_u32_e32 vcc_lo, 0, v0
	s_or_not1_b32 s57, vcc_lo, exec_lo
; %bb.822:                              ;   in Loop: Header=BB25_14 Depth=1
	s_or_b32 exec_lo, exec_lo, s34
	s_mov_b32 s56, s77
                                        ; implicit-def: $vgpr1
                                        ; implicit-def: $vgpr2
	s_and_saveexec_b32 s34, s57
	s_cbranch_execz .LBB25_856
; %bb.823:                              ;   in Loop: Header=BB25_14 Depth=1
	v_mov_b32_e32 v0, 50
	s_and_saveexec_b32 s56, s46
	s_cbranch_execz .LBB25_825
; %bb.824:                              ;   in Loop: Header=BB25_14 Depth=1
	scratch_load_b32 v0, off, off offset:1420 ; 4-byte Folded Reload
	s_waitcnt vmcnt(0)
	ds_load_b32 v5, v0 offset:11140
	s_clause 0x1
	scratch_load_b64 v[2:3], off, off offset:1196
	scratch_load_b32 v4, off, off offset:1396
	s_waitcnt vmcnt(0)
	v_mad_u64_u32 v[0:1], null, v4, s9, v[2:3]
	scratch_load_b32 v1, off, off offset:1220 ; 4-byte Folded Reload
	s_waitcnt vmcnt(0)
	v_add_nc_u32_e32 v1, 0x1c00, v1
	ds_load_2addr_b32 v[1:2], v1 offset0:112 offset1:144
	s_waitcnt lgkmcnt(0)
	v_cvt_f32_f16_e32 v3, v1
	v_lshrrev_b32_e32 v1, 16, v1
	s_delay_alu instid0(VALU_DEP_2) | instskip(NEXT) | instid1(VALU_DEP_2)
	v_add_f32_e32 v3, 0, v3
	v_cvt_f32_f16_e32 v1, v1
	s_delay_alu instid0(VALU_DEP_2) | instskip(NEXT) | instid1(VALU_DEP_1)
	v_div_scale_f32 v4, null, v5, v5, v3
	v_rcp_f32_e32 v6, v4
	s_waitcnt_depctr 0xfff
	v_fma_f32 v7, -v4, v6, 1.0
	s_delay_alu instid0(VALU_DEP_1) | instskip(SKIP_1) | instid1(VALU_DEP_1)
	v_fmac_f32_e32 v6, v7, v6
	v_div_scale_f32 v7, vcc_lo, v3, v5, v3
	v_mul_f32_e32 v8, v7, v6
	s_delay_alu instid0(VALU_DEP_1) | instskip(NEXT) | instid1(VALU_DEP_1)
	v_fma_f32 v9, -v4, v8, v7
	v_dual_add_f32 v1, 0, v1 :: v_dual_fmac_f32 v8, v9, v6
	s_delay_alu instid0(VALU_DEP_1) | instskip(NEXT) | instid1(VALU_DEP_1)
	v_fma_f32 v4, -v4, v8, v7
	v_div_fmas_f32 v4, v4, v6, v8
	s_delay_alu instid0(VALU_DEP_1) | instskip(NEXT) | instid1(VALU_DEP_4)
	v_div_fixup_f32 v3, v4, v5, v3
	v_div_scale_f32 v4, null, v5, v5, v1
	s_delay_alu instid0(VALU_DEP_1) | instskip(SKIP_2) | instid1(VALU_DEP_1)
	v_rcp_f32_e32 v6, v4
	s_waitcnt_depctr 0xfff
	v_fma_f32 v7, -v4, v6, 1.0
	v_fmac_f32_e32 v6, v7, v6
	v_div_scale_f32 v7, vcc_lo, v1, v5, v1
	s_delay_alu instid0(VALU_DEP_1) | instskip(NEXT) | instid1(VALU_DEP_1)
	v_mul_f32_e32 v8, v7, v6
	v_fma_f32 v9, -v4, v8, v7
	s_delay_alu instid0(VALU_DEP_1) | instskip(NEXT) | instid1(VALU_DEP_1)
	v_fmac_f32_e32 v8, v9, v6
	v_fma_f32 v4, -v4, v8, v7
	s_delay_alu instid0(VALU_DEP_1) | instskip(NEXT) | instid1(VALU_DEP_1)
	v_div_fmas_f32 v4, v4, v6, v8
	v_div_fixup_f32 v4, v4, v5, v1
	scratch_load_b32 v1, off, off offset:1048 ; 4-byte Folded Reload
	s_waitcnt vmcnt(0)
	v_lshl_add_u32 v0, v0, 6, v1
	s_delay_alu instid0(VALU_DEP_1) | instskip(NEXT) | instid1(VALU_DEP_1)
	v_ashrrev_i32_e32 v1, 31, v0
	v_lshlrev_b64 v[0:1], 3, v[0:1]
	s_delay_alu instid0(VALU_DEP_1) | instskip(NEXT) | instid1(VALU_DEP_2)
	v_add_co_u32 v0, vcc_lo, s69, v0
	v_add_co_ci_u32_e32 v1, vcc_lo, s98, v1, vcc_lo
	global_store_b64 v[0:1], v[3:4], off
	v_cvt_f32_f16_e32 v3, v2
	v_lshrrev_b32_e32 v2, 16, v2
	s_delay_alu instid0(VALU_DEP_2) | instskip(NEXT) | instid1(VALU_DEP_2)
	v_add_f32_e32 v3, 0, v3
	v_cvt_f32_f16_e32 v2, v2
	s_delay_alu instid0(VALU_DEP_1) | instskip(NEXT) | instid1(VALU_DEP_3)
	v_add_f32_e32 v4, 0, v2
	v_div_scale_f32 v2, null, v5, v5, v3
	s_delay_alu instid0(VALU_DEP_1) | instskip(SKIP_2) | instid1(VALU_DEP_1)
	v_rcp_f32_e32 v6, v2
	s_waitcnt_depctr 0xfff
	v_fma_f32 v7, -v2, v6, 1.0
	v_fmac_f32_e32 v6, v7, v6
	v_div_scale_f32 v7, vcc_lo, v3, v5, v3
	s_delay_alu instid0(VALU_DEP_1) | instskip(NEXT) | instid1(VALU_DEP_1)
	v_mul_f32_e32 v8, v7, v6
	v_fma_f32 v9, -v2, v8, v7
	s_delay_alu instid0(VALU_DEP_1) | instskip(NEXT) | instid1(VALU_DEP_1)
	v_fmac_f32_e32 v8, v9, v6
	v_fma_f32 v2, -v2, v8, v7
	s_delay_alu instid0(VALU_DEP_1) | instskip(NEXT) | instid1(VALU_DEP_1)
	v_div_fmas_f32 v2, v2, v6, v8
	v_div_fixup_f32 v2, v2, v5, v3
	v_div_scale_f32 v3, null, v5, v5, v4
	s_delay_alu instid0(VALU_DEP_1) | instskip(SKIP_2) | instid1(VALU_DEP_1)
	v_rcp_f32_e32 v6, v3
	s_waitcnt_depctr 0xfff
	v_fma_f32 v7, -v3, v6, 1.0
	v_fmac_f32_e32 v6, v7, v6
	v_div_scale_f32 v7, vcc_lo, v4, v5, v4
	s_delay_alu instid0(VALU_DEP_1) | instskip(NEXT) | instid1(VALU_DEP_1)
	v_mul_f32_e32 v8, v7, v6
	v_fma_f32 v9, -v3, v8, v7
	s_delay_alu instid0(VALU_DEP_1) | instskip(NEXT) | instid1(VALU_DEP_1)
	v_fmac_f32_e32 v8, v9, v6
	v_fma_f32 v3, -v3, v8, v7
	s_delay_alu instid0(VALU_DEP_1) | instskip(NEXT) | instid1(VALU_DEP_1)
	v_div_fmas_f32 v3, v3, v6, v8
	v_div_fixup_f32 v3, v3, v5, v4
	global_store_b64 v[0:1], v[2:3], off offset:256
	v_mov_b32_e32 v0, 0
.LBB25_825:                             ;   in Loop: Header=BB25_14 Depth=1
	s_or_b32 exec_lo, exec_lo, s56
	s_mov_b32 s57, -1
	s_mov_b32 s46, exec_lo
	s_delay_alu instid0(VALU_DEP_1)
	v_cmpx_gt_i32_e32 50, v0
; %bb.826:                              ;   in Loop: Header=BB25_14 Depth=1
	v_cmp_eq_u32_e32 vcc_lo, 0, v0
	s_or_not1_b32 s57, vcc_lo, exec_lo
; %bb.827:                              ;   in Loop: Header=BB25_14 Depth=1
	s_or_b32 exec_lo, exec_lo, s46
	s_mov_b32 s56, s77
                                        ; implicit-def: $vgpr1
                                        ; implicit-def: $vgpr2
	s_and_saveexec_b32 s46, s57
	s_cbranch_execz .LBB25_855
; %bb.828:                              ;   in Loop: Header=BB25_14 Depth=1
	v_mov_b32_e32 v0, 50
	s_and_saveexec_b32 s56, s14
	s_cbranch_execz .LBB25_830
; %bb.829:                              ;   in Loop: Header=BB25_14 Depth=1
	scratch_load_b32 v0, off, off offset:1420 ; 4-byte Folded Reload
	s_waitcnt vmcnt(0)
	ds_load_b32 v5, v0 offset:12228
	s_clause 0x1
	scratch_load_b64 v[2:3], off, off offset:1196
	scratch_load_b32 v4, off, off offset:1400
	s_waitcnt vmcnt(0)
	v_mad_u64_u32 v[0:1], null, v4, s9, v[2:3]
	scratch_load_b32 v1, off, off offset:1220 ; 4-byte Folded Reload
	s_waitcnt vmcnt(0)
	v_add_nc_u32_e32 v1, 0x2000, v1
	ds_load_2addr_b32 v[1:2], v1 offset0:128 offset1:160
	s_waitcnt lgkmcnt(0)
	v_cvt_f32_f16_e32 v3, v1
	v_lshrrev_b32_e32 v1, 16, v1
	s_delay_alu instid0(VALU_DEP_2) | instskip(NEXT) | instid1(VALU_DEP_2)
	v_add_f32_e32 v3, 0, v3
	v_cvt_f32_f16_e32 v1, v1
	s_delay_alu instid0(VALU_DEP_2) | instskip(NEXT) | instid1(VALU_DEP_1)
	v_div_scale_f32 v4, null, v5, v5, v3
	v_rcp_f32_e32 v6, v4
	s_waitcnt_depctr 0xfff
	v_fma_f32 v7, -v4, v6, 1.0
	s_delay_alu instid0(VALU_DEP_1) | instskip(SKIP_1) | instid1(VALU_DEP_1)
	v_fmac_f32_e32 v6, v7, v6
	v_div_scale_f32 v7, vcc_lo, v3, v5, v3
	v_mul_f32_e32 v8, v7, v6
	s_delay_alu instid0(VALU_DEP_1) | instskip(NEXT) | instid1(VALU_DEP_1)
	v_fma_f32 v9, -v4, v8, v7
	v_dual_add_f32 v1, 0, v1 :: v_dual_fmac_f32 v8, v9, v6
	s_delay_alu instid0(VALU_DEP_1) | instskip(NEXT) | instid1(VALU_DEP_1)
	v_fma_f32 v4, -v4, v8, v7
	v_div_fmas_f32 v4, v4, v6, v8
	s_delay_alu instid0(VALU_DEP_1) | instskip(NEXT) | instid1(VALU_DEP_4)
	v_div_fixup_f32 v3, v4, v5, v3
	v_div_scale_f32 v4, null, v5, v5, v1
	s_delay_alu instid0(VALU_DEP_1) | instskip(SKIP_2) | instid1(VALU_DEP_1)
	v_rcp_f32_e32 v6, v4
	s_waitcnt_depctr 0xfff
	v_fma_f32 v7, -v4, v6, 1.0
	v_fmac_f32_e32 v6, v7, v6
	v_div_scale_f32 v7, vcc_lo, v1, v5, v1
	s_delay_alu instid0(VALU_DEP_1) | instskip(NEXT) | instid1(VALU_DEP_1)
	v_mul_f32_e32 v8, v7, v6
	v_fma_f32 v9, -v4, v8, v7
	s_delay_alu instid0(VALU_DEP_1) | instskip(NEXT) | instid1(VALU_DEP_1)
	v_fmac_f32_e32 v8, v9, v6
	v_fma_f32 v4, -v4, v8, v7
	s_delay_alu instid0(VALU_DEP_1) | instskip(NEXT) | instid1(VALU_DEP_1)
	v_div_fmas_f32 v4, v4, v6, v8
	v_div_fixup_f32 v4, v4, v5, v1
	scratch_load_b32 v1, off, off offset:1048 ; 4-byte Folded Reload
	s_waitcnt vmcnt(0)
	v_lshl_add_u32 v0, v0, 6, v1
	s_delay_alu instid0(VALU_DEP_1) | instskip(NEXT) | instid1(VALU_DEP_1)
	v_ashrrev_i32_e32 v1, 31, v0
	v_lshlrev_b64 v[0:1], 3, v[0:1]
	s_delay_alu instid0(VALU_DEP_1) | instskip(NEXT) | instid1(VALU_DEP_2)
	v_add_co_u32 v0, vcc_lo, s69, v0
	v_add_co_ci_u32_e32 v1, vcc_lo, s98, v1, vcc_lo
	global_store_b64 v[0:1], v[3:4], off
	v_cvt_f32_f16_e32 v3, v2
	v_lshrrev_b32_e32 v2, 16, v2
	s_delay_alu instid0(VALU_DEP_2) | instskip(NEXT) | instid1(VALU_DEP_2)
	v_add_f32_e32 v3, 0, v3
	v_cvt_f32_f16_e32 v2, v2
	s_delay_alu instid0(VALU_DEP_1) | instskip(NEXT) | instid1(VALU_DEP_3)
	v_add_f32_e32 v4, 0, v2
	v_div_scale_f32 v2, null, v5, v5, v3
	s_delay_alu instid0(VALU_DEP_1) | instskip(SKIP_2) | instid1(VALU_DEP_1)
	v_rcp_f32_e32 v6, v2
	s_waitcnt_depctr 0xfff
	v_fma_f32 v7, -v2, v6, 1.0
	v_fmac_f32_e32 v6, v7, v6
	v_div_scale_f32 v7, vcc_lo, v3, v5, v3
	s_delay_alu instid0(VALU_DEP_1) | instskip(NEXT) | instid1(VALU_DEP_1)
	v_mul_f32_e32 v8, v7, v6
	v_fma_f32 v9, -v2, v8, v7
	s_delay_alu instid0(VALU_DEP_1) | instskip(NEXT) | instid1(VALU_DEP_1)
	v_fmac_f32_e32 v8, v9, v6
	v_fma_f32 v2, -v2, v8, v7
	s_delay_alu instid0(VALU_DEP_1) | instskip(NEXT) | instid1(VALU_DEP_1)
	v_div_fmas_f32 v2, v2, v6, v8
	v_div_fixup_f32 v2, v2, v5, v3
	v_div_scale_f32 v3, null, v5, v5, v4
	s_delay_alu instid0(VALU_DEP_1) | instskip(SKIP_2) | instid1(VALU_DEP_1)
	v_rcp_f32_e32 v6, v3
	s_waitcnt_depctr 0xfff
	v_fma_f32 v7, -v3, v6, 1.0
	v_fmac_f32_e32 v6, v7, v6
	v_div_scale_f32 v7, vcc_lo, v4, v5, v4
	s_delay_alu instid0(VALU_DEP_1) | instskip(NEXT) | instid1(VALU_DEP_1)
	v_mul_f32_e32 v8, v7, v6
	v_fma_f32 v9, -v3, v8, v7
	s_delay_alu instid0(VALU_DEP_1) | instskip(NEXT) | instid1(VALU_DEP_1)
	v_fmac_f32_e32 v8, v9, v6
	v_fma_f32 v3, -v3, v8, v7
	s_delay_alu instid0(VALU_DEP_1) | instskip(NEXT) | instid1(VALU_DEP_1)
	v_div_fmas_f32 v3, v3, v6, v8
	v_div_fixup_f32 v3, v3, v5, v4
	global_store_b64 v[0:1], v[2:3], off offset:256
	v_mov_b32_e32 v0, 0
.LBB25_830:                             ;   in Loop: Header=BB25_14 Depth=1
	s_or_b32 exec_lo, exec_lo, s56
	s_mov_b32 s57, -1
	s_mov_b32 s14, exec_lo
	s_delay_alu instid0(VALU_DEP_1)
	v_cmpx_gt_i32_e32 50, v0
; %bb.831:                              ;   in Loop: Header=BB25_14 Depth=1
	v_cmp_eq_u32_e32 vcc_lo, 0, v0
	s_or_not1_b32 s57, vcc_lo, exec_lo
; %bb.832:                              ;   in Loop: Header=BB25_14 Depth=1
	s_or_b32 exec_lo, exec_lo, s14
	s_mov_b32 s56, s77
                                        ; implicit-def: $vgpr1
                                        ; implicit-def: $vgpr2
	s_and_saveexec_b32 s14, s57
	s_cbranch_execz .LBB25_854
; %bb.833:                              ;   in Loop: Header=BB25_14 Depth=1
	v_mov_b32_e32 v0, 50
	s_and_saveexec_b32 s56, s65
	s_cbranch_execz .LBB25_835
; %bb.834:                              ;   in Loop: Header=BB25_14 Depth=1
	scratch_load_b32 v0, off, off offset:1664 ; 4-byte Folded Reload
	s_waitcnt vmcnt(0)
	ds_load_b32 v5, v0 offset:260
	s_clause 0x1
	scratch_load_b64 v[2:3], off, off offset:1196
	scratch_load_b32 v4, off, off offset:1404
	s_waitcnt vmcnt(0)
	v_mad_u64_u32 v[0:1], null, v4, s9, v[2:3]
	scratch_load_b32 v1, off, off offset:1660 ; 4-byte Folded Reload
	s_waitcnt vmcnt(0)
	ds_load_2addr_b32 v[1:2], v1 offset1:32
	s_waitcnt lgkmcnt(0)
	v_cvt_f32_f16_e32 v3, v1
	v_lshrrev_b32_e32 v1, 16, v1
	s_delay_alu instid0(VALU_DEP_2) | instskip(NEXT) | instid1(VALU_DEP_2)
	v_add_f32_e32 v3, 0, v3
	v_cvt_f32_f16_e32 v1, v1
	s_delay_alu instid0(VALU_DEP_2) | instskip(NEXT) | instid1(VALU_DEP_1)
	v_div_scale_f32 v4, null, v5, v5, v3
	v_rcp_f32_e32 v6, v4
	s_waitcnt_depctr 0xfff
	v_fma_f32 v7, -v4, v6, 1.0
	s_delay_alu instid0(VALU_DEP_1) | instskip(SKIP_1) | instid1(VALU_DEP_1)
	v_fmac_f32_e32 v6, v7, v6
	v_div_scale_f32 v7, vcc_lo, v3, v5, v3
	v_dual_add_f32 v1, 0, v1 :: v_dual_mul_f32 v8, v7, v6
	s_delay_alu instid0(VALU_DEP_1) | instskip(NEXT) | instid1(VALU_DEP_1)
	v_fma_f32 v9, -v4, v8, v7
	v_fmac_f32_e32 v8, v9, v6
	s_delay_alu instid0(VALU_DEP_1) | instskip(NEXT) | instid1(VALU_DEP_1)
	v_fma_f32 v4, -v4, v8, v7
	v_div_fmas_f32 v4, v4, v6, v8
	s_delay_alu instid0(VALU_DEP_1) | instskip(SKIP_1) | instid1(VALU_DEP_1)
	v_div_fixup_f32 v3, v4, v5, v3
	v_div_scale_f32 v4, null, v5, v5, v1
	v_rcp_f32_e32 v6, v4
	s_waitcnt_depctr 0xfff
	v_fma_f32 v7, -v4, v6, 1.0
	s_delay_alu instid0(VALU_DEP_1) | instskip(SKIP_1) | instid1(VALU_DEP_1)
	v_fmac_f32_e32 v6, v7, v6
	v_div_scale_f32 v7, vcc_lo, v1, v5, v1
	v_mul_f32_e32 v8, v7, v6
	s_delay_alu instid0(VALU_DEP_1) | instskip(NEXT) | instid1(VALU_DEP_1)
	v_fma_f32 v9, -v4, v8, v7
	v_fmac_f32_e32 v8, v9, v6
	s_delay_alu instid0(VALU_DEP_1) | instskip(NEXT) | instid1(VALU_DEP_1)
	v_fma_f32 v4, -v4, v8, v7
	v_div_fmas_f32 v4, v4, v6, v8
	s_delay_alu instid0(VALU_DEP_1) | instskip(SKIP_3) | instid1(VALU_DEP_1)
	v_div_fixup_f32 v4, v4, v5, v1
	scratch_load_b32 v1, off, off offset:1048 ; 4-byte Folded Reload
	s_waitcnt vmcnt(0)
	v_lshl_add_u32 v0, v0, 6, v1
	v_ashrrev_i32_e32 v1, 31, v0
	s_delay_alu instid0(VALU_DEP_1) | instskip(NEXT) | instid1(VALU_DEP_1)
	v_lshlrev_b64 v[0:1], 3, v[0:1]
	v_add_co_u32 v0, vcc_lo, s69, v0
	s_delay_alu instid0(VALU_DEP_2) | instskip(SKIP_3) | instid1(VALU_DEP_2)
	v_add_co_ci_u32_e32 v1, vcc_lo, s98, v1, vcc_lo
	global_store_b64 v[0:1], v[3:4], off
	v_cvt_f32_f16_e32 v3, v2
	v_lshrrev_b32_e32 v2, 16, v2
	v_add_f32_e32 v3, 0, v3
	s_delay_alu instid0(VALU_DEP_2) | instskip(NEXT) | instid1(VALU_DEP_1)
	v_cvt_f32_f16_e32 v2, v2
	v_add_f32_e32 v4, 0, v2
	s_delay_alu instid0(VALU_DEP_3) | instskip(NEXT) | instid1(VALU_DEP_1)
	v_div_scale_f32 v2, null, v5, v5, v3
	v_rcp_f32_e32 v6, v2
	s_waitcnt_depctr 0xfff
	v_fma_f32 v7, -v2, v6, 1.0
	s_delay_alu instid0(VALU_DEP_1) | instskip(SKIP_1) | instid1(VALU_DEP_1)
	v_fmac_f32_e32 v6, v7, v6
	v_div_scale_f32 v7, vcc_lo, v3, v5, v3
	v_mul_f32_e32 v8, v7, v6
	s_delay_alu instid0(VALU_DEP_1) | instskip(NEXT) | instid1(VALU_DEP_1)
	v_fma_f32 v9, -v2, v8, v7
	v_fmac_f32_e32 v8, v9, v6
	s_delay_alu instid0(VALU_DEP_1) | instskip(NEXT) | instid1(VALU_DEP_1)
	v_fma_f32 v2, -v2, v8, v7
	v_div_fmas_f32 v2, v2, v6, v8
	s_delay_alu instid0(VALU_DEP_1) | instskip(SKIP_1) | instid1(VALU_DEP_1)
	v_div_fixup_f32 v2, v2, v5, v3
	v_div_scale_f32 v3, null, v5, v5, v4
	v_rcp_f32_e32 v6, v3
	s_waitcnt_depctr 0xfff
	v_fma_f32 v7, -v3, v6, 1.0
	s_delay_alu instid0(VALU_DEP_1) | instskip(SKIP_1) | instid1(VALU_DEP_1)
	v_fmac_f32_e32 v6, v7, v6
	v_div_scale_f32 v7, vcc_lo, v4, v5, v4
	v_mul_f32_e32 v8, v7, v6
	s_delay_alu instid0(VALU_DEP_1) | instskip(NEXT) | instid1(VALU_DEP_1)
	v_fma_f32 v9, -v3, v8, v7
	v_fmac_f32_e32 v8, v9, v6
	s_delay_alu instid0(VALU_DEP_1) | instskip(NEXT) | instid1(VALU_DEP_1)
	v_fma_f32 v3, -v3, v8, v7
	v_div_fmas_f32 v3, v3, v6, v8
	s_delay_alu instid0(VALU_DEP_1)
	v_div_fixup_f32 v3, v3, v5, v4
	global_store_b64 v[0:1], v[2:3], off offset:256
	v_mov_b32_e32 v0, 0
.LBB25_835:                             ;   in Loop: Header=BB25_14 Depth=1
	s_or_b32 exec_lo, exec_lo, s56
	s_mov_b32 s58, -1
	s_mov_b32 s56, exec_lo
	s_delay_alu instid0(VALU_DEP_1)
	v_cmpx_gt_i32_e32 50, v0
; %bb.836:                              ;   in Loop: Header=BB25_14 Depth=1
	v_cmp_eq_u32_e32 vcc_lo, 0, v0
	s_or_not1_b32 s58, vcc_lo, exec_lo
; %bb.837:                              ;   in Loop: Header=BB25_14 Depth=1
	s_or_b32 exec_lo, exec_lo, s56
	s_mov_b32 s57, s77
                                        ; implicit-def: $vgpr1
                                        ; implicit-def: $vgpr2
	s_and_saveexec_b32 s56, s58
	s_cbranch_execz .LBB25_853
; %bb.838:                              ;   in Loop: Header=BB25_14 Depth=1
	v_mov_b32_e32 v0, 50
	s_and_saveexec_b32 s57, s35
	s_cbranch_execz .LBB25_840
; %bb.839:                              ;   in Loop: Header=BB25_14 Depth=1
	scratch_load_b32 v0, off, off offset:1420 ; 4-byte Folded Reload
	s_waitcnt vmcnt(0)
	ds_load_b32 v5, v0 offset:14404
	s_clause 0x1
	scratch_load_b64 v[2:3], off, off offset:1196
	scratch_load_b32 v4, off, off offset:1408
	s_waitcnt vmcnt(0)
	v_mad_u64_u32 v[0:1], null, v4, s9, v[2:3]
	scratch_load_b32 v1, off, off offset:1220 ; 4-byte Folded Reload
	s_waitcnt vmcnt(0)
	v_add_nc_u32_e32 v1, 0x2800, v1
	ds_load_2addr_b32 v[1:2], v1 offset0:160 offset1:192
	s_waitcnt lgkmcnt(0)
	v_cvt_f32_f16_e32 v3, v1
	v_lshrrev_b32_e32 v1, 16, v1
	s_delay_alu instid0(VALU_DEP_2) | instskip(NEXT) | instid1(VALU_DEP_2)
	v_add_f32_e32 v3, 0, v3
	v_cvt_f32_f16_e32 v1, v1
	s_delay_alu instid0(VALU_DEP_2) | instskip(NEXT) | instid1(VALU_DEP_1)
	v_div_scale_f32 v4, null, v5, v5, v3
	v_rcp_f32_e32 v6, v4
	s_waitcnt_depctr 0xfff
	v_fma_f32 v7, -v4, v6, 1.0
	s_delay_alu instid0(VALU_DEP_1) | instskip(SKIP_1) | instid1(VALU_DEP_1)
	v_fmac_f32_e32 v6, v7, v6
	v_div_scale_f32 v7, vcc_lo, v3, v5, v3
	v_mul_f32_e32 v8, v7, v6
	s_delay_alu instid0(VALU_DEP_1) | instskip(NEXT) | instid1(VALU_DEP_1)
	v_fma_f32 v9, -v4, v8, v7
	v_dual_add_f32 v1, 0, v1 :: v_dual_fmac_f32 v8, v9, v6
	s_delay_alu instid0(VALU_DEP_1) | instskip(NEXT) | instid1(VALU_DEP_1)
	v_fma_f32 v4, -v4, v8, v7
	v_div_fmas_f32 v4, v4, v6, v8
	s_delay_alu instid0(VALU_DEP_1) | instskip(NEXT) | instid1(VALU_DEP_4)
	v_div_fixup_f32 v3, v4, v5, v3
	v_div_scale_f32 v4, null, v5, v5, v1
	s_delay_alu instid0(VALU_DEP_1) | instskip(SKIP_2) | instid1(VALU_DEP_1)
	v_rcp_f32_e32 v6, v4
	s_waitcnt_depctr 0xfff
	v_fma_f32 v7, -v4, v6, 1.0
	v_fmac_f32_e32 v6, v7, v6
	v_div_scale_f32 v7, vcc_lo, v1, v5, v1
	s_delay_alu instid0(VALU_DEP_1) | instskip(NEXT) | instid1(VALU_DEP_1)
	v_mul_f32_e32 v8, v7, v6
	v_fma_f32 v9, -v4, v8, v7
	s_delay_alu instid0(VALU_DEP_1) | instskip(NEXT) | instid1(VALU_DEP_1)
	v_fmac_f32_e32 v8, v9, v6
	v_fma_f32 v4, -v4, v8, v7
	s_delay_alu instid0(VALU_DEP_1) | instskip(NEXT) | instid1(VALU_DEP_1)
	v_div_fmas_f32 v4, v4, v6, v8
	v_div_fixup_f32 v4, v4, v5, v1
	scratch_load_b32 v1, off, off offset:1048 ; 4-byte Folded Reload
	s_waitcnt vmcnt(0)
	v_lshl_add_u32 v0, v0, 6, v1
	s_delay_alu instid0(VALU_DEP_1) | instskip(NEXT) | instid1(VALU_DEP_1)
	v_ashrrev_i32_e32 v1, 31, v0
	v_lshlrev_b64 v[0:1], 3, v[0:1]
	s_delay_alu instid0(VALU_DEP_1) | instskip(NEXT) | instid1(VALU_DEP_2)
	v_add_co_u32 v0, vcc_lo, s69, v0
	v_add_co_ci_u32_e32 v1, vcc_lo, s98, v1, vcc_lo
	global_store_b64 v[0:1], v[3:4], off
	v_cvt_f32_f16_e32 v3, v2
	v_lshrrev_b32_e32 v2, 16, v2
	s_delay_alu instid0(VALU_DEP_2) | instskip(NEXT) | instid1(VALU_DEP_2)
	v_add_f32_e32 v3, 0, v3
	v_cvt_f32_f16_e32 v2, v2
	s_delay_alu instid0(VALU_DEP_1) | instskip(NEXT) | instid1(VALU_DEP_3)
	v_add_f32_e32 v4, 0, v2
	v_div_scale_f32 v2, null, v5, v5, v3
	s_delay_alu instid0(VALU_DEP_1) | instskip(SKIP_2) | instid1(VALU_DEP_1)
	v_rcp_f32_e32 v6, v2
	s_waitcnt_depctr 0xfff
	v_fma_f32 v7, -v2, v6, 1.0
	v_fmac_f32_e32 v6, v7, v6
	v_div_scale_f32 v7, vcc_lo, v3, v5, v3
	s_delay_alu instid0(VALU_DEP_1) | instskip(NEXT) | instid1(VALU_DEP_1)
	v_mul_f32_e32 v8, v7, v6
	v_fma_f32 v9, -v2, v8, v7
	s_delay_alu instid0(VALU_DEP_1) | instskip(NEXT) | instid1(VALU_DEP_1)
	v_fmac_f32_e32 v8, v9, v6
	v_fma_f32 v2, -v2, v8, v7
	s_delay_alu instid0(VALU_DEP_1) | instskip(NEXT) | instid1(VALU_DEP_1)
	v_div_fmas_f32 v2, v2, v6, v8
	v_div_fixup_f32 v2, v2, v5, v3
	v_div_scale_f32 v3, null, v5, v5, v4
	s_delay_alu instid0(VALU_DEP_1) | instskip(SKIP_2) | instid1(VALU_DEP_1)
	v_rcp_f32_e32 v6, v3
	s_waitcnt_depctr 0xfff
	v_fma_f32 v7, -v3, v6, 1.0
	v_fmac_f32_e32 v6, v7, v6
	v_div_scale_f32 v7, vcc_lo, v4, v5, v4
	s_delay_alu instid0(VALU_DEP_1) | instskip(NEXT) | instid1(VALU_DEP_1)
	v_mul_f32_e32 v8, v7, v6
	v_fma_f32 v9, -v3, v8, v7
	s_delay_alu instid0(VALU_DEP_1) | instskip(NEXT) | instid1(VALU_DEP_1)
	v_fmac_f32_e32 v8, v9, v6
	v_fma_f32 v3, -v3, v8, v7
	s_delay_alu instid0(VALU_DEP_1) | instskip(NEXT) | instid1(VALU_DEP_1)
	v_div_fmas_f32 v3, v3, v6, v8
	v_div_fixup_f32 v3, v3, v5, v4
	global_store_b64 v[0:1], v[2:3], off offset:256
	v_mov_b32_e32 v0, 0
.LBB25_840:                             ;   in Loop: Header=BB25_14 Depth=1
	s_or_b32 exec_lo, exec_lo, s57
	s_mov_b32 s58, -1
	s_mov_b32 s35, exec_lo
	s_delay_alu instid0(VALU_DEP_1)
	v_cmpx_gt_i32_e32 50, v0
; %bb.841:                              ;   in Loop: Header=BB25_14 Depth=1
	v_cmp_eq_u32_e32 vcc_lo, 0, v0
	s_or_not1_b32 s58, vcc_lo, exec_lo
; %bb.842:                              ;   in Loop: Header=BB25_14 Depth=1
	s_or_b32 exec_lo, exec_lo, s35
	s_mov_b32 s57, s77
                                        ; implicit-def: $vgpr1
                                        ; implicit-def: $vgpr2
	s_and_saveexec_b32 s35, s58
	s_cbranch_execz .LBB25_852
; %bb.843:                              ;   in Loop: Header=BB25_14 Depth=1
	v_mov_b32_e32 v0, 50
	s_mov_b32 s57, exec_lo
	v_readlane_b32 s58, v255, 28
	s_delay_alu instid0(VALU_DEP_1) | instskip(NEXT) | instid1(SALU_CYCLE_1)
	s_and_b32 s58, s57, s58
	s_mov_b32 exec_lo, s58
	s_cbranch_execz .LBB25_845
; %bb.844:                              ;   in Loop: Header=BB25_14 Depth=1
	scratch_load_b32 v0, off, off offset:1420 ; 4-byte Folded Reload
	s_waitcnt vmcnt(0)
	ds_load_b32 v5, v0 offset:15492
	s_clause 0x1
	scratch_load_b64 v[2:3], off, off offset:1196
	scratch_load_b32 v4, off, off offset:1424
	s_waitcnt vmcnt(0)
	v_mad_u64_u32 v[0:1], null, v4, s9, v[2:3]
	scratch_load_b32 v1, off, off offset:1220 ; 4-byte Folded Reload
	s_waitcnt vmcnt(0)
	v_add_nc_u32_e32 v1, 0x2c00, v1
	ds_load_2addr_b32 v[1:2], v1 offset0:176 offset1:208
	s_waitcnt lgkmcnt(0)
	v_cvt_f32_f16_e32 v3, v1
	v_lshrrev_b32_e32 v1, 16, v1
	s_delay_alu instid0(VALU_DEP_2) | instskip(NEXT) | instid1(VALU_DEP_2)
	v_add_f32_e32 v3, 0, v3
	v_cvt_f32_f16_e32 v1, v1
	s_delay_alu instid0(VALU_DEP_2) | instskip(NEXT) | instid1(VALU_DEP_1)
	v_div_scale_f32 v4, null, v5, v5, v3
	v_rcp_f32_e32 v6, v4
	s_waitcnt_depctr 0xfff
	v_fma_f32 v7, -v4, v6, 1.0
	s_delay_alu instid0(VALU_DEP_1) | instskip(SKIP_1) | instid1(VALU_DEP_1)
	v_fmac_f32_e32 v6, v7, v6
	v_div_scale_f32 v7, vcc_lo, v3, v5, v3
	v_mul_f32_e32 v8, v7, v6
	s_delay_alu instid0(VALU_DEP_1) | instskip(NEXT) | instid1(VALU_DEP_1)
	v_fma_f32 v9, -v4, v8, v7
	v_dual_add_f32 v1, 0, v1 :: v_dual_fmac_f32 v8, v9, v6
	s_delay_alu instid0(VALU_DEP_1) | instskip(NEXT) | instid1(VALU_DEP_1)
	v_fma_f32 v4, -v4, v8, v7
	v_div_fmas_f32 v4, v4, v6, v8
	s_delay_alu instid0(VALU_DEP_1) | instskip(NEXT) | instid1(VALU_DEP_4)
	v_div_fixup_f32 v3, v4, v5, v3
	v_div_scale_f32 v4, null, v5, v5, v1
	s_delay_alu instid0(VALU_DEP_1) | instskip(SKIP_2) | instid1(VALU_DEP_1)
	v_rcp_f32_e32 v6, v4
	s_waitcnt_depctr 0xfff
	v_fma_f32 v7, -v4, v6, 1.0
	v_fmac_f32_e32 v6, v7, v6
	v_div_scale_f32 v7, vcc_lo, v1, v5, v1
	s_delay_alu instid0(VALU_DEP_1) | instskip(NEXT) | instid1(VALU_DEP_1)
	v_mul_f32_e32 v8, v7, v6
	v_fma_f32 v9, -v4, v8, v7
	s_delay_alu instid0(VALU_DEP_1) | instskip(NEXT) | instid1(VALU_DEP_1)
	v_fmac_f32_e32 v8, v9, v6
	v_fma_f32 v4, -v4, v8, v7
	s_delay_alu instid0(VALU_DEP_1) | instskip(NEXT) | instid1(VALU_DEP_1)
	v_div_fmas_f32 v4, v4, v6, v8
	v_div_fixup_f32 v4, v4, v5, v1
	scratch_load_b32 v1, off, off offset:1048 ; 4-byte Folded Reload
	s_waitcnt vmcnt(0)
	v_lshl_add_u32 v0, v0, 6, v1
	s_delay_alu instid0(VALU_DEP_1) | instskip(NEXT) | instid1(VALU_DEP_1)
	v_ashrrev_i32_e32 v1, 31, v0
	v_lshlrev_b64 v[0:1], 3, v[0:1]
	s_delay_alu instid0(VALU_DEP_1) | instskip(NEXT) | instid1(VALU_DEP_2)
	v_add_co_u32 v0, vcc_lo, s69, v0
	v_add_co_ci_u32_e32 v1, vcc_lo, s98, v1, vcc_lo
	global_store_b64 v[0:1], v[3:4], off
	v_cvt_f32_f16_e32 v3, v2
	v_lshrrev_b32_e32 v2, 16, v2
	s_delay_alu instid0(VALU_DEP_2) | instskip(NEXT) | instid1(VALU_DEP_2)
	v_add_f32_e32 v3, 0, v3
	v_cvt_f32_f16_e32 v2, v2
	s_delay_alu instid0(VALU_DEP_1) | instskip(NEXT) | instid1(VALU_DEP_3)
	v_add_f32_e32 v4, 0, v2
	v_div_scale_f32 v2, null, v5, v5, v3
	s_delay_alu instid0(VALU_DEP_1) | instskip(SKIP_2) | instid1(VALU_DEP_1)
	v_rcp_f32_e32 v6, v2
	s_waitcnt_depctr 0xfff
	v_fma_f32 v7, -v2, v6, 1.0
	v_fmac_f32_e32 v6, v7, v6
	v_div_scale_f32 v7, vcc_lo, v3, v5, v3
	s_delay_alu instid0(VALU_DEP_1) | instskip(NEXT) | instid1(VALU_DEP_1)
	v_mul_f32_e32 v8, v7, v6
	v_fma_f32 v9, -v2, v8, v7
	s_delay_alu instid0(VALU_DEP_1) | instskip(NEXT) | instid1(VALU_DEP_1)
	v_fmac_f32_e32 v8, v9, v6
	v_fma_f32 v2, -v2, v8, v7
	s_delay_alu instid0(VALU_DEP_1) | instskip(NEXT) | instid1(VALU_DEP_1)
	v_div_fmas_f32 v2, v2, v6, v8
	v_div_fixup_f32 v2, v2, v5, v3
	v_div_scale_f32 v3, null, v5, v5, v4
	s_delay_alu instid0(VALU_DEP_1) | instskip(SKIP_2) | instid1(VALU_DEP_1)
	v_rcp_f32_e32 v6, v3
	s_waitcnt_depctr 0xfff
	v_fma_f32 v7, -v3, v6, 1.0
	v_fmac_f32_e32 v6, v7, v6
	v_div_scale_f32 v7, vcc_lo, v4, v5, v4
	s_delay_alu instid0(VALU_DEP_1) | instskip(NEXT) | instid1(VALU_DEP_1)
	v_mul_f32_e32 v8, v7, v6
	v_fma_f32 v9, -v3, v8, v7
	s_delay_alu instid0(VALU_DEP_1) | instskip(NEXT) | instid1(VALU_DEP_1)
	v_fmac_f32_e32 v8, v9, v6
	v_fma_f32 v3, -v3, v8, v7
	s_delay_alu instid0(VALU_DEP_1) | instskip(NEXT) | instid1(VALU_DEP_1)
	v_div_fmas_f32 v3, v3, v6, v8
	v_div_fixup_f32 v3, v3, v5, v4
	global_store_b64 v[0:1], v[2:3], off offset:256
	v_mov_b32_e32 v0, 0
.LBB25_845:                             ;   in Loop: Header=BB25_14 Depth=1
	s_or_b32 exec_lo, exec_lo, s57
	s_mov_b32 s59, -1
	s_mov_b32 s57, exec_lo
	s_delay_alu instid0(VALU_DEP_1)
	v_cmpx_gt_i32_e32 50, v0
; %bb.846:                              ;   in Loop: Header=BB25_14 Depth=1
	v_cmp_eq_u32_e32 vcc_lo, 0, v0
	s_or_not1_b32 s59, vcc_lo, exec_lo
; %bb.847:                              ;   in Loop: Header=BB25_14 Depth=1
	s_or_b32 exec_lo, exec_lo, s57
	s_mov_b32 s58, s77
                                        ; implicit-def: $vgpr1
                                        ; implicit-def: $vgpr2
	s_and_saveexec_b32 s57, s59
	s_cbranch_execz .LBB25_851
; %bb.848:                              ;   in Loop: Header=BB25_14 Depth=1
	s_mov_b32 s59, s77
                                        ; implicit-def: $vgpr1
                                        ; implicit-def: $vgpr2
	s_mov_b32 s58, exec_lo
	v_readlane_b32 s62, v255, 29
	s_delay_alu instid0(VALU_DEP_1) | instskip(NEXT) | instid1(SALU_CYCLE_1)
	s_and_b32 s62, s58, s62
	s_mov_b32 exec_lo, s62
	s_cbranch_execz .LBB25_850
; %bb.849:                              ;   in Loop: Header=BB25_14 Depth=1
	s_clause 0x1
	scratch_load_b32 v0, off, off offset:1420
	scratch_load_b64 v[1:2], off, off offset:1196
	s_or_b32 s59, s77, exec_lo
	s_waitcnt vmcnt(1)
	ds_load_b32 v7, v0 offset:16580
	scratch_load_b32 v0, off, off offset:1428 ; 4-byte Folded Reload
	s_waitcnt vmcnt(0)
	v_mul_lo_u32 v0, v0, s9
	s_delay_alu instid0(VALU_DEP_1)
	v_add_lshl_u32 v2, v0, v1, 6
	scratch_load_b32 v0, off, off offset:1220 ; 4-byte Folded Reload
	s_waitcnt vmcnt(0)
	v_add_nc_u32_e32 v0, 0x3000, v0
	ds_load_2addr_b32 v[0:1], v0 offset0:192 offset1:224
	s_waitcnt lgkmcnt(0)
	v_cvt_f32_f16_e32 v3, v0
	v_lshrrev_b32_e32 v0, 16, v0
	s_delay_alu instid0(VALU_DEP_2) | instskip(NEXT) | instid1(VALU_DEP_2)
	v_add_f32_e32 v3, 0, v3
	v_cvt_f32_f16_e32 v0, v0
	s_delay_alu instid0(VALU_DEP_2) | instskip(NEXT) | instid1(VALU_DEP_1)
	v_div_scale_f32 v4, null, v7, v7, v3
	v_rcp_f32_e32 v5, v4
	s_waitcnt_depctr 0xfff
	v_fma_f32 v6, -v4, v5, 1.0
	s_delay_alu instid0(VALU_DEP_1) | instskip(SKIP_1) | instid1(VALU_DEP_1)
	v_dual_add_f32 v0, 0, v0 :: v_dual_fmac_f32 v5, v6, v5
	v_div_scale_f32 v6, vcc_lo, v3, v7, v3
	v_mul_f32_e32 v8, v6, v5
	s_delay_alu instid0(VALU_DEP_1) | instskip(NEXT) | instid1(VALU_DEP_1)
	v_fma_f32 v9, -v4, v8, v6
	v_fmac_f32_e32 v8, v9, v5
	s_delay_alu instid0(VALU_DEP_1) | instskip(NEXT) | instid1(VALU_DEP_1)
	v_fma_f32 v4, -v4, v8, v6
	v_div_fmas_f32 v4, v4, v5, v8
	s_delay_alu instid0(VALU_DEP_1) | instskip(SKIP_1) | instid1(VALU_DEP_1)
	v_div_fixup_f32 v3, v4, v7, v3
	v_div_scale_f32 v4, null, v7, v7, v0
	v_rcp_f32_e32 v5, v4
	s_waitcnt_depctr 0xfff
	v_fma_f32 v6, -v4, v5, 1.0
	s_delay_alu instid0(VALU_DEP_1) | instskip(SKIP_1) | instid1(VALU_DEP_1)
	v_fmac_f32_e32 v5, v6, v5
	v_div_scale_f32 v6, vcc_lo, v0, v7, v0
	v_mul_f32_e32 v8, v6, v5
	s_delay_alu instid0(VALU_DEP_1) | instskip(NEXT) | instid1(VALU_DEP_1)
	v_fma_f32 v9, -v4, v8, v6
	v_fmac_f32_e32 v8, v9, v5
	s_delay_alu instid0(VALU_DEP_1) | instskip(NEXT) | instid1(VALU_DEP_1)
	v_fma_f32 v4, -v4, v8, v6
	v_div_fmas_f32 v4, v4, v5, v8
	s_delay_alu instid0(VALU_DEP_1)
	v_div_fixup_f32 v4, v4, v7, v0
	scratch_load_b32 v0, off, off offset:1048 ; 4-byte Folded Reload
	s_waitcnt vmcnt(0)
	v_add_nc_u32_e32 v5, v0, v2
	v_cvt_f32_f16_e32 v0, v1
	v_lshrrev_b32_e32 v1, 16, v1
	s_delay_alu instid0(VALU_DEP_3) | instskip(NEXT) | instid1(VALU_DEP_3)
	v_ashrrev_i32_e32 v6, 31, v5
	v_add_f32_e32 v0, 0, v0
	s_delay_alu instid0(VALU_DEP_3) | instskip(NEXT) | instid1(VALU_DEP_3)
	v_cvt_f32_f16_e32 v1, v1
	v_lshlrev_b64 v[5:6], 3, v[5:6]
	s_delay_alu instid0(VALU_DEP_1) | instskip(NEXT) | instid1(VALU_DEP_2)
	v_add_co_u32 v5, vcc_lo, s69, v5
	v_add_co_ci_u32_e32 v6, vcc_lo, s98, v6, vcc_lo
	global_store_b64 v[5:6], v[3:4], off
	v_div_scale_f32 v3, null, v7, v7, v0
	s_delay_alu instid0(VALU_DEP_1) | instskip(SKIP_2) | instid1(VALU_DEP_1)
	v_rcp_f32_e32 v4, v3
	s_waitcnt_depctr 0xfff
	v_fma_f32 v5, -v3, v4, 1.0
	v_dual_add_f32 v1, 0, v1 :: v_dual_fmac_f32 v4, v5, v4
	v_div_scale_f32 v5, vcc_lo, v0, v7, v0
	s_delay_alu instid0(VALU_DEP_1) | instskip(NEXT) | instid1(VALU_DEP_1)
	v_mul_f32_e32 v6, v5, v4
	v_fma_f32 v8, -v3, v6, v5
	s_delay_alu instid0(VALU_DEP_1) | instskip(NEXT) | instid1(VALU_DEP_1)
	v_fmac_f32_e32 v6, v8, v4
	v_fma_f32 v3, -v3, v6, v5
	s_delay_alu instid0(VALU_DEP_1) | instskip(NEXT) | instid1(VALU_DEP_1)
	v_div_fmas_f32 v3, v3, v4, v6
	v_div_fixup_f32 v0, v3, v7, v0
	v_div_scale_f32 v3, null, v7, v7, v1
	s_delay_alu instid0(VALU_DEP_1) | instskip(SKIP_2) | instid1(VALU_DEP_1)
	v_rcp_f32_e32 v4, v3
	s_waitcnt_depctr 0xfff
	v_fma_f32 v5, -v3, v4, 1.0
	v_fmac_f32_e32 v4, v5, v4
	v_div_scale_f32 v5, vcc_lo, v1, v7, v1
	s_delay_alu instid0(VALU_DEP_1) | instskip(NEXT) | instid1(VALU_DEP_1)
	v_mul_f32_e32 v6, v5, v4
	v_fma_f32 v8, -v3, v6, v5
	s_delay_alu instid0(VALU_DEP_1) | instskip(NEXT) | instid1(VALU_DEP_1)
	v_fmac_f32_e32 v6, v8, v4
	v_fma_f32 v3, -v3, v6, v5
	s_delay_alu instid0(VALU_DEP_1) | instskip(NEXT) | instid1(VALU_DEP_1)
	v_div_fmas_f32 v3, v3, v4, v6
	v_div_fixup_f32 v1, v3, v7, v1
.LBB25_850:                             ;   in Loop: Header=BB25_14 Depth=1
	s_or_b32 exec_lo, exec_lo, s58
	s_delay_alu instid0(SALU_CYCLE_1) | instskip(SKIP_1) | instid1(SALU_CYCLE_1)
	s_and_not1_b32 s58, s77, exec_lo
	s_and_b32 s59, s59, exec_lo
	s_or_b32 s58, s58, s59
.LBB25_851:                             ;   in Loop: Header=BB25_14 Depth=1
	s_or_b32 exec_lo, exec_lo, s57
	s_delay_alu instid0(SALU_CYCLE_1) | instskip(SKIP_1) | instid1(SALU_CYCLE_1)
	s_and_not1_b32 s57, s77, exec_lo
	s_and_b32 s58, s58, exec_lo
	s_or_b32 s57, s57, s58
.LBB25_852:                             ;   in Loop: Header=BB25_14 Depth=1
	s_or_b32 exec_lo, exec_lo, s35
	s_delay_alu instid0(SALU_CYCLE_1) | instskip(SKIP_1) | instid1(SALU_CYCLE_1)
	s_and_not1_b32 s35, s77, exec_lo
	s_and_b32 s57, s57, exec_lo
	s_or_b32 s57, s35, s57
.LBB25_853:                             ;   in Loop: Header=BB25_14 Depth=1
	s_or_b32 exec_lo, exec_lo, s56
	s_delay_alu instid0(SALU_CYCLE_1) | instskip(SKIP_1) | instid1(SALU_CYCLE_1)
	s_and_not1_b32 s35, s77, exec_lo
	s_and_b32 s56, s57, exec_lo
	s_or_b32 s56, s35, s56
.LBB25_854:                             ;   in Loop: Header=BB25_14 Depth=1
	s_or_b32 exec_lo, exec_lo, s14
	s_delay_alu instid0(SALU_CYCLE_1) | instskip(SKIP_1) | instid1(SALU_CYCLE_1)
	s_and_not1_b32 s14, s77, exec_lo
	s_and_b32 s35, s56, exec_lo
	s_or_b32 s56, s14, s35
.LBB25_855:                             ;   in Loop: Header=BB25_14 Depth=1
	s_or_b32 exec_lo, exec_lo, s46
	s_delay_alu instid0(SALU_CYCLE_1) | instskip(SKIP_1) | instid1(SALU_CYCLE_1)
	s_and_not1_b32 s14, s77, exec_lo
	s_and_b32 s35, s56, exec_lo
	s_or_b32 s56, s14, s35
.LBB25_856:                             ;   in Loop: Header=BB25_14 Depth=1
	s_or_b32 exec_lo, exec_lo, s34
	s_delay_alu instid0(SALU_CYCLE_1) | instskip(SKIP_1) | instid1(SALU_CYCLE_1)
	s_and_not1_b32 s14, s77, exec_lo
	s_and_b32 s34, s56, exec_lo
	s_or_b32 s34, s14, s34
.LBB25_857:                             ;   in Loop: Header=BB25_14 Depth=1
	s_or_b32 exec_lo, exec_lo, s15
	s_delay_alu instid0(SALU_CYCLE_1) | instskip(SKIP_1) | instid1(SALU_CYCLE_1)
	s_and_not1_b32 s14, s77, exec_lo
	s_and_b32 s15, s34, exec_lo
	s_or_b32 s15, s14, s15
.LBB25_858:                             ;   in Loop: Header=BB25_14 Depth=1
	s_or_b32 exec_lo, exec_lo, s7
	s_delay_alu instid0(SALU_CYCLE_1) | instskip(SKIP_1) | instid1(SALU_CYCLE_1)
	s_and_not1_b32 s7, s77, exec_lo
	s_and_b32 s14, s15, exec_lo
	s_or_b32 s7, s7, s14
.LBB25_859:                             ;   in Loop: Header=BB25_14 Depth=1
	s_or_b32 exec_lo, exec_lo, s6
	s_delay_alu instid0(SALU_CYCLE_1) | instskip(SKIP_1) | instid1(SALU_CYCLE_1)
	s_and_not1_b32 s6, s77, exec_lo
	s_and_b32 s7, s7, exec_lo
	s_or_b32 s6, s6, s7
.LBB25_860:                             ;   in Loop: Header=BB25_14 Depth=1
	s_or_b32 exec_lo, exec_lo, s5
	s_delay_alu instid0(SALU_CYCLE_1) | instskip(SKIP_1) | instid1(SALU_CYCLE_1)
	s_and_not1_b32 s5, s77, exec_lo
	s_and_b32 s6, s6, exec_lo
	s_or_b32 s5, s5, s6
.LBB25_861:                             ;   in Loop: Header=BB25_14 Depth=1
	s_or_b32 exec_lo, exec_lo, s4
	s_delay_alu instid0(SALU_CYCLE_1) | instskip(SKIP_1) | instid1(SALU_CYCLE_1)
	s_and_not1_b32 s4, s77, exec_lo
	s_and_b32 s5, s5, exec_lo
	s_or_b32 s4, s4, s5
.LBB25_862:                             ;   in Loop: Header=BB25_14 Depth=1
	s_or_b32 exec_lo, exec_lo, s3
	s_delay_alu instid0(SALU_CYCLE_1) | instskip(SKIP_1) | instid1(SALU_CYCLE_1)
	s_and_not1_b32 s3, s77, exec_lo
	s_and_b32 s4, s4, exec_lo
	s_or_b32 s3, s3, s4
.LBB25_863:                             ;   in Loop: Header=BB25_14 Depth=1
	s_or_b32 exec_lo, exec_lo, s0
	s_delay_alu instid0(SALU_CYCLE_1) | instskip(SKIP_1) | instid1(SALU_CYCLE_1)
	s_and_not1_b32 s0, s77, exec_lo
	s_and_b32 s3, s3, exec_lo
	s_or_b32 s3, s0, s3
.LBB25_864:                             ;   in Loop: Header=BB25_14 Depth=1
	s_or_b32 exec_lo, exec_lo, s2
	s_delay_alu instid0(SALU_CYCLE_1) | instskip(SKIP_1) | instid1(SALU_CYCLE_1)
	s_and_not1_b32 s0, s77, exec_lo
	s_and_b32 s2, s3, exec_lo
	s_or_b32 s77, s0, s2
.LBB25_865:                             ;   in Loop: Header=BB25_14 Depth=1
	s_or_b32 exec_lo, exec_lo, s1
.LBB25_866:                             ;   in Loop: Header=BB25_14 Depth=1
	s_and_saveexec_b32 s0, s77
	s_cbranch_execz .LBB25_868
; %bb.867:                              ;   in Loop: Header=BB25_14 Depth=1
	scratch_load_b32 v4, off, off offset:1048 ; 4-byte Folded Reload
	v_ashrrev_i32_e32 v3, 31, v2
	s_waitcnt vmcnt(0)
	v_add_co_u32 v2, vcc_lo, v4, v2
	s_delay_alu instid0(VALU_DEP_2) | instskip(NEXT) | instid1(VALU_DEP_1)
	v_add_co_ci_u32_e32 v3, vcc_lo, 0, v3, vcc_lo
	v_lshlrev_b64 v[2:3], 3, v[2:3]
	s_delay_alu instid0(VALU_DEP_1) | instskip(NEXT) | instid1(VALU_DEP_2)
	v_add_co_u32 v2, vcc_lo, s69, v2
	v_add_co_ci_u32_e32 v3, vcc_lo, s98, v3, vcc_lo
	global_store_b64 v[2:3], v[0:1], off offset:256
.LBB25_868:                             ;   in Loop: Header=BB25_14 Depth=1
	s_or_b32 exec_lo, exec_lo, s0
	s_add_i32 s0, s60, s83
	s_mov_b32 s14, 0
	s_abs_i32 s1, s0
	s_delay_alu instid0(SALU_CYCLE_1) | instskip(NEXT) | instid1(SALU_CYCLE_1)
	s_mul_hi_u32 s2, s1, s86
	s_mul_i32 s2, s2, s84
	s_delay_alu instid0(SALU_CYCLE_1) | instskip(SKIP_4) | instid1(SALU_CYCLE_1)
	s_sub_i32 s1, s1, s2
	s_ashr_i32 s2, s0, 31
	s_sub_i32 s3, s1, s84
	s_cmp_ge_u32 s1, s84
	s_cselect_b32 s1, s3, s1
	s_sub_i32 s3, s1, s84
	s_cmp_ge_u32 s1, s84
	s_cselect_b32 s1, s3, s1
	s_delay_alu instid0(SALU_CYCLE_1) | instskip(NEXT) | instid1(SALU_CYCLE_1)
	s_xor_b32 s1, s1, s2
	s_sub_i32 s1, s2, s1
	s_delay_alu instid0(SALU_CYCLE_1) | instskip(NEXT) | instid1(SALU_CYCLE_1)
	s_add_i32 s60, s0, s1
	s_sub_i32 s1, s64, s60
	s_delay_alu instid0(SALU_CYCLE_1) | instskip(SKIP_4) | instid1(SALU_CYCLE_1)
	s_min_i32 s15, s83, s1
	s_cmp_gt_i32 s64, s60
	s_cselect_b32 s0, -1, 0
	s_cmp_le_i32 s83, s1
	s_cselect_b32 s1, -1, 0
	s_and_b32 s1, s1, s0
	s_delay_alu instid0(SALU_CYCLE_1)
	s_and_b32 vcc_lo, exec_lo, s1
	s_cbranch_vccz .LBB25_870
; %bb.869:                              ;   in Loop: Header=BB25_14 Depth=1
	scratch_load_b32 v2, off, off offset:1048 ; 4-byte Folded Reload
	s_branch .LBB25_14
.LBB25_870:
	v_readlane_b32 s56, v255, 26
	v_readlane_b32 s57, v255, 27
	s_and_not1_b32 vcc_lo, exec_lo, s0
	s_cbranch_vccnz .LBB25_12
.LBB25_871:
	v_readlane_b32 s6, v255, 3
	s_abs_i32 s3, s60
	v_readlane_b32 s9, v255, 2
	v_readlane_b32 s11, v255, 1
	s_delay_alu instid0(VALU_DEP_3) | instskip(NEXT) | instid1(SALU_CYCLE_1)
	s_abs_i32 s0, s6
	v_cvt_f32_u32_e32 v0, s0
	s_sub_i32 s2, 0, s0
	s_delay_alu instid0(VALU_DEP_1) | instskip(SKIP_2) | instid1(VALU_DEP_1)
	v_rcp_iflag_f32_e32 v0, v0
	s_waitcnt_depctr 0xfff
	v_mul_f32_e32 v0, 0x4f7ffffe, v0
	v_cvt_u32_f32_e32 v0, v0
	s_delay_alu instid0(VALU_DEP_1) | instskip(NEXT) | instid1(VALU_DEP_1)
	v_readfirstlane_b32 s1, v0
	s_mul_i32 s2, s2, s1
	s_delay_alu instid0(SALU_CYCLE_1) | instskip(NEXT) | instid1(SALU_CYCLE_1)
	s_mul_hi_u32 s2, s1, s2
	s_add_i32 s1, s1, s2
	s_xor_b32 s2, s60, s6
	s_mul_hi_u32 s1, s3, s1
	s_ashr_i32 s2, s2, 31
	s_mul_i32 s4, s1, s0
	s_delay_alu instid0(SALU_CYCLE_1)
	s_sub_i32 s3, s3, s4
	s_add_i32 s4, s1, 1
	s_sub_i32 s5, s3, s0
	s_cmp_ge_u32 s3, s0
	s_cselect_b32 s1, s4, s1
	s_cselect_b32 s3, s5, s3
	s_add_i32 s4, s1, 1
	s_cmp_ge_u32 s3, s0
	s_cselect_b32 s0, s4, s1
	s_abs_i32 s1, s9
	s_xor_b32 s0, s0, s2
	v_cvt_f32_u32_e32 v0, s1
	s_sub_i32 s2, s0, s2
	s_sub_i32 s0, 0, s1
	s_mul_i32 s4, s2, s6
	s_delay_alu instid0(VALU_DEP_1) | instskip(SKIP_1) | instid1(SALU_CYCLE_1)
	v_rcp_iflag_f32_e32 v0, v0
	s_sub_i32 s4, s60, s4
	s_abs_i32 s5, s4
	s_waitcnt_depctr 0xfff
	v_mul_f32_e32 v0, 0x4f7ffffe, v0
	s_delay_alu instid0(VALU_DEP_1) | instskip(NEXT) | instid1(VALU_DEP_1)
	v_cvt_u32_f32_e32 v0, v0
	v_readfirstlane_b32 s3, v0
	s_delay_alu instid0(VALU_DEP_1) | instskip(NEXT) | instid1(SALU_CYCLE_1)
	s_mul_i32 s0, s0, s3
	s_mul_hi_u32 s0, s3, s0
	s_delay_alu instid0(SALU_CYCLE_1) | instskip(NEXT) | instid1(SALU_CYCLE_1)
	s_add_i32 s3, s3, s0
	s_mul_hi_u32 s0, s5, s3
	s_xor_b32 s3, s4, s9
	s_mul_i32 s6, s0, s1
	s_ashr_i32 s3, s3, 31
	s_sub_i32 s5, s5, s6
	s_add_i32 s6, s0, 1
	s_sub_i32 s7, s5, s1
	s_cmp_ge_u32 s5, s1
	s_cselect_b32 s0, s6, s0
	s_cselect_b32 s5, s7, s5
	s_add_i32 s6, s0, 1
	s_cmp_ge_u32 s5, s1
	s_cselect_b32 s0, s6, s0
	s_abs_i32 s1, s11
	s_xor_b32 s0, s0, s3
	v_cvt_f32_u32_e32 v0, s1
	s_sub_i32 s3, s0, s3
	s_sub_i32 s0, 0, s1
	s_mul_i32 s6, s3, s9
	s_delay_alu instid0(VALU_DEP_1) | instskip(SKIP_1) | instid1(SALU_CYCLE_1)
	v_rcp_iflag_f32_e32 v0, v0
	s_sub_i32 s4, s4, s6
	s_abs_i32 s6, s4
	s_waitcnt_depctr 0xfff
	v_mul_f32_e32 v0, 0x4f7ffffe, v0
	s_delay_alu instid0(VALU_DEP_1) | instskip(NEXT) | instid1(VALU_DEP_1)
	v_cvt_u32_f32_e32 v0, v0
	v_readfirstlane_b32 s5, v0
	s_delay_alu instid0(VALU_DEP_1) | instskip(NEXT) | instid1(SALU_CYCLE_1)
	s_mul_i32 s0, s0, s5
	s_mul_hi_u32 s0, s5, s0
	s_delay_alu instid0(SALU_CYCLE_1) | instskip(NEXT) | instid1(SALU_CYCLE_1)
	s_add_i32 s5, s5, s0
	s_mul_hi_u32 s0, s6, s5
	s_xor_b32 s5, s4, s11
	s_mul_i32 s7, s0, s1
	s_ashr_i32 s5, s5, 31
	s_sub_i32 s6, s6, s7
	s_add_i32 s7, s0, 1
	s_sub_i32 s9, s6, s1
	s_cmp_ge_u32 s6, s1
	s_cselect_b32 s0, s7, s0
	s_cselect_b32 s6, s9, s6
	s_add_i32 s7, s0, 1
	s_cmp_ge_u32 s6, s1
	s_cselect_b32 s0, s7, s0
	v_readlane_b32 s7, v255, 10
	s_xor_b32 s0, s0, s5
	s_delay_alu instid0(SALU_CYCLE_1) | instskip(NEXT) | instid1(SALU_CYCLE_1)
	s_sub_i32 s0, s0, s5
	s_mul_i32 s1, s0, s11
	s_delay_alu instid0(SALU_CYCLE_1) | instskip(NEXT) | instid1(SALU_CYCLE_1)
	s_sub_i32 s1, s4, s1
	s_abs_i32 s4, s1
	s_ashr_i32 s1, s1, 31
	s_mul_hi_u32 s5, s4, s86
	s_xor_b32 s1, s1, s7
	s_mul_i32 s6, s5, s84
	s_delay_alu instid0(SALU_CYCLE_1)
	s_sub_i32 s4, s4, s6
	s_add_i32 s6, s5, 1
	s_sub_i32 s7, s4, s84
	s_cmp_ge_u32 s4, s84
	s_cselect_b32 s5, s6, s5
	s_cselect_b32 s4, s7, s4
	s_add_i32 s6, s5, 1
	s_cmp_ge_u32 s4, s84
	s_cselect_b32 s5, s6, s5
	s_abs_i32 s4, s56
	s_xor_b32 s5, s5, s1
	v_cvt_f32_u32_e32 v0, s4
	s_sub_i32 s1, s5, s1
	s_cmp_eq_u64 s[26:27], 0
	s_delay_alu instid0(VALU_DEP_1) | instskip(SKIP_2) | instid1(VALU_DEP_1)
	v_rcp_iflag_f32_e32 v0, v0
	s_waitcnt_depctr 0xfff
	v_mul_f32_e32 v0, 0x4f7ffffe, v0
	v_cvt_u32_f32_e32 v0, v0
	s_delay_alu instid0(VALU_DEP_1)
	v_readfirstlane_b32 s7, v0
	v_mov_b32_e32 v0, s15
	s_cbranch_scc1 .LBB25_873
; %bb.872:
	v_readlane_b32 s5, v255, 0
	v_mov_b32_e32 v0, 0
	s_delay_alu instid0(VALU_DEP_2) | instskip(NEXT) | instid1(SALU_CYCLE_1)
	s_mul_i32 s5, s2, s5
	s_add_i32 s24, s1, s5
	s_delay_alu instid0(SALU_CYCLE_1) | instskip(NEXT) | instid1(SALU_CYCLE_1)
	s_ashr_i32 s25, s24, 31
	s_lshl_b64 s[24:25], s[24:25], 2
	s_delay_alu instid0(SALU_CYCLE_1) | instskip(SKIP_4) | instid1(VALU_DEP_1)
	s_add_u32 s24, s26, s24
	s_addc_u32 s25, s27, s25
	global_load_b32 v0, v0, s[24:25]
	s_waitcnt vmcnt(0)
	v_ashrrev_i32_e32 v1, 31, v0
	v_lshrrev_b32_e32 v1, 26, v1
	s_delay_alu instid0(VALU_DEP_1) | instskip(NEXT) | instid1(VALU_DEP_1)
	v_add_nc_u32_e32 v0, v0, v1
	v_ashrrev_i32_e32 v0, 6, v0
	s_delay_alu instid0(VALU_DEP_1)
	v_min_i32_e32 v0, s15, v0
.LBB25_873:
	scratch_load_b64 v[1:2], off, off offset:1196 ; 8-byte Folded Reload
	s_lshl_b32 s0, s0, 2
	v_readlane_b32 s24, v255, 6
	v_readlane_b32 s25, v255, 7
	s_mul_i32 s5, s3, s78
	s_delay_alu instid0(SALU_CYCLE_1) | instskip(NEXT) | instid1(VALU_DEP_1)
	s_add_i32 s5, s0, s5
	s_mul_i32 s6, s2, s25
	s_mul_i32 s5, s5, s24
	s_ashr_i32 s9, s6, 31
	s_add_u32 s6, s16, s6
	s_addc_u32 s9, s17, s9
	s_ashr_i32 s11, s5, 31
	s_add_u32 s5, s6, s5
	s_addc_u32 s6, s9, s11
	s_lshl_b32 s1, s1, 4
	s_waitcnt vmcnt(0)
	v_or_b32_e32 v2, s0, v1
	scratch_load_b32 v1, off, off offset:1228 ; 4-byte Folded Reload
	v_cmp_gt_i32_e32 vcc_lo, s78, v2
	s_clause 0x1
	scratch_load_b32 v2, off, off offset:1048
	scratch_load_b32 v3, off, off offset:1204
	s_xor_b32 s9, vcc_lo, -1
	s_waitcnt vmcnt(2)
	v_add_nc_u32_e32 v1, s1, v1
	s_delay_alu instid0(VALU_DEP_1) | instskip(SKIP_2) | instid1(VALU_DEP_2)
	v_cmp_le_i32_e64 s0, s8, v1
	s_waitcnt vmcnt(0)
	v_mad_u32_u24 v7, 0x44, v3, v2
	s_or_b32 s0, s0, s9
	s_delay_alu instid0(SALU_CYCLE_1) | instskip(NEXT) | instid1(SALU_CYCLE_1)
	s_and_saveexec_b32 s11, s0
	s_xor_b32 s0, exec_lo, s11
	s_cbranch_execz .LBB25_875
; %bb.874:
	v_lshl_add_u32 v1, v7, 2, 0
	v_mov_b32_e32 v2, 0
	ds_store_2addr_b32 v1, v2, v2 offset1:32
                                        ; implicit-def: $vgpr1
.LBB25_875:
	s_or_saveexec_b32 s0, s0
	v_readlane_b32 s16, v255, 13
	s_xor_b32 exec_lo, exec_lo, s0
	s_cbranch_execz .LBB25_877
; %bb.876:
	s_clause 0x1
	scratch_load_b64 v[2:3], off, off offset:1196
	scratch_load_b32 v3, off, off offset:1048
	v_mul_lo_u32 v1, v1, s61
	s_waitcnt vmcnt(1)
	v_mul_lo_u32 v2, v2, s16
	s_waitcnt vmcnt(0)
	s_delay_alu instid0(VALU_DEP_1) | instskip(NEXT) | instid1(VALU_DEP_1)
	v_add3_u32 v1, v1, v2, v3
	v_ashrrev_i32_e32 v2, 31, v1
	s_delay_alu instid0(VALU_DEP_1) | instskip(NEXT) | instid1(VALU_DEP_1)
	v_lshlrev_b64 v[1:2], 3, v[1:2]
	v_add_co_u32 v1, vcc_lo, s5, v1
	s_delay_alu instid0(VALU_DEP_2)
	v_add_co_ci_u32_e32 v2, vcc_lo, s6, v2, vcc_lo
	s_clause 0x1
	global_load_b64 v[3:4], v[1:2], off
	global_load_b64 v[1:2], v[1:2], off offset:256
	s_waitcnt vmcnt(1)
	v_cvt_f16_f32_e32 v3, v3
	v_cvt_f16_f32_e32 v4, v4
	s_waitcnt vmcnt(0)
	v_cvt_f16_f32_e32 v1, v1
	v_cvt_f16_f32_e32 v2, v2
	s_delay_alu instid0(VALU_DEP_3)
	v_pack_b32_f16 v3, v3, v4
	scratch_load_b32 v4, off, off offset:1180 ; 4-byte Folded Reload
	v_pack_b32_f16 v1, v1, v2
	v_lshl_add_u32 v2, v7, 2, 0
	s_waitcnt vmcnt(0)
	v_pk_mul_f16 v3, v4, v3
	s_delay_alu instid0(VALU_DEP_3)
	v_pk_mul_f16 v1, v4, v1
	ds_store_2addr_b32 v2, v3, v1 offset1:32
.LBB25_877:
	s_or_b32 exec_lo, exec_lo, s0
	scratch_load_b32 v1, off, off offset:1204 ; 4-byte Folded Reload
	s_waitcnt vmcnt(0)
	v_add_nc_u32_e32 v1, 4, v1
	s_delay_alu instid0(VALU_DEP_1) | instskip(NEXT) | instid1(VALU_DEP_1)
	v_lshrrev_b32_e32 v1, 2, v1
	v_add_nc_u32_e32 v1, s1, v1
	s_delay_alu instid0(VALU_DEP_1) | instskip(SKIP_1) | instid1(SALU_CYCLE_1)
	v_cmp_le_i32_e32 vcc_lo, s8, v1
	s_or_b32 s0, vcc_lo, s9
	s_and_saveexec_b32 s11, s0
	s_delay_alu instid0(SALU_CYCLE_1)
	s_xor_b32 s0, exec_lo, s11
	s_cbranch_execz .LBB25_879
; %bb.878:
	s_clause 0x1
	scratch_load_b32 v1, off, off offset:1048
	scratch_load_b32 v2, off, off offset:1204
	s_waitcnt vmcnt(0)
	v_add_nc_u32_e32 v2, 4, v2
	s_delay_alu instid0(VALU_DEP_1) | instskip(SKIP_1) | instid1(VALU_DEP_2)
	v_mad_u32_u24 v1, 0x44, v2, v1
	v_mov_b32_e32 v2, 0
	v_lshl_add_u32 v1, v1, 2, 0
	ds_store_2addr_b32 v1, v2, v2 offset1:32
                                        ; implicit-def: $vgpr1
.LBB25_879:
	s_and_not1_saveexec_b32 s0, s0
	s_cbranch_execz .LBB25_881
; %bb.880:
	s_clause 0x1
	scratch_load_b64 v[2:3], off, off offset:1196
	scratch_load_b32 v5, off, off offset:1048
	v_mul_lo_u32 v1, v1, s61
	s_waitcnt vmcnt(1)
	v_mul_lo_u32 v2, v2, s16
	s_waitcnt vmcnt(0)
	s_delay_alu instid0(VALU_DEP_1) | instskip(NEXT) | instid1(VALU_DEP_1)
	v_add3_u32 v1, v1, v2, v5
	v_ashrrev_i32_e32 v2, 31, v1
	s_delay_alu instid0(VALU_DEP_1) | instskip(NEXT) | instid1(VALU_DEP_1)
	v_lshlrev_b64 v[1:2], 3, v[1:2]
	v_add_co_u32 v1, vcc_lo, s5, v1
	s_delay_alu instid0(VALU_DEP_2)
	v_add_co_ci_u32_e32 v2, vcc_lo, s6, v2, vcc_lo
	s_clause 0x1
	global_load_b64 v[3:4], v[1:2], off
	global_load_b64 v[1:2], v[1:2], off offset:256
	scratch_load_b32 v6, off, off offset:1204 ; 4-byte Folded Reload
	s_waitcnt vmcnt(2)
	v_cvt_f16_f32_e32 v3, v3
	v_cvt_f16_f32_e32 v4, v4
	s_waitcnt vmcnt(1)
	v_cvt_f16_f32_e32 v1, v1
	v_cvt_f16_f32_e32 v2, v2
	s_delay_alu instid0(VALU_DEP_3) | instskip(SKIP_4) | instid1(VALU_DEP_2)
	v_pack_b32_f16 v3, v3, v4
	scratch_load_b32 v4, off, off offset:1180 ; 4-byte Folded Reload
	s_waitcnt vmcnt(1)
	v_add_nc_u32_e32 v6, 4, v6
	v_pack_b32_f16 v1, v1, v2
	v_mad_u32_u24 v5, 0x44, v6, v5
	s_delay_alu instid0(VALU_DEP_1)
	v_lshl_add_u32 v2, v5, 2, 0
	s_waitcnt vmcnt(0)
	v_pk_mul_f16 v3, v4, v3
	v_pk_mul_f16 v1, v4, v1
	ds_store_2addr_b32 v2, v3, v1 offset1:32
.LBB25_881:
	s_or_b32 exec_lo, exec_lo, s0
	scratch_load_b32 v1, off, off offset:1204 ; 4-byte Folded Reload
	s_waitcnt vmcnt(0)
	v_add_nc_u32_e32 v1, 8, v1
	s_delay_alu instid0(VALU_DEP_1) | instskip(NEXT) | instid1(VALU_DEP_1)
	v_lshrrev_b32_e32 v1, 2, v1
	v_add_nc_u32_e32 v1, s1, v1
	s_delay_alu instid0(VALU_DEP_1) | instskip(SKIP_1) | instid1(SALU_CYCLE_1)
	v_cmp_le_i32_e32 vcc_lo, s8, v1
	s_or_b32 s0, vcc_lo, s9
	s_and_saveexec_b32 s11, s0
	s_delay_alu instid0(SALU_CYCLE_1)
	s_xor_b32 s0, exec_lo, s11
	s_cbranch_execz .LBB25_883
; %bb.882:
	s_clause 0x1
	scratch_load_b32 v1, off, off offset:1048
	scratch_load_b32 v2, off, off offset:1204
	s_waitcnt vmcnt(0)
	v_add_nc_u32_e32 v2, 8, v2
	s_delay_alu instid0(VALU_DEP_1) | instskip(SKIP_1) | instid1(VALU_DEP_2)
	v_mad_u32_u24 v1, 0x44, v2, v1
	v_mov_b32_e32 v2, 0
	v_lshl_add_u32 v1, v1, 2, 0
	ds_store_2addr_b32 v1, v2, v2 offset1:32
                                        ; implicit-def: $vgpr1
.LBB25_883:
	s_and_not1_saveexec_b32 s0, s0
	s_cbranch_execz .LBB25_885
; %bb.884:
	s_clause 0x1
	scratch_load_b64 v[2:3], off, off offset:1196
	scratch_load_b32 v5, off, off offset:1048
	v_mul_lo_u32 v1, v1, s61
	s_waitcnt vmcnt(1)
	v_mul_lo_u32 v2, v2, s16
	s_waitcnt vmcnt(0)
	s_delay_alu instid0(VALU_DEP_1) | instskip(NEXT) | instid1(VALU_DEP_1)
	v_add3_u32 v1, v1, v2, v5
	v_ashrrev_i32_e32 v2, 31, v1
	s_delay_alu instid0(VALU_DEP_1) | instskip(NEXT) | instid1(VALU_DEP_1)
	v_lshlrev_b64 v[1:2], 3, v[1:2]
	v_add_co_u32 v1, vcc_lo, s5, v1
	s_delay_alu instid0(VALU_DEP_2)
	v_add_co_ci_u32_e32 v2, vcc_lo, s6, v2, vcc_lo
	s_clause 0x1
	global_load_b64 v[3:4], v[1:2], off
	global_load_b64 v[1:2], v[1:2], off offset:256
	scratch_load_b32 v6, off, off offset:1204 ; 4-byte Folded Reload
	s_waitcnt vmcnt(2)
	v_cvt_f16_f32_e32 v3, v3
	v_cvt_f16_f32_e32 v4, v4
	s_waitcnt vmcnt(1)
	v_cvt_f16_f32_e32 v1, v1
	v_cvt_f16_f32_e32 v2, v2
	s_delay_alu instid0(VALU_DEP_3) | instskip(SKIP_4) | instid1(VALU_DEP_2)
	v_pack_b32_f16 v3, v3, v4
	scratch_load_b32 v4, off, off offset:1180 ; 4-byte Folded Reload
	s_waitcnt vmcnt(1)
	v_add_nc_u32_e32 v6, 8, v6
	v_pack_b32_f16 v1, v1, v2
	v_mad_u32_u24 v5, 0x44, v6, v5
	s_delay_alu instid0(VALU_DEP_1)
	v_lshl_add_u32 v2, v5, 2, 0
	s_waitcnt vmcnt(0)
	v_pk_mul_f16 v3, v4, v3
	v_pk_mul_f16 v1, v4, v1
	ds_store_2addr_b32 v2, v3, v1 offset1:32
.LBB25_885:
	s_or_b32 exec_lo, exec_lo, s0
	scratch_load_b32 v1, off, off offset:1204 ; 4-byte Folded Reload
	s_waitcnt vmcnt(0)
	v_add_nc_u32_e32 v1, 12, v1
	s_delay_alu instid0(VALU_DEP_1) | instskip(NEXT) | instid1(VALU_DEP_1)
	v_lshrrev_b32_e32 v1, 2, v1
	v_add_nc_u32_e32 v1, s1, v1
	s_delay_alu instid0(VALU_DEP_1) | instskip(SKIP_1) | instid1(SALU_CYCLE_1)
	v_cmp_le_i32_e32 vcc_lo, s8, v1
	s_or_b32 s0, vcc_lo, s9
	s_and_saveexec_b32 s11, s0
	s_delay_alu instid0(SALU_CYCLE_1)
	s_xor_b32 s0, exec_lo, s11
	s_cbranch_execz .LBB25_887
; %bb.886:
	s_clause 0x1
	scratch_load_b32 v1, off, off offset:1048
	scratch_load_b32 v2, off, off offset:1204
	s_waitcnt vmcnt(0)
	v_add_nc_u32_e32 v2, 12, v2
	s_delay_alu instid0(VALU_DEP_1) | instskip(SKIP_1) | instid1(VALU_DEP_2)
	v_mad_u32_u24 v1, 0x44, v2, v1
	v_mov_b32_e32 v2, 0
	v_lshl_add_u32 v1, v1, 2, 0
	ds_store_2addr_b32 v1, v2, v2 offset1:32
                                        ; implicit-def: $vgpr1
.LBB25_887:
	s_and_not1_saveexec_b32 s0, s0
	s_cbranch_execz .LBB25_889
; %bb.888:
	s_clause 0x1
	scratch_load_b64 v[2:3], off, off offset:1196
	scratch_load_b32 v5, off, off offset:1048
	v_mul_lo_u32 v1, v1, s61
	s_waitcnt vmcnt(1)
	v_mul_lo_u32 v2, v2, s16
	s_waitcnt vmcnt(0)
	s_delay_alu instid0(VALU_DEP_1) | instskip(NEXT) | instid1(VALU_DEP_1)
	v_add3_u32 v1, v1, v2, v5
	v_ashrrev_i32_e32 v2, 31, v1
	s_delay_alu instid0(VALU_DEP_1) | instskip(NEXT) | instid1(VALU_DEP_1)
	v_lshlrev_b64 v[1:2], 3, v[1:2]
	v_add_co_u32 v1, vcc_lo, s5, v1
	s_delay_alu instid0(VALU_DEP_2)
	v_add_co_ci_u32_e32 v2, vcc_lo, s6, v2, vcc_lo
	s_clause 0x1
	global_load_b64 v[3:4], v[1:2], off
	global_load_b64 v[1:2], v[1:2], off offset:256
	scratch_load_b32 v6, off, off offset:1204 ; 4-byte Folded Reload
	s_waitcnt vmcnt(2)
	v_cvt_f16_f32_e32 v3, v3
	v_cvt_f16_f32_e32 v4, v4
	s_waitcnt vmcnt(1)
	v_cvt_f16_f32_e32 v1, v1
	v_cvt_f16_f32_e32 v2, v2
	s_delay_alu instid0(VALU_DEP_3) | instskip(SKIP_4) | instid1(VALU_DEP_2)
	v_pack_b32_f16 v3, v3, v4
	scratch_load_b32 v4, off, off offset:1180 ; 4-byte Folded Reload
	s_waitcnt vmcnt(1)
	v_add_nc_u32_e32 v6, 12, v6
	v_pack_b32_f16 v1, v1, v2
	v_mad_u32_u24 v5, 0x44, v6, v5
	s_delay_alu instid0(VALU_DEP_1)
	v_lshl_add_u32 v2, v5, 2, 0
	s_waitcnt vmcnt(0)
	v_pk_mul_f16 v3, v4, v3
	v_pk_mul_f16 v1, v4, v1
	ds_store_2addr_b32 v2, v3, v1 offset1:32
.LBB25_889:
	s_or_b32 exec_lo, exec_lo, s0
	scratch_load_b32 v1, off, off offset:1204 ; 4-byte Folded Reload
	s_waitcnt vmcnt(0)
	v_add_nc_u32_e32 v2, 16, v1
	s_delay_alu instid0(VALU_DEP_1) | instskip(NEXT) | instid1(VALU_DEP_1)
	v_lshrrev_b32_e32 v1, 2, v2
	v_add_nc_u32_e32 v1, s1, v1
	s_delay_alu instid0(VALU_DEP_1) | instskip(SKIP_1) | instid1(SALU_CYCLE_1)
	v_cmp_le_i32_e32 vcc_lo, s8, v1
	s_or_b32 s0, vcc_lo, s9
	s_and_saveexec_b32 s11, s0
	s_delay_alu instid0(SALU_CYCLE_1)
	s_xor_b32 s0, exec_lo, s11
	s_cbranch_execz .LBB25_891
; %bb.890:
	scratch_load_b32 v1, off, off offset:1048 ; 4-byte Folded Reload
	s_waitcnt vmcnt(0)
	v_mad_u32_u24 v1, 0x44, v2, v1
	v_mov_b32_e32 v2, 0
	s_delay_alu instid0(VALU_DEP_2)
	v_lshl_add_u32 v1, v1, 2, 0
	ds_store_2addr_b32 v1, v2, v2 offset1:32
                                        ; implicit-def: $vgpr1
.LBB25_891:
	s_and_not1_saveexec_b32 s0, s0
	s_cbranch_execz .LBB25_893
; %bb.892:
	s_clause 0x1
	scratch_load_b64 v[2:3], off, off offset:1196
	scratch_load_b32 v5, off, off offset:1048
	v_mul_lo_u32 v1, v1, s61
	s_waitcnt vmcnt(1)
	v_mul_lo_u32 v2, v2, s16
	s_waitcnt vmcnt(0)
	s_delay_alu instid0(VALU_DEP_1) | instskip(NEXT) | instid1(VALU_DEP_1)
	v_add3_u32 v1, v1, v2, v5
	v_ashrrev_i32_e32 v2, 31, v1
	s_delay_alu instid0(VALU_DEP_1) | instskip(NEXT) | instid1(VALU_DEP_1)
	v_lshlrev_b64 v[1:2], 3, v[1:2]
	v_add_co_u32 v1, vcc_lo, s5, v1
	s_delay_alu instid0(VALU_DEP_2)
	v_add_co_ci_u32_e32 v2, vcc_lo, s6, v2, vcc_lo
	s_clause 0x1
	global_load_b64 v[3:4], v[1:2], off
	global_load_b64 v[1:2], v[1:2], off offset:256
	scratch_load_b32 v6, off, off offset:1204 ; 4-byte Folded Reload
	s_waitcnt vmcnt(2)
	v_cvt_f16_f32_e32 v3, v3
	v_cvt_f16_f32_e32 v4, v4
	s_waitcnt vmcnt(1)
	v_cvt_f16_f32_e32 v1, v1
	v_cvt_f16_f32_e32 v2, v2
	s_delay_alu instid0(VALU_DEP_3) | instskip(SKIP_4) | instid1(VALU_DEP_2)
	v_pack_b32_f16 v3, v3, v4
	scratch_load_b32 v4, off, off offset:1180 ; 4-byte Folded Reload
	s_waitcnt vmcnt(1)
	v_add_nc_u32_e32 v6, 16, v6
	v_pack_b32_f16 v1, v1, v2
	v_mad_u32_u24 v5, 0x44, v6, v5
	s_delay_alu instid0(VALU_DEP_1)
	v_lshl_add_u32 v2, v5, 2, 0
	s_waitcnt vmcnt(0)
	v_pk_mul_f16 v3, v4, v3
	v_pk_mul_f16 v1, v4, v1
	ds_store_2addr_b32 v2, v3, v1 offset1:32
.LBB25_893:
	s_or_b32 exec_lo, exec_lo, s0
	scratch_load_b32 v1, off, off offset:1204 ; 4-byte Folded Reload
	s_waitcnt vmcnt(0)
	v_add_nc_u32_e32 v2, 20, v1
	s_delay_alu instid0(VALU_DEP_1) | instskip(NEXT) | instid1(VALU_DEP_1)
	v_lshrrev_b32_e32 v1, 2, v2
	v_add_nc_u32_e32 v1, s1, v1
	s_delay_alu instid0(VALU_DEP_1) | instskip(SKIP_1) | instid1(SALU_CYCLE_1)
	v_cmp_le_i32_e32 vcc_lo, s8, v1
	s_or_b32 s0, vcc_lo, s9
	s_and_saveexec_b32 s11, s0
	s_delay_alu instid0(SALU_CYCLE_1)
	s_xor_b32 s0, exec_lo, s11
	s_cbranch_execz .LBB25_895
; %bb.894:
	scratch_load_b32 v1, off, off offset:1048 ; 4-byte Folded Reload
	s_waitcnt vmcnt(0)
	v_mad_u32_u24 v1, 0x44, v2, v1
	v_mov_b32_e32 v2, 0
	s_delay_alu instid0(VALU_DEP_2)
	v_lshl_add_u32 v1, v1, 2, 0
	ds_store_2addr_b32 v1, v2, v2 offset1:32
                                        ; implicit-def: $vgpr1
.LBB25_895:
	s_and_not1_saveexec_b32 s0, s0
	s_cbranch_execz .LBB25_897
; %bb.896:
	s_clause 0x1
	scratch_load_b64 v[2:3], off, off offset:1196
	scratch_load_b32 v5, off, off offset:1048
	v_mul_lo_u32 v1, v1, s61
	s_waitcnt vmcnt(1)
	v_mul_lo_u32 v2, v2, s16
	s_waitcnt vmcnt(0)
	s_delay_alu instid0(VALU_DEP_1) | instskip(NEXT) | instid1(VALU_DEP_1)
	v_add3_u32 v1, v1, v2, v5
	v_ashrrev_i32_e32 v2, 31, v1
	s_delay_alu instid0(VALU_DEP_1) | instskip(NEXT) | instid1(VALU_DEP_1)
	v_lshlrev_b64 v[1:2], 3, v[1:2]
	v_add_co_u32 v1, vcc_lo, s5, v1
	s_delay_alu instid0(VALU_DEP_2)
	v_add_co_ci_u32_e32 v2, vcc_lo, s6, v2, vcc_lo
	s_clause 0x1
	global_load_b64 v[3:4], v[1:2], off
	global_load_b64 v[1:2], v[1:2], off offset:256
	scratch_load_b32 v6, off, off offset:1204 ; 4-byte Folded Reload
	s_waitcnt vmcnt(2)
	v_cvt_f16_f32_e32 v3, v3
	v_cvt_f16_f32_e32 v4, v4
	s_waitcnt vmcnt(1)
	v_cvt_f16_f32_e32 v1, v1
	v_cvt_f16_f32_e32 v2, v2
	s_delay_alu instid0(VALU_DEP_3) | instskip(SKIP_4) | instid1(VALU_DEP_2)
	v_pack_b32_f16 v3, v3, v4
	scratch_load_b32 v4, off, off offset:1180 ; 4-byte Folded Reload
	s_waitcnt vmcnt(1)
	v_add_nc_u32_e32 v6, 20, v6
	v_pack_b32_f16 v1, v1, v2
	v_mad_u32_u24 v5, 0x44, v6, v5
	s_delay_alu instid0(VALU_DEP_1)
	v_lshl_add_u32 v2, v5, 2, 0
	s_waitcnt vmcnt(0)
	v_pk_mul_f16 v3, v4, v3
	v_pk_mul_f16 v1, v4, v1
	ds_store_2addr_b32 v2, v3, v1 offset1:32
.LBB25_897:
	s_or_b32 exec_lo, exec_lo, s0
	scratch_load_b32 v1, off, off offset:1204 ; 4-byte Folded Reload
	s_waitcnt vmcnt(0)
	v_add_nc_u32_e32 v2, 24, v1
	s_delay_alu instid0(VALU_DEP_1) | instskip(NEXT) | instid1(VALU_DEP_1)
	v_lshrrev_b32_e32 v1, 2, v2
	v_add_nc_u32_e32 v1, s1, v1
	s_delay_alu instid0(VALU_DEP_1) | instskip(SKIP_1) | instid1(SALU_CYCLE_1)
	v_cmp_le_i32_e32 vcc_lo, s8, v1
	s_or_b32 s0, vcc_lo, s9
	s_and_saveexec_b32 s11, s0
	s_delay_alu instid0(SALU_CYCLE_1)
	s_xor_b32 s0, exec_lo, s11
	s_cbranch_execz .LBB25_899
; %bb.898:
	scratch_load_b32 v1, off, off offset:1048 ; 4-byte Folded Reload
	s_waitcnt vmcnt(0)
	v_mad_u32_u24 v1, 0x44, v2, v1
	v_mov_b32_e32 v2, 0
	s_delay_alu instid0(VALU_DEP_2)
	v_lshl_add_u32 v1, v1, 2, 0
	ds_store_2addr_b32 v1, v2, v2 offset1:32
                                        ; implicit-def: $vgpr1
.LBB25_899:
	s_and_not1_saveexec_b32 s0, s0
	s_cbranch_execz .LBB25_901
; %bb.900:
	s_clause 0x1
	scratch_load_b64 v[2:3], off, off offset:1196
	scratch_load_b32 v5, off, off offset:1048
	v_mul_lo_u32 v1, v1, s61
	s_waitcnt vmcnt(1)
	v_mul_lo_u32 v2, v2, s16
	s_waitcnt vmcnt(0)
	s_delay_alu instid0(VALU_DEP_1) | instskip(NEXT) | instid1(VALU_DEP_1)
	v_add3_u32 v1, v1, v2, v5
	v_ashrrev_i32_e32 v2, 31, v1
	s_delay_alu instid0(VALU_DEP_1) | instskip(NEXT) | instid1(VALU_DEP_1)
	v_lshlrev_b64 v[1:2], 3, v[1:2]
	v_add_co_u32 v1, vcc_lo, s5, v1
	s_delay_alu instid0(VALU_DEP_2)
	v_add_co_ci_u32_e32 v2, vcc_lo, s6, v2, vcc_lo
	s_clause 0x1
	global_load_b64 v[3:4], v[1:2], off
	global_load_b64 v[1:2], v[1:2], off offset:256
	scratch_load_b32 v6, off, off offset:1204 ; 4-byte Folded Reload
	s_waitcnt vmcnt(2)
	v_cvt_f16_f32_e32 v3, v3
	v_cvt_f16_f32_e32 v4, v4
	s_waitcnt vmcnt(1)
	v_cvt_f16_f32_e32 v1, v1
	v_cvt_f16_f32_e32 v2, v2
	s_delay_alu instid0(VALU_DEP_3) | instskip(SKIP_4) | instid1(VALU_DEP_2)
	v_pack_b32_f16 v3, v3, v4
	scratch_load_b32 v4, off, off offset:1180 ; 4-byte Folded Reload
	s_waitcnt vmcnt(1)
	v_add_nc_u32_e32 v6, 24, v6
	v_pack_b32_f16 v1, v1, v2
	v_mad_u32_u24 v5, 0x44, v6, v5
	s_delay_alu instid0(VALU_DEP_1)
	v_lshl_add_u32 v2, v5, 2, 0
	s_waitcnt vmcnt(0)
	v_pk_mul_f16 v3, v4, v3
	v_pk_mul_f16 v1, v4, v1
	ds_store_2addr_b32 v2, v3, v1 offset1:32
.LBB25_901:
	s_or_b32 exec_lo, exec_lo, s0
	scratch_load_b32 v1, off, off offset:1204 ; 4-byte Folded Reload
	s_waitcnt vmcnt(0)
	v_add_nc_u32_e32 v2, 28, v1
	s_delay_alu instid0(VALU_DEP_1) | instskip(NEXT) | instid1(VALU_DEP_1)
	v_lshrrev_b32_e32 v1, 2, v2
	v_add_nc_u32_e32 v1, s1, v1
	s_delay_alu instid0(VALU_DEP_1) | instskip(SKIP_1) | instid1(SALU_CYCLE_1)
	v_cmp_le_i32_e32 vcc_lo, s8, v1
	s_or_b32 s0, vcc_lo, s9
	s_and_saveexec_b32 s11, s0
	s_delay_alu instid0(SALU_CYCLE_1)
	s_xor_b32 s0, exec_lo, s11
	s_cbranch_execz .LBB25_903
; %bb.902:
	scratch_load_b32 v1, off, off offset:1048 ; 4-byte Folded Reload
	s_waitcnt vmcnt(0)
	v_mad_u32_u24 v1, 0x44, v2, v1
	v_mov_b32_e32 v2, 0
	s_delay_alu instid0(VALU_DEP_2)
	v_lshl_add_u32 v1, v1, 2, 0
	ds_store_2addr_b32 v1, v2, v2 offset1:32
                                        ; implicit-def: $vgpr1
.LBB25_903:
	s_and_not1_saveexec_b32 s0, s0
	s_cbranch_execz .LBB25_905
; %bb.904:
	s_clause 0x1
	scratch_load_b64 v[2:3], off, off offset:1196
	scratch_load_b32 v5, off, off offset:1048
	v_mul_lo_u32 v1, v1, s61
	s_waitcnt vmcnt(1)
	v_mul_lo_u32 v2, v2, s16
	s_waitcnt vmcnt(0)
	s_delay_alu instid0(VALU_DEP_1) | instskip(NEXT) | instid1(VALU_DEP_1)
	v_add3_u32 v1, v1, v2, v5
	v_ashrrev_i32_e32 v2, 31, v1
	s_delay_alu instid0(VALU_DEP_1) | instskip(NEXT) | instid1(VALU_DEP_1)
	v_lshlrev_b64 v[1:2], 3, v[1:2]
	v_add_co_u32 v1, vcc_lo, s5, v1
	s_delay_alu instid0(VALU_DEP_2)
	v_add_co_ci_u32_e32 v2, vcc_lo, s6, v2, vcc_lo
	s_clause 0x1
	global_load_b64 v[3:4], v[1:2], off
	global_load_b64 v[1:2], v[1:2], off offset:256
	scratch_load_b32 v6, off, off offset:1204 ; 4-byte Folded Reload
	s_waitcnt vmcnt(2)
	v_cvt_f16_f32_e32 v3, v3
	v_cvt_f16_f32_e32 v4, v4
	s_waitcnt vmcnt(1)
	v_cvt_f16_f32_e32 v1, v1
	v_cvt_f16_f32_e32 v2, v2
	s_delay_alu instid0(VALU_DEP_3) | instskip(SKIP_4) | instid1(VALU_DEP_2)
	v_pack_b32_f16 v3, v3, v4
	scratch_load_b32 v4, off, off offset:1180 ; 4-byte Folded Reload
	s_waitcnt vmcnt(1)
	v_add_nc_u32_e32 v6, 28, v6
	v_pack_b32_f16 v1, v1, v2
	v_mad_u32_u24 v5, 0x44, v6, v5
	s_delay_alu instid0(VALU_DEP_1)
	v_lshl_add_u32 v2, v5, 2, 0
	s_waitcnt vmcnt(0)
	v_pk_mul_f16 v3, v4, v3
	v_pk_mul_f16 v1, v4, v1
	ds_store_2addr_b32 v2, v3, v1 offset1:32
.LBB25_905:
	s_or_b32 exec_lo, exec_lo, s0
	scratch_load_b32 v1, off, off offset:1204 ; 4-byte Folded Reload
	s_waitcnt vmcnt(0)
	v_add_nc_u32_e32 v2, 32, v1
	s_delay_alu instid0(VALU_DEP_1) | instskip(NEXT) | instid1(VALU_DEP_1)
	v_lshrrev_b32_e32 v1, 2, v2
	v_add_nc_u32_e32 v1, s1, v1
	s_delay_alu instid0(VALU_DEP_1) | instskip(SKIP_1) | instid1(SALU_CYCLE_1)
	v_cmp_le_i32_e32 vcc_lo, s8, v1
	s_or_b32 s0, vcc_lo, s9
	s_and_saveexec_b32 s11, s0
	s_delay_alu instid0(SALU_CYCLE_1)
	s_xor_b32 s0, exec_lo, s11
	s_cbranch_execz .LBB25_907
; %bb.906:
	scratch_load_b32 v1, off, off offset:1048 ; 4-byte Folded Reload
	s_waitcnt vmcnt(0)
	v_mad_u32_u24 v1, 0x44, v2, v1
	v_mov_b32_e32 v2, 0
	s_delay_alu instid0(VALU_DEP_2)
	v_lshl_add_u32 v1, v1, 2, 0
	ds_store_2addr_b32 v1, v2, v2 offset1:32
                                        ; implicit-def: $vgpr1
.LBB25_907:
	s_and_not1_saveexec_b32 s0, s0
	s_cbranch_execz .LBB25_909
; %bb.908:
	s_clause 0x1
	scratch_load_b64 v[2:3], off, off offset:1196
	scratch_load_b32 v5, off, off offset:1048
	v_mul_lo_u32 v1, v1, s61
	s_waitcnt vmcnt(1)
	v_mul_lo_u32 v2, v2, s16
	s_waitcnt vmcnt(0)
	s_delay_alu instid0(VALU_DEP_1) | instskip(NEXT) | instid1(VALU_DEP_1)
	v_add3_u32 v1, v1, v2, v5
	v_ashrrev_i32_e32 v2, 31, v1
	s_delay_alu instid0(VALU_DEP_1) | instskip(NEXT) | instid1(VALU_DEP_1)
	v_lshlrev_b64 v[1:2], 3, v[1:2]
	v_add_co_u32 v1, vcc_lo, s5, v1
	s_delay_alu instid0(VALU_DEP_2)
	v_add_co_ci_u32_e32 v2, vcc_lo, s6, v2, vcc_lo
	s_clause 0x1
	global_load_b64 v[3:4], v[1:2], off
	global_load_b64 v[1:2], v[1:2], off offset:256
	scratch_load_b32 v6, off, off offset:1204 ; 4-byte Folded Reload
	s_waitcnt vmcnt(2)
	v_cvt_f16_f32_e32 v3, v3
	v_cvt_f16_f32_e32 v4, v4
	s_waitcnt vmcnt(1)
	v_cvt_f16_f32_e32 v1, v1
	v_cvt_f16_f32_e32 v2, v2
	s_delay_alu instid0(VALU_DEP_3) | instskip(SKIP_4) | instid1(VALU_DEP_2)
	v_pack_b32_f16 v3, v3, v4
	scratch_load_b32 v4, off, off offset:1180 ; 4-byte Folded Reload
	s_waitcnt vmcnt(1)
	v_add_nc_u32_e32 v6, 32, v6
	v_pack_b32_f16 v1, v1, v2
	v_mad_u32_u24 v5, 0x44, v6, v5
	s_delay_alu instid0(VALU_DEP_1)
	v_lshl_add_u32 v2, v5, 2, 0
	s_waitcnt vmcnt(0)
	v_pk_mul_f16 v3, v4, v3
	v_pk_mul_f16 v1, v4, v1
	ds_store_2addr_b32 v2, v3, v1 offset1:32
.LBB25_909:
	s_or_b32 exec_lo, exec_lo, s0
	scratch_load_b32 v1, off, off offset:1204 ; 4-byte Folded Reload
	s_waitcnt vmcnt(0)
	v_add_nc_u32_e32 v2, 36, v1
	s_delay_alu instid0(VALU_DEP_1) | instskip(NEXT) | instid1(VALU_DEP_1)
	v_lshrrev_b32_e32 v1, 2, v2
	v_add_nc_u32_e32 v1, s1, v1
	s_delay_alu instid0(VALU_DEP_1) | instskip(SKIP_1) | instid1(SALU_CYCLE_1)
	v_cmp_le_i32_e32 vcc_lo, s8, v1
	s_or_b32 s0, vcc_lo, s9
	s_and_saveexec_b32 s11, s0
	s_delay_alu instid0(SALU_CYCLE_1)
	s_xor_b32 s0, exec_lo, s11
	s_cbranch_execz .LBB25_911
; %bb.910:
	scratch_load_b32 v1, off, off offset:1048 ; 4-byte Folded Reload
	s_waitcnt vmcnt(0)
	v_mad_u32_u24 v1, 0x44, v2, v1
	v_mov_b32_e32 v2, 0
	s_delay_alu instid0(VALU_DEP_2)
	v_lshl_add_u32 v1, v1, 2, 0
	ds_store_2addr_b32 v1, v2, v2 offset1:32
                                        ; implicit-def: $vgpr1
.LBB25_911:
	s_and_not1_saveexec_b32 s0, s0
	s_cbranch_execz .LBB25_913
; %bb.912:
	s_clause 0x1
	scratch_load_b64 v[2:3], off, off offset:1196
	scratch_load_b32 v5, off, off offset:1048
	v_mul_lo_u32 v1, v1, s61
	s_waitcnt vmcnt(1)
	v_mul_lo_u32 v2, v2, s16
	s_waitcnt vmcnt(0)
	s_delay_alu instid0(VALU_DEP_1) | instskip(NEXT) | instid1(VALU_DEP_1)
	v_add3_u32 v1, v1, v2, v5
	v_ashrrev_i32_e32 v2, 31, v1
	s_delay_alu instid0(VALU_DEP_1) | instskip(NEXT) | instid1(VALU_DEP_1)
	v_lshlrev_b64 v[1:2], 3, v[1:2]
	v_add_co_u32 v1, vcc_lo, s5, v1
	s_delay_alu instid0(VALU_DEP_2)
	v_add_co_ci_u32_e32 v2, vcc_lo, s6, v2, vcc_lo
	s_clause 0x1
	global_load_b64 v[3:4], v[1:2], off
	global_load_b64 v[1:2], v[1:2], off offset:256
	scratch_load_b32 v6, off, off offset:1204 ; 4-byte Folded Reload
	s_waitcnt vmcnt(2)
	v_cvt_f16_f32_e32 v3, v3
	v_cvt_f16_f32_e32 v4, v4
	s_waitcnt vmcnt(1)
	v_cvt_f16_f32_e32 v1, v1
	v_cvt_f16_f32_e32 v2, v2
	s_delay_alu instid0(VALU_DEP_3) | instskip(SKIP_4) | instid1(VALU_DEP_2)
	v_pack_b32_f16 v3, v3, v4
	scratch_load_b32 v4, off, off offset:1180 ; 4-byte Folded Reload
	s_waitcnt vmcnt(1)
	v_add_nc_u32_e32 v6, 36, v6
	v_pack_b32_f16 v1, v1, v2
	v_mad_u32_u24 v5, 0x44, v6, v5
	s_delay_alu instid0(VALU_DEP_1)
	v_lshl_add_u32 v2, v5, 2, 0
	s_waitcnt vmcnt(0)
	v_pk_mul_f16 v3, v4, v3
	v_pk_mul_f16 v1, v4, v1
	ds_store_2addr_b32 v2, v3, v1 offset1:32
.LBB25_913:
	s_or_b32 exec_lo, exec_lo, s0
	scratch_load_b32 v1, off, off offset:1204 ; 4-byte Folded Reload
	s_waitcnt vmcnt(0)
	v_add_nc_u32_e32 v2, 40, v1
	s_delay_alu instid0(VALU_DEP_1) | instskip(NEXT) | instid1(VALU_DEP_1)
	v_lshrrev_b32_e32 v1, 2, v2
	v_add_nc_u32_e32 v1, s1, v1
	s_delay_alu instid0(VALU_DEP_1) | instskip(SKIP_1) | instid1(SALU_CYCLE_1)
	v_cmp_le_i32_e32 vcc_lo, s8, v1
	s_or_b32 s0, vcc_lo, s9
	s_and_saveexec_b32 s11, s0
	s_delay_alu instid0(SALU_CYCLE_1)
	s_xor_b32 s0, exec_lo, s11
	s_cbranch_execz .LBB25_915
; %bb.914:
	scratch_load_b32 v1, off, off offset:1048 ; 4-byte Folded Reload
	s_waitcnt vmcnt(0)
	v_mad_u32_u24 v1, 0x44, v2, v1
	v_mov_b32_e32 v2, 0
	s_delay_alu instid0(VALU_DEP_2)
	v_lshl_add_u32 v1, v1, 2, 0
	ds_store_2addr_b32 v1, v2, v2 offset1:32
                                        ; implicit-def: $vgpr1
.LBB25_915:
	s_and_not1_saveexec_b32 s0, s0
	s_cbranch_execz .LBB25_917
; %bb.916:
	s_clause 0x1
	scratch_load_b64 v[2:3], off, off offset:1196
	scratch_load_b32 v5, off, off offset:1048
	v_mul_lo_u32 v1, v1, s61
	s_waitcnt vmcnt(1)
	v_mul_lo_u32 v2, v2, s16
	s_waitcnt vmcnt(0)
	s_delay_alu instid0(VALU_DEP_1) | instskip(NEXT) | instid1(VALU_DEP_1)
	v_add3_u32 v1, v1, v2, v5
	v_ashrrev_i32_e32 v2, 31, v1
	s_delay_alu instid0(VALU_DEP_1) | instskip(NEXT) | instid1(VALU_DEP_1)
	v_lshlrev_b64 v[1:2], 3, v[1:2]
	v_add_co_u32 v1, vcc_lo, s5, v1
	s_delay_alu instid0(VALU_DEP_2)
	v_add_co_ci_u32_e32 v2, vcc_lo, s6, v2, vcc_lo
	s_clause 0x1
	global_load_b64 v[3:4], v[1:2], off
	global_load_b64 v[1:2], v[1:2], off offset:256
	scratch_load_b32 v6, off, off offset:1204 ; 4-byte Folded Reload
	s_waitcnt vmcnt(2)
	v_cvt_f16_f32_e32 v3, v3
	v_cvt_f16_f32_e32 v4, v4
	s_waitcnt vmcnt(1)
	v_cvt_f16_f32_e32 v1, v1
	v_cvt_f16_f32_e32 v2, v2
	s_delay_alu instid0(VALU_DEP_3) | instskip(SKIP_4) | instid1(VALU_DEP_2)
	v_pack_b32_f16 v3, v3, v4
	scratch_load_b32 v4, off, off offset:1180 ; 4-byte Folded Reload
	s_waitcnt vmcnt(1)
	v_add_nc_u32_e32 v6, 40, v6
	v_pack_b32_f16 v1, v1, v2
	v_mad_u32_u24 v5, 0x44, v6, v5
	s_delay_alu instid0(VALU_DEP_1)
	v_lshl_add_u32 v2, v5, 2, 0
	s_waitcnt vmcnt(0)
	v_pk_mul_f16 v3, v4, v3
	v_pk_mul_f16 v1, v4, v1
	ds_store_2addr_b32 v2, v3, v1 offset1:32
.LBB25_917:
	s_or_b32 exec_lo, exec_lo, s0
	scratch_load_b32 v1, off, off offset:1204 ; 4-byte Folded Reload
	s_waitcnt vmcnt(0)
	v_add_nc_u32_e32 v2, 44, v1
	s_delay_alu instid0(VALU_DEP_1) | instskip(NEXT) | instid1(VALU_DEP_1)
	v_lshrrev_b32_e32 v1, 2, v2
	v_add_nc_u32_e32 v1, s1, v1
	s_delay_alu instid0(VALU_DEP_1) | instskip(SKIP_1) | instid1(SALU_CYCLE_1)
	v_cmp_le_i32_e32 vcc_lo, s8, v1
	s_or_b32 s0, vcc_lo, s9
	s_and_saveexec_b32 s11, s0
	s_delay_alu instid0(SALU_CYCLE_1)
	s_xor_b32 s0, exec_lo, s11
	s_cbranch_execz .LBB25_919
; %bb.918:
	scratch_load_b32 v1, off, off offset:1048 ; 4-byte Folded Reload
	s_waitcnt vmcnt(0)
	v_mad_u32_u24 v1, 0x44, v2, v1
	v_mov_b32_e32 v2, 0
	s_delay_alu instid0(VALU_DEP_2)
	v_lshl_add_u32 v1, v1, 2, 0
	ds_store_2addr_b32 v1, v2, v2 offset1:32
                                        ; implicit-def: $vgpr1
.LBB25_919:
	s_and_not1_saveexec_b32 s0, s0
	s_cbranch_execz .LBB25_921
; %bb.920:
	s_clause 0x1
	scratch_load_b64 v[2:3], off, off offset:1196
	scratch_load_b32 v5, off, off offset:1048
	v_mul_lo_u32 v1, v1, s61
	s_waitcnt vmcnt(1)
	v_mul_lo_u32 v2, v2, s16
	s_waitcnt vmcnt(0)
	s_delay_alu instid0(VALU_DEP_1) | instskip(NEXT) | instid1(VALU_DEP_1)
	v_add3_u32 v1, v1, v2, v5
	v_ashrrev_i32_e32 v2, 31, v1
	s_delay_alu instid0(VALU_DEP_1) | instskip(NEXT) | instid1(VALU_DEP_1)
	v_lshlrev_b64 v[1:2], 3, v[1:2]
	v_add_co_u32 v1, vcc_lo, s5, v1
	s_delay_alu instid0(VALU_DEP_2)
	v_add_co_ci_u32_e32 v2, vcc_lo, s6, v2, vcc_lo
	s_clause 0x1
	global_load_b64 v[3:4], v[1:2], off
	global_load_b64 v[1:2], v[1:2], off offset:256
	scratch_load_b32 v6, off, off offset:1204 ; 4-byte Folded Reload
	s_waitcnt vmcnt(2)
	v_cvt_f16_f32_e32 v3, v3
	v_cvt_f16_f32_e32 v4, v4
	s_waitcnt vmcnt(1)
	v_cvt_f16_f32_e32 v1, v1
	v_cvt_f16_f32_e32 v2, v2
	s_delay_alu instid0(VALU_DEP_3) | instskip(SKIP_4) | instid1(VALU_DEP_2)
	v_pack_b32_f16 v3, v3, v4
	scratch_load_b32 v4, off, off offset:1180 ; 4-byte Folded Reload
	s_waitcnt vmcnt(1)
	v_add_nc_u32_e32 v6, 44, v6
	v_pack_b32_f16 v1, v1, v2
	v_mad_u32_u24 v5, 0x44, v6, v5
	s_delay_alu instid0(VALU_DEP_1)
	v_lshl_add_u32 v2, v5, 2, 0
	s_waitcnt vmcnt(0)
	v_pk_mul_f16 v3, v4, v3
	v_pk_mul_f16 v1, v4, v1
	ds_store_2addr_b32 v2, v3, v1 offset1:32
.LBB25_921:
	s_or_b32 exec_lo, exec_lo, s0
	scratch_load_b32 v1, off, off offset:1204 ; 4-byte Folded Reload
	s_waitcnt vmcnt(0)
	v_add_nc_u32_e32 v2, 48, v1
	s_delay_alu instid0(VALU_DEP_1) | instskip(NEXT) | instid1(VALU_DEP_1)
	v_lshrrev_b32_e32 v1, 2, v2
	v_add_nc_u32_e32 v1, s1, v1
	s_delay_alu instid0(VALU_DEP_1) | instskip(SKIP_1) | instid1(SALU_CYCLE_1)
	v_cmp_le_i32_e32 vcc_lo, s8, v1
	s_or_b32 s0, vcc_lo, s9
	s_and_saveexec_b32 s11, s0
	s_delay_alu instid0(SALU_CYCLE_1)
	s_xor_b32 s0, exec_lo, s11
	s_cbranch_execz .LBB25_923
; %bb.922:
	scratch_load_b32 v1, off, off offset:1048 ; 4-byte Folded Reload
	s_waitcnt vmcnt(0)
	v_mad_u32_u24 v1, 0x44, v2, v1
	v_mov_b32_e32 v2, 0
	s_delay_alu instid0(VALU_DEP_2)
	v_lshl_add_u32 v1, v1, 2, 0
	ds_store_2addr_b32 v1, v2, v2 offset1:32
                                        ; implicit-def: $vgpr1
.LBB25_923:
	s_and_not1_saveexec_b32 s0, s0
	s_cbranch_execz .LBB25_925
; %bb.924:
	s_clause 0x1
	scratch_load_b64 v[2:3], off, off offset:1196
	scratch_load_b32 v5, off, off offset:1048
	v_mul_lo_u32 v1, v1, s61
	s_waitcnt vmcnt(1)
	v_mul_lo_u32 v2, v2, s16
	s_waitcnt vmcnt(0)
	s_delay_alu instid0(VALU_DEP_1) | instskip(NEXT) | instid1(VALU_DEP_1)
	v_add3_u32 v1, v1, v2, v5
	v_ashrrev_i32_e32 v2, 31, v1
	s_delay_alu instid0(VALU_DEP_1) | instskip(NEXT) | instid1(VALU_DEP_1)
	v_lshlrev_b64 v[1:2], 3, v[1:2]
	v_add_co_u32 v1, vcc_lo, s5, v1
	s_delay_alu instid0(VALU_DEP_2)
	v_add_co_ci_u32_e32 v2, vcc_lo, s6, v2, vcc_lo
	s_clause 0x1
	global_load_b64 v[3:4], v[1:2], off
	global_load_b64 v[1:2], v[1:2], off offset:256
	scratch_load_b32 v6, off, off offset:1204 ; 4-byte Folded Reload
	s_waitcnt vmcnt(2)
	v_cvt_f16_f32_e32 v3, v3
	v_cvt_f16_f32_e32 v4, v4
	s_waitcnt vmcnt(1)
	v_cvt_f16_f32_e32 v1, v1
	v_cvt_f16_f32_e32 v2, v2
	s_delay_alu instid0(VALU_DEP_3) | instskip(SKIP_4) | instid1(VALU_DEP_2)
	v_pack_b32_f16 v3, v3, v4
	scratch_load_b32 v4, off, off offset:1180 ; 4-byte Folded Reload
	s_waitcnt vmcnt(1)
	v_add_nc_u32_e32 v6, 48, v6
	v_pack_b32_f16 v1, v1, v2
	v_mad_u32_u24 v5, 0x44, v6, v5
	s_delay_alu instid0(VALU_DEP_1)
	v_lshl_add_u32 v2, v5, 2, 0
	s_waitcnt vmcnt(0)
	v_pk_mul_f16 v3, v4, v3
	v_pk_mul_f16 v1, v4, v1
	ds_store_2addr_b32 v2, v3, v1 offset1:32
.LBB25_925:
	s_or_b32 exec_lo, exec_lo, s0
	scratch_load_b32 v1, off, off offset:1204 ; 4-byte Folded Reload
	s_sub_i32 s0, 0, s4
	s_waitcnt vmcnt(0)
	v_add_nc_u32_e32 v2, 52, v1
	s_delay_alu instid0(VALU_DEP_1) | instskip(NEXT) | instid1(VALU_DEP_1)
	v_lshrrev_b32_e32 v1, 2, v2
	v_add_nc_u32_e32 v1, s1, v1
	s_delay_alu instid0(VALU_DEP_1) | instskip(SKIP_1) | instid1(SALU_CYCLE_1)
	v_cmp_le_i32_e32 vcc_lo, s8, v1
	s_or_b32 s11, vcc_lo, s9
	s_and_saveexec_b32 s13, s11
	s_delay_alu instid0(SALU_CYCLE_1)
	s_xor_b32 s11, exec_lo, s13
	s_cbranch_execz .LBB25_927
; %bb.926:
	scratch_load_b32 v1, off, off offset:1048 ; 4-byte Folded Reload
	s_waitcnt vmcnt(0)
	v_mad_u32_u24 v1, 0x44, v2, v1
	v_mov_b32_e32 v2, 0
	s_delay_alu instid0(VALU_DEP_2)
	v_lshl_add_u32 v1, v1, 2, 0
	ds_store_2addr_b32 v1, v2, v2 offset1:32
                                        ; implicit-def: $vgpr1
.LBB25_927:
	s_or_saveexec_b32 s11, s11
	s_mul_i32 s0, s0, s7
	s_xor_b32 exec_lo, exec_lo, s11
	s_cbranch_execz .LBB25_929
; %bb.928:
	s_clause 0x1
	scratch_load_b64 v[2:3], off, off offset:1196
	scratch_load_b32 v5, off, off offset:1048
	v_mul_lo_u32 v1, v1, s61
	s_waitcnt vmcnt(1)
	v_mul_lo_u32 v2, v2, s16
	s_waitcnt vmcnt(0)
	s_delay_alu instid0(VALU_DEP_1) | instskip(NEXT) | instid1(VALU_DEP_1)
	v_add3_u32 v1, v1, v2, v5
	v_ashrrev_i32_e32 v2, 31, v1
	s_delay_alu instid0(VALU_DEP_1) | instskip(NEXT) | instid1(VALU_DEP_1)
	v_lshlrev_b64 v[1:2], 3, v[1:2]
	v_add_co_u32 v1, vcc_lo, s5, v1
	s_delay_alu instid0(VALU_DEP_2)
	v_add_co_ci_u32_e32 v2, vcc_lo, s6, v2, vcc_lo
	s_clause 0x1
	global_load_b64 v[3:4], v[1:2], off
	global_load_b64 v[1:2], v[1:2], off offset:256
	scratch_load_b32 v6, off, off offset:1204 ; 4-byte Folded Reload
	s_waitcnt vmcnt(2)
	v_cvt_f16_f32_e32 v3, v3
	v_cvt_f16_f32_e32 v4, v4
	s_waitcnt vmcnt(1)
	v_cvt_f16_f32_e32 v1, v1
	v_cvt_f16_f32_e32 v2, v2
	s_delay_alu instid0(VALU_DEP_3) | instskip(SKIP_4) | instid1(VALU_DEP_2)
	v_pack_b32_f16 v3, v3, v4
	scratch_load_b32 v4, off, off offset:1180 ; 4-byte Folded Reload
	s_waitcnt vmcnt(1)
	v_add_nc_u32_e32 v6, 52, v6
	v_pack_b32_f16 v1, v1, v2
	v_mad_u32_u24 v5, 0x44, v6, v5
	s_delay_alu instid0(VALU_DEP_1)
	v_lshl_add_u32 v2, v5, 2, 0
	s_waitcnt vmcnt(0)
	v_pk_mul_f16 v3, v4, v3
	v_pk_mul_f16 v1, v4, v1
	ds_store_2addr_b32 v2, v3, v1 offset1:32
.LBB25_929:
	s_or_b32 exec_lo, exec_lo, s11
	scratch_load_b32 v1, off, off offset:1204 ; 4-byte Folded Reload
	s_mul_hi_u32 s13, s7, s0
	s_waitcnt vmcnt(0)
	v_add_nc_u32_e32 v2, 56, v1
	s_delay_alu instid0(VALU_DEP_1) | instskip(NEXT) | instid1(VALU_DEP_1)
	v_lshrrev_b32_e32 v1, 2, v2
	v_add_nc_u32_e32 v1, s1, v1
	s_delay_alu instid0(VALU_DEP_1) | instskip(SKIP_1) | instid1(SALU_CYCLE_1)
	v_cmp_le_i32_e32 vcc_lo, s8, v1
	s_or_b32 s0, vcc_lo, s9
	s_and_saveexec_b32 s11, s0
	s_delay_alu instid0(SALU_CYCLE_1)
	s_xor_b32 s0, exec_lo, s11
	s_cbranch_execz .LBB25_931
; %bb.930:
	scratch_load_b32 v1, off, off offset:1048 ; 4-byte Folded Reload
	s_waitcnt vmcnt(0)
	v_mad_u32_u24 v1, 0x44, v2, v1
	v_mov_b32_e32 v2, 0
	s_delay_alu instid0(VALU_DEP_2)
	v_lshl_add_u32 v1, v1, 2, 0
	ds_store_2addr_b32 v1, v2, v2 offset1:32
                                        ; implicit-def: $vgpr1
.LBB25_931:
	s_or_saveexec_b32 s0, s0
	s_abs_i32 s11, s2
	s_add_i32 s7, s7, s13
	s_xor_b32 exec_lo, exec_lo, s0
	s_cbranch_execz .LBB25_933
; %bb.932:
	s_clause 0x1
	scratch_load_b64 v[2:3], off, off offset:1196
	scratch_load_b32 v5, off, off offset:1048
	v_mul_lo_u32 v1, v1, s61
	s_waitcnt vmcnt(1)
	v_mul_lo_u32 v2, v2, s16
	s_waitcnt vmcnt(0)
	s_delay_alu instid0(VALU_DEP_1) | instskip(NEXT) | instid1(VALU_DEP_1)
	v_add3_u32 v1, v1, v2, v5
	v_ashrrev_i32_e32 v2, 31, v1
	s_delay_alu instid0(VALU_DEP_1) | instskip(NEXT) | instid1(VALU_DEP_1)
	v_lshlrev_b64 v[1:2], 3, v[1:2]
	v_add_co_u32 v1, vcc_lo, s5, v1
	s_delay_alu instid0(VALU_DEP_2)
	v_add_co_ci_u32_e32 v2, vcc_lo, s6, v2, vcc_lo
	s_clause 0x1
	global_load_b64 v[3:4], v[1:2], off
	global_load_b64 v[1:2], v[1:2], off offset:256
	scratch_load_b32 v6, off, off offset:1204 ; 4-byte Folded Reload
	s_waitcnt vmcnt(2)
	v_cvt_f16_f32_e32 v3, v3
	v_cvt_f16_f32_e32 v4, v4
	s_waitcnt vmcnt(1)
	v_cvt_f16_f32_e32 v1, v1
	v_cvt_f16_f32_e32 v2, v2
	s_delay_alu instid0(VALU_DEP_3) | instskip(SKIP_4) | instid1(VALU_DEP_2)
	v_pack_b32_f16 v3, v3, v4
	scratch_load_b32 v4, off, off offset:1180 ; 4-byte Folded Reload
	s_waitcnt vmcnt(1)
	v_add_nc_u32_e32 v6, 56, v6
	v_pack_b32_f16 v1, v1, v2
	v_mad_u32_u24 v5, 0x44, v6, v5
	s_delay_alu instid0(VALU_DEP_1)
	v_lshl_add_u32 v2, v5, 2, 0
	s_waitcnt vmcnt(0)
	v_pk_mul_f16 v3, v4, v3
	v_pk_mul_f16 v1, v4, v1
	ds_store_2addr_b32 v2, v3, v1 offset1:32
.LBB25_933:
	s_or_b32 exec_lo, exec_lo, s0
	scratch_load_b32 v1, off, off offset:1204 ; 4-byte Folded Reload
	s_mul_hi_u32 s7, s11, s7
	s_waitcnt vmcnt(0)
	v_add_nc_u32_e32 v2, 60, v1
	s_delay_alu instid0(VALU_DEP_1) | instskip(NEXT) | instid1(VALU_DEP_1)
	v_lshrrev_b32_e32 v1, 2, v2
	v_add_nc_u32_e32 v1, s1, v1
	s_delay_alu instid0(VALU_DEP_1) | instskip(SKIP_1) | instid1(SALU_CYCLE_1)
	v_cmp_le_i32_e32 vcc_lo, s8, v1
	s_or_b32 s0, vcc_lo, s9
	s_and_saveexec_b32 s9, s0
	s_delay_alu instid0(SALU_CYCLE_1)
	s_xor_b32 s0, exec_lo, s9
	s_cbranch_execz .LBB25_935
; %bb.934:
	scratch_load_b32 v1, off, off offset:1048 ; 4-byte Folded Reload
	s_waitcnt vmcnt(0)
	v_mad_u32_u24 v1, 0x44, v2, v1
	v_mov_b32_e32 v2, 0
	s_delay_alu instid0(VALU_DEP_2)
	v_lshl_add_u32 v1, v1, 2, 0
	ds_store_2addr_b32 v1, v2, v2 offset1:32
                                        ; implicit-def: $vgpr2
                                        ; implicit-def: $vgpr1
	scratch_store_b64 off, v[2:3], off offset:1196 ; 8-byte Folded Spill
                                        ; implicit-def: $vgpr2
                                        ; kill: killed $vgpr2
.LBB25_935:
	s_or_saveexec_b32 s9, s0
	s_ashr_i32 s0, s2, 31
	s_xor_b32 exec_lo, exec_lo, s9
	s_cbranch_execz .LBB25_937
; %bb.936:
	s_clause 0x1
	scratch_load_b64 v[2:3], off, off offset:1196
	scratch_load_b32 v5, off, off offset:1048
	v_mul_lo_u32 v1, v1, s61
	s_waitcnt vmcnt(1)
	v_mul_lo_u32 v2, v2, s16
	s_waitcnt vmcnt(0)
	s_delay_alu instid0(VALU_DEP_1) | instskip(NEXT) | instid1(VALU_DEP_1)
	v_add3_u32 v1, v1, v2, v5
	v_ashrrev_i32_e32 v2, 31, v1
	s_delay_alu instid0(VALU_DEP_1) | instskip(NEXT) | instid1(VALU_DEP_1)
	v_lshlrev_b64 v[1:2], 3, v[1:2]
	v_add_co_u32 v1, vcc_lo, s5, v1
	s_delay_alu instid0(VALU_DEP_2)
	v_add_co_ci_u32_e32 v2, vcc_lo, s6, v2, vcc_lo
	s_clause 0x1
	global_load_b64 v[3:4], v[1:2], off
	global_load_b64 v[1:2], v[1:2], off offset:256
	scratch_load_b32 v6, off, off offset:1204 ; 4-byte Folded Reload
	s_waitcnt vmcnt(2)
	v_cvt_f16_f32_e32 v3, v3
	v_cvt_f16_f32_e32 v4, v4
	s_waitcnt vmcnt(1)
	v_cvt_f16_f32_e32 v1, v1
	v_cvt_f16_f32_e32 v2, v2
	s_delay_alu instid0(VALU_DEP_3) | instskip(SKIP_4) | instid1(VALU_DEP_2)
	v_pack_b32_f16 v3, v3, v4
	scratch_load_b32 v4, off, off offset:1180 ; 4-byte Folded Reload
	s_waitcnt vmcnt(1)
	v_add_nc_u32_e32 v6, 60, v6
	v_pack_b32_f16 v1, v1, v2
	v_mad_u32_u24 v5, 0x44, v6, v5
	s_delay_alu instid0(VALU_DEP_1)
	v_lshl_add_u32 v2, v5, 2, 0
	s_waitcnt vmcnt(0)
	v_pk_mul_f16 v3, v4, v3
	v_pk_mul_f16 v1, v4, v1
	ds_store_2addr_b32 v2, v3, v1 offset1:32
.LBB25_937:
	s_or_b32 exec_lo, exec_lo, s9
	s_clause 0x1
	scratch_load_b32 v11, off, off offset:1048
	scratch_load_b32 v12, off, off offset:1204
	s_waitcnt vmcnt(0) lgkmcnt(0)
	s_waitcnt_vscnt null, 0x0
	s_barrier
	buffer_gl0_inv
	v_readlane_b32 s16, v255, 11
	s_mul_i32 s5, s2, s45
	s_mul_hi_u32 s6, s2, s44
	v_readlane_b32 s17, v255, 12
	s_add_i32 s5, s6, s5
	s_mul_i32 s6, s0, s44
	s_mul_i32 s9, s2, s44
	s_add_i32 s5, s5, s6
	s_add_u32 s6, s18, s9
	s_mul_i32 s9, s3, s17
	s_addc_u32 s5, s19, s5
	s_ashr_i32 s13, s9, 31
	s_mul_i32 s7, s7, s4
	s_add_u32 s15, s6, s9
	s_addc_u32 s24, s5, s13
	s_sub_i32 s5, s11, s7
	v_add_nc_u32_e32 v0, -1, v0
	s_sub_i32 s6, s5, s4
	s_cmp_ge_u32 s5, s4
	s_mul_i32 s3, s3, s47
	s_cselect_b32 s5, s6, s5
	v_cmp_lt_i32_e32 vcc_lo, s14, v0
	s_sub_i32 s6, s5, s4
	s_cmp_ge_u32 s5, s4
	s_cselect_b32 s4, s6, s5
	s_delay_alu instid0(SALU_CYCLE_1) | instskip(NEXT) | instid1(SALU_CYCLE_1)
	s_xor_b32 s4, s4, s0
	s_sub_i32 s4, s4, s0
	s_mul_i32 s0, s0, s52
	s_mul_i32 s5, s4, s55
	s_mul_hi_u32 s6, s4, s54
	s_ashr_i32 s7, s4, 31
	s_add_i32 s5, s6, s5
	s_mul_i32 s7, s7, s54
	s_mul_i32 s4, s4, s54
	s_add_i32 s5, s5, s7
	s_add_u32 s25, s22, s4
	s_addc_u32 s26, s23, s5
	s_mul_i32 s4, s2, s53
	s_mul_hi_u32 s5, s2, s52
	s_mul_i32 s2, s2, s52
	s_add_i32 s4, s5, s4
	s_delay_alu instid0(SALU_CYCLE_1)
	s_add_i32 s4, s4, s0
	s_add_u32 s0, s20, s2
	s_addc_u32 s2, s21, s4
	s_ashr_i32 s4, s3, 31
	s_add_u32 s11, s0, s3
	s_addc_u32 s13, s2, s4
	s_mov_b32 s0, 0
	s_movk_i32 s2, 0x110
	s_and_b32 vcc_lo, exec_lo, vcc_lo
	s_mov_b32 s3, -1
	v_and_b32_e32 v1, 15, v11
	v_mul_u32_u24_e32 v3, 0x1100, v12
	s_delay_alu instid0(VALU_DEP_2) | instskip(NEXT) | instid1(VALU_DEP_1)
	v_mul_u32_u24_e32 v2, 0x110, v1
	v_add3_u32 v3, 0, v3, v2
	ds_load_b128 v[240:243], v3
	ds_load_b128 v[244:247], v3 offset:16
	ds_load_b128 v[232:235], v3 offset:32
	;; [unrolled: 1-line block ×9, first 2 shown]
	s_waitcnt lgkmcnt(0)
	s_clause 0x1
	scratch_store_b128 off, v[13:16], off offset:32
	scratch_store_b128 off, v[17:20], off offset:48
	ds_load_b128 v[200:203], v3 offset:160
	ds_load_b128 v[204:207], v3 offset:176
	;; [unrolled: 1-line block ×6, first 2 shown]
	s_waitcnt lgkmcnt(0)
	s_clause 0x2
	scratch_store_b128 off, v[13:16], off
	scratch_store_b128 off, v[17:20], off offset:16
	scratch_store_b32 off, v0, off offset:612
	v_lshlrev_b32_e32 v0, 1, v11
	s_waitcnt_vscnt null, 0x0
	s_barrier
	buffer_gl0_inv
	s_clause 0x1
	scratch_store_b32 off, v7, off offset:824
	scratch_store_b32 off, v3, off offset:828
	s_cbranch_vccnz .LBB25_939
; %bb.938:
	v_add_nc_u32_e32 v3, s1, v12
	v_add_nc_u32_e32 v4, 4, v12
	v_add_nc_u32_e32 v5, 8, v12
	v_add_nc_u32_e32 v6, 12, v12
	s_movk_i32 s3, 0x240
	v_mul_hi_u32 v7, s48, v3
	v_add_nc_u32_e32 v4, s1, v4
	v_add_nc_u32_e32 v5, s1, v5
	;; [unrolled: 1-line block ×3, first 2 shown]
	v_mul_u32_u24_e32 v13, 0x90, v12
	v_mad_u32_u24 v14, 0x90, v12, s3
	v_mul_hi_u32 v8, s48, v4
	v_mul_hi_u32 v9, s48, v5
	v_add_nc_u32_e32 v7, v3, v7
	v_mul_hi_u32 v10, s48, v6
	s_movk_i32 s4, 0x480
	s_clause 0x1
	scratch_store_b32 off, v13, off offset:920
	scratch_store_b32 off, v14, off offset:952
	v_lshrrev_b32_e32 v7, s49, v7
	v_add_nc_u32_e32 v8, v4, v8
	v_add_nc_u32_e32 v9, v5, v9
	v_lshrrev_b32_e32 v13, 4, v11
	v_add_nc_u32_e32 v10, v6, v10
	v_mul_lo_u32 v7, v7, s8
	v_lshrrev_b32_e32 v8, s49, v8
	v_lshrrev_b32_e32 v9, s49, v9
	v_mad_u32_u24 v14, 0x90, v12, s4
	v_lshrrev_b32_e32 v10, s49, v10
	s_clause 0x1
	scratch_store_b32 off, v14, off offset:984
	scratch_store_b32 off, v13, off offset:512
	v_mul_lo_u32 v8, v8, s8
	v_mul_lo_u32 v9, v9, s8
	v_sub_nc_u32_e32 v3, v3, v7
	v_mul_lo_u32 v10, v10, s8
	v_lshl_add_u32 v13, v12, 1, v13
	s_movk_i32 s3, 0x6c0
	s_movk_i32 s4, 0x880
	s_ashr_i32 s7, s12, 31
	v_sub_nc_u32_e32 v4, v4, v8
	v_mad_i64_i32 v[7:8], null, v3, s50, 0
	v_sub_nc_u32_e32 v5, v5, v9
	v_sub_nc_u32_e32 v6, v6, v10
	scratch_store_b64 off, v[7:8], off offset:572 ; 8-byte Folded Spill
	v_mad_i64_i32 v[7:8], null, v4, s50, 0
	v_mad_i64_i32 v[3:4], null, v5, s50, 0
	v_mul_lo_u32 v5, s12, v13
	scratch_store_b64 off, v[7:8], off offset:548 ; 8-byte Folded Spill
	v_mad_i64_i32 v[7:8], null, v6, s50, 0
	v_ashrrev_i32_e32 v6, 31, v5
	scratch_store_b64 off, v[3:4], off offset:516 ; 8-byte Folded Spill
	v_mad_u32_u24 v3, 0x90, v12, s3
	v_mul_u32_u24_e32 v4, 0x110, v13
	s_lshl_b32 s3, s12, 3
	s_clause 0x2
	scratch_store_b64 off, v[5:6], off offset:524
	scratch_store_b32 off, v3, off offset:1016
	scratch_store_b32 off, v4, off offset:1052
	v_dual_mov_b32 v4, 0 :: v_dual_lshlrev_b32 v3, 2, v11
	s_delay_alu instid0(VALU_DEP_1)
	v_and_b32_e32 v3, 60, v3
	scratch_store_b64 off, v[7:8], off offset:532 ; 8-byte Folded Spill
	v_add_nc_u32_e32 v7, s3, v5
	scratch_store_b64 off, v[3:4], off offset:812 ; 8-byte Folded Spill
	v_add_nc_u32_e32 v3, 8, v13
	v_add_nc_u32_e32 v5, s3, v7
	v_ashrrev_i32_e32 v8, 31, v7
	scratch_store_b32 off, v3, off offset:852 ; 4-byte Folded Spill
	v_mad_u32_u24 v3, 0x110, v13, s4
	v_ashrrev_i32_e32 v6, 31, v5
	v_add_nc_u32_e32 v4, s3, v5
	scratch_store_b32 off, v3, off offset:1060 ; 4-byte Folded Spill
	v_add_nc_u32_e32 v3, 16, v13
	scratch_store_b32 off, v3, off offset:856 ; 4-byte Folded Spill
	v_mad_u32_u24 v3, v13, s2, 0x1100
	s_movk_i32 s2, 0x1980
	scratch_store_b32 off, v3, off offset:1068 ; 4-byte Folded Spill
	v_add_nc_u32_e32 v3, 24, v13
	scratch_store_b64 off, v[5:6], off offset:588 ; 8-byte Folded Spill
	v_add_nc_u32_e32 v6, s3, v4
	v_ashrrev_i32_e32 v5, 31, v4
	scratch_store_b32 off, v3, off offset:848 ; 4-byte Folded Spill
	v_mad_u32_u24 v3, 0x110, v13, s2
	s_movk_i32 s2, 0x2200
	scratch_store_b64 off, v[4:5], off offset:540 ; 8-byte Folded Spill
	v_add_nc_u32_e32 v4, s3, v6
	scratch_store_b32 off, v3, off offset:1076 ; 4-byte Folded Spill
	v_add_nc_u32_e32 v3, 32, v13
	scratch_store_b64 off, v[7:8], off offset:556 ; 8-byte Folded Spill
	v_ashrrev_i32_e32 v7, 31, v6
	v_ashrrev_i32_e32 v5, 31, v4
	scratch_store_b32 off, v3, off offset:832 ; 4-byte Folded Spill
	v_mad_u32_u24 v3, 0x110, v13, s2
	scratch_store_b64 off, v[6:7], off offset:564 ; 8-byte Folded Spill
	v_add_nc_u32_e32 v6, s3, v4
	s_movk_i32 s2, 0x2a80
	scratch_store_b32 off, v3, off offset:1084 ; 4-byte Folded Spill
	v_add_nc_u32_e32 v3, 40, v13
	v_ashrrev_i32_e32 v7, 31, v6
	scratch_store_b64 off, v[4:5], off offset:580 ; 8-byte Folded Spill
	v_add_nc_u32_e32 v4, s3, v6
	s_mov_b32 s3, 0
	s_clause 0x1
	scratch_store_b32 off, v3, off offset:836
	scratch_store_b64 off, v[6:7], off offset:596
	v_mad_u32_u24 v3, 0x110, v13, s2
	s_movk_i32 s2, 0x3300
	v_ashrrev_i32_e32 v5, 31, v4
	scratch_store_b32 off, v3, off offset:1092 ; 4-byte Folded Spill
	v_add_nc_u32_e32 v3, 48, v13
	scratch_store_b32 off, v3, off offset:840 ; 4-byte Folded Spill
	v_mad_u32_u24 v3, 0x110, v13, s2
	s_movk_i32 s2, 0x3b80
	scratch_store_b32 off, v3, off offset:1100 ; 4-byte Folded Spill
	v_add_nc_u32_e32 v3, 56, v13
	s_clause 0x1
	scratch_store_b32 off, v3, off offset:844
	scratch_store_b32 off, v13, off offset:888
	v_mad_u32_u24 v3, 0x110, v13, s2
	s_mov_b32 s2, 0xfeffffff
	s_clause 0x1
	scratch_store_b64 off, v[4:5], off offset:604
	scratch_store_b32 off, v3, off offset:1108
	s_branch .LBB25_940
.LBB25_939:
                                        ; implicit-def: $vgpr3
                                        ; kill: killed $vgpr3
                                        ; implicit-def: $sgpr0
                                        ; implicit-def: $sgpr2
                                        ; implicit-def: $sgpr6_sgpr7
                                        ; implicit-def: $vgpr3_vgpr4
                                        ; kill: killed $vgpr3_vgpr4
                                        ; implicit-def: $vgpr3
                                        ; kill: killed $vgpr3
                                        ; implicit-def: $vgpr3_vgpr4
                                        ; kill: killed $vgpr3_vgpr4
                                        ; implicit-def: $vgpr3
                                        ; kill: killed $vgpr3
	;; [unrolled: 4-line block ×4, first 2 shown]
                                        ; implicit-def: $vgpr3
                                        ; kill: killed $vgpr3
                                        ; implicit-def: $vgpr3
                                        ; kill: killed $vgpr3
                                        ; implicit-def: $vgpr3
	scratch_store_b64 off, v[3:4], off offset:812 ; 8-byte Folded Spill
                                        ; implicit-def: $vgpr3_vgpr4
                                        ; kill: killed $vgpr3_vgpr4
                                        ; implicit-def: $vgpr3
                                        ; kill: killed $vgpr3
                                        ; implicit-def: $vgpr3
                                        ; kill: killed $vgpr3
                                        ; implicit-def: $vgpr3_vgpr4
                                        ; kill: killed $vgpr3_vgpr4
                                        ; implicit-def: $vgpr3
                                        ; kill: killed $vgpr3
                                        ; implicit-def: $vgpr3
                                        ; kill: killed $vgpr3
	;; [unrolled: 6-line block ×7, first 2 shown]
                                        ; implicit-def: $vgpr3_vgpr4
                                        ; kill: killed $vgpr3_vgpr4
.LBB25_940:
	v_dual_mov_b32 v129, s0 :: v_dual_lshlrev_b32 v0, 1, v0
	v_dual_mov_b32 v31, s0 :: v_dual_mov_b32 v128, s2
	v_dual_mov_b32 v29, s0 :: v_dual_add_nc_u32 v254, 0, v2
	scratch_store_b32 off, v0, off offset:820 ; 4-byte Folded Spill
	v_dual_mov_b32 v27, s0 :: v_dual_lshlrev_b32 v0, 2, v1
	v_dual_mov_b32 v30, s0 :: v_dual_mov_b32 v25, s0
	v_dual_mov_b32 v28, s0 :: v_dual_mov_b32 v23, s0
	scratch_store_b32 off, v0, off offset:808 ; 4-byte Folded Spill
	v_dual_mov_b32 v26, s0 :: v_dual_mov_b32 v21, s0
	v_dual_mov_b32 v24, s0 :: v_dual_mov_b32 v19, s0
	;; [unrolled: 1-line block ×11, first 2 shown]
	v_mov_b32_e32 v4, s0
	v_mov_b32_e32 v2, s0
	;; [unrolled: 1-line block ×3, first 2 shown]
	s_and_not1_b32 vcc_lo, exec_lo, s3
	s_cbranch_vccnz .LBB25_1072
; %bb.941:
	s_clause 0x2
	scratch_load_b32 v9, off, off offset:1204
	scratch_load_b32 v8, off, off offset:820
	;; [unrolled: 1-line block ×3, first 2 shown]
	s_movk_i32 s2, 0x3300
	s_mov_b32 s16, 0
	s_ashr_i32 s7, s12, 31
	s_mov_b32 s17, s16
	s_mov_b32 s18, s16
	;; [unrolled: 1-line block ×8, first 2 shown]
	v_mov_b32_e32 v32, 0
	s_delay_alu instid0(VALU_DEP_1)
	v_mov_b32_e32 v21, v32
	v_mov_b32_e32 v22, v32
	;; [unrolled: 1-line block ×10, first 2 shown]
	s_waitcnt vmcnt(2)
	v_dual_mov_b32 v29, v32 :: v_dual_add_nc_u32 v0, s1, v9
	v_add_nc_u32_e32 v1, 4, v9
	v_add_nc_u32_e32 v2, 8, v9
	s_waitcnt vmcnt(1)
	v_add_nc_u32_e32 v16, 0, v8
	v_add_co_u32 v8, s0, s25, v8
	v_add_nc_u32_e32 v1, s1, v1
	v_add_nc_u32_e32 v2, s1, v2
	v_mul_hi_u32 v3, s48, v0
	v_add_nc_u32_e32 v6, 12, v9
	s_waitcnt vmcnt(0)
	v_add3_u32 v19, 0, 0x1100, v17
	v_mul_hi_u32 v4, s48, v1
	v_mul_hi_u32 v5, s48, v2
	v_mul_u32_u24_e32 v18, 0x90, v9
	v_add_nc_u32_e32 v6, s1, v6
	s_movk_i32 s1, 0x880
	v_add_nc_u32_e32 v3, v0, v3
	scratch_store_b32 off, v19, off offset:660 ; 4-byte Folded Spill
	v_add3_u32 v19, 0, 0x2200, v17
	v_add_nc_u32_e32 v4, v1, v4
	v_add_nc_u32_e32 v5, v2, v5
	v_lshrrev_b32_e32 v3, s49, v3
	v_mul_hi_u32 v7, s48, v6
	v_add_nc_u32_e32 v252, 0, v17
	v_lshrrev_b32_e32 v4, s49, v4
	v_lshrrev_b32_e32 v5, s49, v5
	v_mul_lo_u32 v3, v3, s8
	scratch_store_b32 off, v19, off offset:664 ; 4-byte Folded Spill
	v_add3_u32 v19, 0, 0x3300, v17
	v_mul_lo_u32 v4, v4, s8
	v_mul_lo_u32 v5, v5, s8
	v_add_nc_u32_e32 v7, v6, v7
	scratch_store_b32 off, v19, off offset:668 ; 4-byte Folded Spill
	v_sub_nc_u32_e32 v0, v0, v3
	v_add3_u32 v19, 0, 64, v17
	v_lshrrev_b32_e32 v3, s49, v7
	v_sub_nc_u32_e32 v1, v1, v4
	v_sub_nc_u32_e32 v2, v2, v5
	v_mad_i64_i32 v[4:5], null, v0, s50, 0
	s_delay_alu instid0(VALU_DEP_4)
	v_mul_lo_u32 v0, v3, s8
	s_lshl_b32 s8, s14, 6
	scratch_store_b32 off, v19, off offset:672 ; 4-byte Folded Spill
	v_add3_u32 v19, 0, 0x1140, v17
	scratch_store_b64 off, v[4:5], off offset:572 ; 8-byte Folded Spill
	v_mad_i64_i32 v[4:5], null, v1, s50, 0
	scratch_store_b32 off, v8, off offset:616 ; 4-byte Folded Spill
	v_add_co_ci_u32_e64 v8, null, s26, 0, s0
	s_movk_i32 s0, 0x240
	v_sub_nc_u32_e32 v0, v6, v0
	v_mad_u32_u24 v10, 0x90, v9, s0
	s_clause 0x1
	scratch_store_b64 off, v[4:5], off offset:548
	scratch_store_b32 off, v8, off offset:620
	scratch_load_b32 v8, off, off offset:1048 ; 4-byte Folded Reload
	v_mad_i64_i32 v[12:13], null, v0, s50, 0
	s_movk_i32 s0, 0x480
	scratch_store_b32 off, v19, off offset:676 ; 4-byte Folded Spill
	v_mad_u32_u24 v3, 0x90, v9, s0
	s_movk_i32 s0, 0x6c0
	v_add3_u32 v19, 0, 0x2240, v17
	scratch_store_b32 off, v19, off offset:684 ; 4-byte Folded Spill
	v_add3_u32 v19, 0, 0x3340, v17
	scratch_store_b32 off, v19, off offset:692 ; 4-byte Folded Spill
	;; [unrolled: 2-line block ×8, first 2 shown]
	v_add3_u32 v19, 0, 0x22c0, v17
	v_add3_u32 v17, 0, 0x33c0, v17
	s_clause 0x1
	scratch_store_b32 off, v19, off offset:728
	scratch_store_b32 off, v17, off offset:732
	v_mov_b32_e32 v17, 0xfeffffff
	v_mov_b32_e32 v19, v32
	s_waitcnt vmcnt(0)
	v_lshrrev_b32_e32 v11, 4, v8
	v_lshlrev_b32_e32 v1, 2, v8
	s_delay_alu instid0(VALU_DEP_2) | instskip(NEXT) | instid1(VALU_DEP_2)
	v_lshl_add_u32 v5, v9, 1, v11
	v_and_b32_e32 v31, 60, v1
	scratch_store_b32 off, v11, off offset:512 ; 4-byte Folded Spill
	v_add_nc_u32_e32 v0, 8, v5
	v_mul_lo_u32 v6, s12, v5
	v_lshlrev_b32_e32 v1, 2, v31
	s_clause 0x1
	scratch_store_b32 off, v5, off offset:888
	scratch_store_b32 off, v0, off offset:852
	v_mad_u32_u24 v0, 0x110, v5, s1
	s_movk_i32 s1, 0x1100
	v_ashrrev_i32_e32 v7, 31, v6
	scratch_store_b32 off, v0, off offset:1060 ; 4-byte Folded Spill
	v_add_nc_u32_e32 v0, 16, v5
	scratch_store_b64 off, v[6:7], off offset:524 ; 8-byte Folded Spill
	v_mbcnt_lo_u32_b32 v7, -1, 0
	scratch_store_b32 off, v0, off offset:856 ; 4-byte Folded Spill
	v_mad_u32_u24 v0, 0x110, v5, s1
	s_movk_i32 s1, 0x1980
	scratch_store_b32 off, v0, off offset:1068 ; 4-byte Folded Spill
	v_add_nc_u32_e32 v0, 24, v5
	scratch_store_b32 off, v3, off offset:984 ; 4-byte Folded Spill
	v_mad_i64_i32 v[3:4], null, v2, s50, 0
	v_mad_u32_u24 v2, 0x90, v9, s0
	scratch_store_b32 off, v0, off offset:848 ; 4-byte Folded Spill
	s_lshl_b32 s0, s12, 3
	scratch_store_b32 off, v10, off offset:952 ; 4-byte Folded Spill
	v_mad_u32_u24 v0, 0x110, v5, s1
	s_clause 0x1
	scratch_store_b32 off, v2, off offset:1016
	scratch_store_b64 off, v[3:4], off offset:516
	v_mul_u32_u24_e32 v3, 0x110, v5
	s_movk_i32 s1, 0x2200
	scratch_store_b32 off, v0, off offset:1076 ; 4-byte Folded Spill
	v_add_nc_u32_e32 v0, 32, v5
	scratch_store_b64 off, v[12:13], off offset:532 ; 8-byte Folded Spill
	v_add3_u32 v139, 0, v3, v1
	v_add_nc_u32_e32 v1, s0, v6
	scratch_store_b32 off, v0, off offset:832 ; 4-byte Folded Spill
	v_mad_u32_u24 v0, 0x110, v5, s1
	s_movk_i32 s1, 0x2a80
	v_ashrrev_i32_e32 v2, 31, v1
	v_add_nc_u32_e32 v140, 0x880, v139
	v_add_nc_u32_e32 v141, 0x1100, v139
	;; [unrolled: 1-line block ×4, first 2 shown]
	scratch_store_b64 off, v[1:2], off offset:556 ; 8-byte Folded Spill
	v_add_nc_u32_e32 v1, s0, v1
	scratch_store_b32 off, v3, off offset:1052 ; 4-byte Folded Spill
	v_add_nc_u32_e32 v144, 0x2a80, v139
	v_add_nc_u32_e32 v145, 0x3300, v139
	;; [unrolled: 1-line block ×3, first 2 shown]
	v_ashrrev_i32_e32 v2, 31, v1
	scratch_store_b64 off, v[1:2], off offset:588 ; 8-byte Folded Spill
	v_add_nc_u32_e32 v1, s0, v1
	s_delay_alu instid0(VALU_DEP_1) | instskip(SKIP_2) | instid1(VALU_DEP_1)
	v_ashrrev_i32_e32 v2, 31, v1
	scratch_store_b64 off, v[1:2], off offset:540 ; 8-byte Folded Spill
	v_add_nc_u32_e32 v1, s0, v1
	v_ashrrev_i32_e32 v2, 31, v1
	v_add_nc_u32_e32 v3, s0, v1
	s_delay_alu instid0(VALU_DEP_1)
	v_ashrrev_i32_e32 v4, 31, v3
	scratch_store_b64 off, v[1:2], off offset:564 ; 8-byte Folded Spill
	v_add_nc_u32_e32 v1, 40, v5
	scratch_store_b32 off, v0, off offset:1084 ; 4-byte Folded Spill
	v_mul_lo_u32 v0, s10, v5
	scratch_store_b32 off, v1, off offset:836 ; 4-byte Folded Spill
	v_mad_u32_u24 v1, 0x110, v5, s1
	s_lshl_b32 s1, s10, 3
	s_delay_alu instid0(SALU_CYCLE_1)
	v_add_nc_u32_e32 v2, s1, v0
	scratch_store_b32 off, v1, off offset:1092 ; 4-byte Folded Spill
	v_add_nc_u32_e32 v1, 48, v5
	scratch_store_b32 off, v1, off offset:840 ; 4-byte Folded Spill
	v_and_b32_e32 v1, 12, v8
	v_add_nc_u32_e32 v8, s0, v3
	s_delay_alu instid0(VALU_DEP_2) | instskip(NEXT) | instid1(VALU_DEP_2)
	v_lshl_or_b32 v1, v9, 4, v1
	v_ashrrev_i32_e32 v9, 31, v8
	scratch_store_b64 off, v[3:4], off offset:580 ; 8-byte Folded Spill
	v_mad_u32_u24 v3, 0x110, v5, s2
	s_movk_i32 s2, 0x3b80
	v_lshrrev_b32_e32 v1, 2, v1
	v_add_nc_u32_e32 v12, s0, v8
	v_add_nc_u32_e32 v4, s1, v2
	scratch_store_b32 off, v3, off offset:1100 ; 4-byte Folded Spill
	v_add_nc_u32_e32 v3, 56, v5
	v_mul_u32_u24_e32 v1, 0x90, v1
	v_ashrrev_i32_e32 v13, 31, v12
	scratch_store_b64 off, v[8:9], off offset:596 ; 8-byte Folded Spill
	v_add_nc_u32_e32 v6, s1, v4
	scratch_store_b32 off, v3, off offset:844 ; 4-byte Folded Spill
	v_mad_u32_u24 v3, 0x110, v5, s2
	v_lshlrev_b32_e32 v5, 1, v11
	scratch_store_b64 off, v[12:13], off offset:604 ; 8-byte Folded Spill
	v_add_nc_u32_e32 v8, s1, v6
	v_add3_u32 v250, 0, v1, v5
	v_xor_b32_e32 v1, 1, v11
	v_ashrrev_i32_e32 v5, 31, v4
	s_delay_alu instid0(VALU_DEP_4)
	v_ashrrev_i32_e32 v9, 31, v8
	v_add_nc_u32_e32 v10, s1, v8
	s_clause 0x1
	scratch_store_b32 off, v1, off offset:656
	scratch_store_b32 off, v3, off offset:1108
	v_xor_b32_e32 v3, 16, v7
	v_ashrrev_i32_e32 v1, 31, v0
	v_ashrrev_i32_e32 v11, 31, v10
	v_add_nc_u32_e32 v12, s1, v10
	s_clause 0x1
	scratch_store_b32 off, v17, off offset:160
	scratch_store_b32 off, v18, off offset:920
	v_cmp_gt_i32_e32 vcc_lo, 32, v3
	v_lshlrev_b64 v[0:1], 2, v[0:1]
	v_mov_b32_e32 v17, v32
	v_ashrrev_i32_e32 v13, 31, v12
	v_dual_cndmask_b32 v3, v7, v3 :: v_dual_add_nc_u32 v14, s1, v12
	v_ashrrev_i32_e32 v7, 31, v6
	scratch_store_b64 off, v[0:1], off offset:744 ; 8-byte Folded Spill
	v_ashrrev_i32_e32 v15, 31, v14
	v_lshlrev_b32_e32 v251, 2, v3
	v_ashrrev_i32_e32 v3, 31, v2
	s_delay_alu instid0(VALU_DEP_1)
	v_lshlrev_b64 v[0:1], 2, v[2:3]
	v_mov_b32_e32 v3, v32
	v_add_nc_u32_e32 v16, v16, v18
	v_mov_b32_e32 v2, v32
	v_mov_b32_e32 v18, v32
	scratch_store_b64 off, v[0:1], off offset:752 ; 8-byte Folded Spill
	v_lshlrev_b64 v[0:1], 2, v[4:5]
	v_mov_b32_e32 v4, v32
	v_mov_b32_e32 v5, v32
	scratch_store_b64 off, v[0:1], off offset:760 ; 8-byte Folded Spill
	v_lshlrev_b64 v[0:1], 2, v[6:7]
	;; [unrolled: 4-line block ×3, first 2 shown]
	v_dual_mov_b32 v8, v32 :: v_dual_lshlrev_b32 v147, 2, v31
	v_mov_b32_e32 v9, v32
	scratch_store_b64 off, v[31:32], off offset:812 ; 8-byte Folded Spill
	v_mov_b32_e32 v31, v32
	scratch_store_b64 off, v[0:1], off offset:776 ; 8-byte Folded Spill
	v_lshlrev_b64 v[0:1], 2, v[10:11]
	v_mov_b32_e32 v10, v32
	v_mov_b32_e32 v11, v32
	scratch_store_b64 off, v[0:1], off offset:784 ; 8-byte Folded Spill
	v_lshlrev_b64 v[0:1], 2, v[12:13]
	v_mov_b32_e32 v12, v32
	;; [unrolled: 4-line block ×3, first 2 shown]
	v_mov_b32_e32 v15, v32
	scratch_store_b64 off, v[0:1], off offset:800 ; 8-byte Folded Spill
	v_mov_b32_e32 v0, v32
	scratch_store_b32 off, v16, off offset:736 ; 4-byte Folded Spill
	v_mov_b32_e32 v1, v32
	v_mov_b32_e32 v16, v32
	s_clause 0xd
	scratch_store_b32 off, v0, off offset:128
	scratch_store_b128 off, v[240:243], off offset:96
	scratch_store_b128 off, v[244:247], off offset:112
	;; [unrolled: 1-line block ×4, first 2 shown]
	scratch_store_b32 off, v139, off offset:624
	scratch_store_b32 off, v140, off offset:628
	;; [unrolled: 1-line block ×9, first 2 shown]
.LBB25_942:                             ; =>This Inner Loop Header: Depth=1
	s_clause 0x1
	scratch_load_b64 v[32:33], off, off offset:572
	scratch_load_b32 v34, off, off offset:616
	s_ashr_i32 s9, s8, 31
	s_clause 0x1
	scratch_load_b64 v[36:37], off, off offset:516
	scratch_load_b64 v[40:41], off, off offset:524
	s_lshl_b64 s[0:1], s[8:9], 1
	scratch_load_b64 v[38:39], off, off offset:532 ; 8-byte Folded Reload
	v_dual_mov_b32 v128, v216 :: v_dual_mov_b32 v133, v221
	v_dual_mov_b32 v120, v200 :: v_dual_mov_b32 v125, v205
	;; [unrolled: 1-line block ×6, first 2 shown]
	v_mov_b32_e32 v124, v204
	v_dual_mov_b32 v126, v206 :: v_dual_mov_b32 v129, v217
	v_mov_b32_e32 v131, v219
	s_waitcnt vmcnt(4)
	v_lshlrev_b64 v[32:33], 1, v[32:33]
	s_waitcnt vmcnt(3)
	v_add_co_u32 v42, vcc_lo, v34, s0
	scratch_load_b32 v34, off, off offset:620 ; 4-byte Folded Reload
	s_waitcnt vmcnt(3)
	v_lshlrev_b64 v[36:37], 1, v[36:37]
	s_mul_i32 s0, s8, s12
	s_waitcnt vmcnt(1)
	v_lshlrev_b64 v[38:39], 1, v[38:39]
	v_lshlrev_b64 v[40:41], 2, v[40:41]
	s_waitcnt vmcnt(0)
	v_add_co_ci_u32_e32 v43, vcc_lo, s1, v34, vcc_lo
	scratch_load_b64 v[34:35], off, off offset:548 ; 8-byte Folded Reload
	v_add_co_u32 v32, vcc_lo, v42, v32
	v_add_co_ci_u32_e32 v33, vcc_lo, v43, v33, vcc_lo
	s_mul_hi_i32 s1, s8, s12
	s_delay_alu instid0(SALU_CYCLE_1) | instskip(NEXT) | instid1(SALU_CYCLE_1)
	s_lshl_b64 s[0:1], s[0:1], 2
	s_add_u32 s0, s15, s0
	s_addc_u32 s1, s24, s1
	s_waitcnt vmcnt(0)
	v_lshlrev_b64 v[34:35], 1, v[34:35]
	s_delay_alu instid0(VALU_DEP_1) | instskip(NEXT) | instid1(VALU_DEP_2)
	v_add_co_u32 v34, vcc_lo, v42, v34
	v_add_co_ci_u32_e32 v35, vcc_lo, v43, v35, vcc_lo
	v_add_co_u32 v36, vcc_lo, v42, v36
	v_add_co_ci_u32_e32 v37, vcc_lo, v43, v37, vcc_lo
	;; [unrolled: 2-line block ×4, first 2 shown]
	s_clause 0x1
	global_load_b32 v42, v[32:33], off
	global_load_b32 v43, v[34:35], off
	v_add_co_u32 v32, vcc_lo, v40, v147
	v_add_co_ci_u32_e32 v33, vcc_lo, 0, v41, vcc_lo
	s_clause 0x1
	global_load_b32 v44, v[36:37], off
	global_load_b32 v45, v[38:39], off
	global_load_b128 v[32:35], v[32:33], off
	scratch_load_b64 v[36:37], off, off offset:556 ; 8-byte Folded Reload
	s_waitcnt vmcnt(0)
	v_lshlrev_b64 v[36:37], 2, v[36:37]
	s_delay_alu instid0(VALU_DEP_1) | instskip(NEXT) | instid1(VALU_DEP_2)
	v_add_co_u32 v36, vcc_lo, s0, v36
	v_add_co_ci_u32_e32 v37, vcc_lo, s1, v37, vcc_lo
	s_delay_alu instid0(VALU_DEP_2) | instskip(NEXT) | instid1(VALU_DEP_2)
	v_add_co_u32 v36, vcc_lo, v36, v147
	v_add_co_ci_u32_e32 v37, vcc_lo, 0, v37, vcc_lo
	global_load_b128 v[36:39], v[36:37], off
	s_clause 0x1
	scratch_load_b64 v[40:41], off, off offset:588
	scratch_load_b32 v47, off, off offset:736
	s_waitcnt vmcnt(1)
	v_lshlrev_b64 v[40:41], 2, v[40:41]
	s_waitcnt vmcnt(0)
	v_add_nc_u32_e32 v46, 0x4400, v47
	ds_store_2addr_b32 v46, v42, v43 offset1:144
	v_add_nc_u32_e32 v46, 0x4800, v47
	v_add_co_u32 v40, vcc_lo, s0, v40
	v_add_co_ci_u32_e32 v41, vcc_lo, s1, v41, vcc_lo
	ds_store_2addr_b32 v46, v44, v45 offset0:32 offset1:176
	scratch_load_b64 v[44:45], off, off offset:540 ; 8-byte Folded Reload
	ds_store_b128 v139, v[32:35]
	ds_store_b128 v140, v[36:39]
	scratch_load_b64 v[32:33], off, off offset:564 ; 8-byte Folded Reload
	v_add_co_u32 v40, vcc_lo, v40, v147
	v_add_co_ci_u32_e32 v41, vcc_lo, 0, v41, vcc_lo
	global_load_b128 v[40:43], v[40:41], off
	s_waitcnt vmcnt(2)
	v_lshlrev_b64 v[44:45], 2, v[44:45]
	s_waitcnt vmcnt(1)
	v_lshlrev_b64 v[32:33], 2, v[32:33]
	s_delay_alu instid0(VALU_DEP_2) | instskip(NEXT) | instid1(VALU_DEP_3)
	v_add_co_u32 v34, vcc_lo, s0, v44
	v_add_co_ci_u32_e32 v35, vcc_lo, s1, v45, vcc_lo
	s_delay_alu instid0(VALU_DEP_3) | instskip(NEXT) | instid1(VALU_DEP_4)
	v_add_co_u32 v44, vcc_lo, s0, v32
	v_add_co_ci_u32_e32 v45, vcc_lo, s1, v33, vcc_lo
	s_delay_alu instid0(VALU_DEP_4) | instskip(NEXT) | instid1(VALU_DEP_4)
	v_add_co_u32 v32, vcc_lo, v34, v147
	v_add_co_ci_u32_e32 v33, vcc_lo, 0, v35, vcc_lo
	s_delay_alu instid0(VALU_DEP_4) | instskip(NEXT) | instid1(VALU_DEP_4)
	v_add_co_u32 v44, vcc_lo, v44, v147
	v_add_co_ci_u32_e32 v45, vcc_lo, 0, v45, vcc_lo
	s_clause 0x1
	global_load_b128 v[32:35], v[32:33], off
	global_load_b128 v[36:39], v[44:45], off
	scratch_load_b64 v[44:45], off, off offset:580 ; 8-byte Folded Reload
	s_waitcnt vmcnt(3)
	ds_store_b128 v141, v[40:43]
	s_clause 0x1
	scratch_load_b64 v[40:41], off, off offset:596
	scratch_load_b64 v[42:43], off, off offset:604
	s_waitcnt vmcnt(4)
	ds_store_b128 v142, v[32:35]
	s_waitcnt vmcnt(3)
	ds_store_b128 v143, v[36:39]
	s_waitcnt vmcnt(2)
	v_lshlrev_b64 v[44:45], 2, v[44:45]
	v_dual_mov_b32 v136, v224 :: v_dual_mov_b32 v141, v229
	s_waitcnt vmcnt(1)
	v_lshlrev_b64 v[40:41], 2, v[40:41]
	s_waitcnt vmcnt(0)
	v_lshlrev_b64 v[42:43], 2, v[42:43]
	v_dual_mov_b32 v138, v226 :: v_dual_mov_b32 v143, v231
	v_add_co_u32 v44, vcc_lo, s0, v44
	v_add_co_ci_u32_e32 v45, vcc_lo, s1, v45, vcc_lo
	v_add_co_u32 v46, vcc_lo, s0, v40
	v_add_co_ci_u32_e32 v47, vcc_lo, s1, v41, vcc_lo
	;; [unrolled: 2-line block ×6, first 2 shown]
	s_clause 0x2
	global_load_b128 v[32:35], v[40:41], off
	global_load_b128 v[36:39], v[42:43], off
	;; [unrolled: 1-line block ×3, first 2 shown]
	v_mov_b32_e32 v140, v228
	v_mov_b32_e32 v142, v230
	s_waitcnt vmcnt(2)
	ds_store_b128 v144, v[32:35]
	s_waitcnt vmcnt(1)
	ds_store_b128 v145, v[36:39]
	;; [unrolled: 2-line block ×3, first 2 shown]
	s_waitcnt lgkmcnt(0)
	s_waitcnt_vscnt null, 0x0
	s_barrier
	buffer_gl0_inv
	ds_load_b128 v[32:35], v254
	ds_load_b128 v[36:39], v254 offset:16
	v_dual_mov_b32 v47, s23 :: v_dual_mov_b32 v46, s22
	v_dual_mov_b32 v45, s21 :: v_dual_mov_b32 v44, s20
	v_mov_b32_e32 v41, s17
	v_dual_mov_b32 v43, s19 :: v_dual_mov_b32 v42, s18
	v_mov_b32_e32 v40, s16
	;; [unrolled: 2-line block ×3, first 2 shown]
	v_dual_mov_b32 v147, v235 :: v_dual_mov_b32 v146, v234
	v_dual_mov_b32 v151, v239 :: v_dual_mov_b32 v148, v236
	;; [unrolled: 1-line block ×3, first 2 shown]
	v_mov_b32_e32 v139, v227
	s_waitcnt lgkmcnt(0)
	v_wmma_f32_16x16x16_f16 v[96:103], v[32:39], v[240:247], v[40:47]
	ds_load_b128 v[32:35], v254 offset:32
	ds_load_b128 v[36:39], v254 offset:48
	s_waitcnt lgkmcnt(0)
	v_wmma_f32_16x16x16_f16 v[96:103], v[32:39], v[232:239], v[96:103]
	ds_load_b128 v[32:35], v254 offset:64
	ds_load_b128 v[36:39], v254 offset:80
	;; [unrolled: 4-line block ×4, first 2 shown]
	s_clause 0x1
	scratch_load_b128 v[40:43], off, off offset:32
	scratch_load_b128 v[44:47], off, off offset:48
	s_waitcnt vmcnt(0) lgkmcnt(0)
	v_wmma_f32_16x16x16_f16 v[96:103], v[32:39], v[40:47], v[96:103]
	ds_load_b128 v[32:35], v254 offset:160
	ds_load_b128 v[36:39], v254 offset:176
	s_waitcnt lgkmcnt(0)
	v_wmma_f32_16x16x16_f16 v[96:103], v[32:39], v[200:207], v[96:103]
	ds_load_b128 v[32:35], v254 offset:192
	ds_load_b128 v[36:39], v254 offset:208
	s_waitcnt lgkmcnt(0)
	v_wmma_f32_16x16x16_f16 v[96:103], v[32:39], v[192:199], v[96:103]
	ds_load_b128 v[32:35], v254 offset:224
	ds_load_b128 v[36:39], v254 offset:240
	s_clause 0x1
	scratch_load_b128 v[40:43], off, off
	scratch_load_b128 v[44:47], off, off offset:16
	s_waitcnt vmcnt(0) lgkmcnt(0)
	v_wmma_f32_16x16x16_f16 v[96:103], v[32:39], v[40:47], v[96:103]
	ds_load_b128 v[80:83], v254 offset:4352
	ds_load_b128 v[84:87], v254 offset:4368
	;; [unrolled: 1-line block ×40, first 2 shown]
	s_waitcnt lgkmcnt(0)
	s_clause 0x1
	scratch_store_b128 off, v[88:91], off offset:480
	scratch_store_b128 off, v[92:95], off offset:496
	ds_load_b128 v[88:91], v254 offset:13184
	ds_load_b128 v[92:95], v254 offset:13200
	s_waitcnt lgkmcnt(0)
	s_clause 0x1
	scratch_store_b128 off, v[88:91], off offset:448
	scratch_store_b128 off, v[92:95], off offset:464
	ds_load_b128 v[88:91], v254 offset:13216
	ds_load_b128 v[92:95], v254 offset:13232
	;; [unrolled: 6-line block ×4, first 2 shown]
	v_cmp_ngt_f32_e64 s0, 0x3f200000, |v96|
	s_waitcnt lgkmcnt(0)
	s_clause 0x1
	scratch_store_b128 off, v[88:91], off offset:352
	scratch_store_b128 off, v[92:95], off offset:368
	s_waitcnt_vscnt null, 0x0
	s_barrier
	buffer_gl0_inv
                                        ; implicit-def: $vgpr88
                                        ; kill: killed $vgpr88
	s_and_saveexec_b32 s1, s0
	s_delay_alu instid0(SALU_CYCLE_1)
	s_xor_b32 s0, exec_lo, s1
	s_cbranch_execz .LBB25_944
; %bb.943:                              ;   in Loop: Header=BB25_942 Depth=1
	v_add_f32_e64 v88, |v96|, |v96|
	s_delay_alu instid0(VALU_DEP_1) | instskip(SKIP_1) | instid1(VALU_DEP_2)
	v_mul_f32_e32 v89, 0x3fb8aa3b, v88
	v_cmp_ngt_f32_e32 vcc_lo, 0xc2ce8ed0, v88
	v_rndne_f32_e32 v90, v89
	v_fma_f32 v91, 0x3fb8aa3b, v88, -v89
	s_delay_alu instid0(VALU_DEP_2) | instskip(NEXT) | instid1(VALU_DEP_2)
	v_sub_f32_e32 v89, v89, v90
	v_fmac_f32_e32 v91, 0x32a5705f, v88
	v_cvt_i32_f32_e32 v90, v90
	s_delay_alu instid0(VALU_DEP_2) | instskip(NEXT) | instid1(VALU_DEP_1)
	v_add_f32_e32 v89, v89, v91
	v_exp_f32_e32 v89, v89
	s_waitcnt_depctr 0xfff
	v_ldexp_f32 v89, v89, v90
	s_delay_alu instid0(VALU_DEP_1) | instskip(SKIP_1) | instid1(VALU_DEP_2)
	v_cndmask_b32_e32 v89, 0, v89, vcc_lo
	v_cmp_nlt_f32_e32 vcc_lo, 0x42b17218, v88
	v_cndmask_b32_e32 v88, 0x7f800000, v89, vcc_lo
	s_delay_alu instid0(VALU_DEP_1) | instskip(NEXT) | instid1(VALU_DEP_1)
	v_add_f32_e32 v88, 1.0, v88
	v_rcp_f32_e32 v88, v88
	s_waitcnt_depctr 0xfff
	v_fma_f32 v88, v88, -2.0, 1.0
	scratch_store_b32 off, v88, off offset:192 ; 4-byte Folded Spill
.LBB25_944:                             ;   in Loop: Header=BB25_942 Depth=1
	s_and_not1_saveexec_b32 s0, s0
	s_cbranch_execz .LBB25_946
; %bb.945:                              ;   in Loop: Header=BB25_942 Depth=1
	v_mul_f32_e32 v88, v96, v96
	s_delay_alu instid0(VALU_DEP_1) | instskip(NEXT) | instid1(VALU_DEP_1)
	v_fmaak_f32 v89, s27, v88, 0x3ca908c9
	v_fmaak_f32 v89, v88, v89, 0xbd5c1c4e
	s_delay_alu instid0(VALU_DEP_1) | instskip(NEXT) | instid1(VALU_DEP_1)
	v_fmaak_f32 v89, v88, v89, 0x3e088382
	v_fmaak_f32 v89, v88, v89, 0xbeaaaa99
	s_delay_alu instid0(VALU_DEP_1) | instskip(NEXT) | instid1(VALU_DEP_1)
	v_mul_f32_e64 v89, |v96|, v89
	v_fma_f32 v88, v88, v89, |v96|
	scratch_store_b32 off, v88, off offset:192 ; 4-byte Folded Spill
.LBB25_946:                             ;   in Loop: Header=BB25_942 Depth=1
	s_or_b32 exec_lo, exec_lo, s0
	v_cmp_ngt_f32_e64 s0, 0x3f200000, |v97|
                                        ; implicit-def: $vgpr249
	s_delay_alu instid0(VALU_DEP_1) | instskip(NEXT) | instid1(SALU_CYCLE_1)
	s_and_saveexec_b32 s1, s0
	s_xor_b32 s0, exec_lo, s1
	s_cbranch_execz .LBB25_948
; %bb.947:                              ;   in Loop: Header=BB25_942 Depth=1
	v_add_f32_e64 v88, |v97|, |v97|
	s_delay_alu instid0(VALU_DEP_1) | instskip(SKIP_1) | instid1(VALU_DEP_2)
	v_mul_f32_e32 v89, 0x3fb8aa3b, v88
	v_cmp_ngt_f32_e32 vcc_lo, 0xc2ce8ed0, v88
	v_rndne_f32_e32 v90, v89
	v_fma_f32 v91, 0x3fb8aa3b, v88, -v89
	s_delay_alu instid0(VALU_DEP_2) | instskip(NEXT) | instid1(VALU_DEP_2)
	v_sub_f32_e32 v89, v89, v90
	v_fmac_f32_e32 v91, 0x32a5705f, v88
	v_cvt_i32_f32_e32 v90, v90
	s_delay_alu instid0(VALU_DEP_2) | instskip(NEXT) | instid1(VALU_DEP_1)
	v_add_f32_e32 v89, v89, v91
	v_exp_f32_e32 v89, v89
	s_waitcnt_depctr 0xfff
	v_ldexp_f32 v89, v89, v90
	s_delay_alu instid0(VALU_DEP_1) | instskip(SKIP_1) | instid1(VALU_DEP_2)
	v_cndmask_b32_e32 v89, 0, v89, vcc_lo
	v_cmp_nlt_f32_e32 vcc_lo, 0x42b17218, v88
	v_cndmask_b32_e32 v88, 0x7f800000, v89, vcc_lo
	s_delay_alu instid0(VALU_DEP_1) | instskip(NEXT) | instid1(VALU_DEP_1)
	v_add_f32_e32 v88, 1.0, v88
	v_rcp_f32_e32 v88, v88
	s_waitcnt_depctr 0xfff
	v_fma_f32 v249, v88, -2.0, 1.0
.LBB25_948:                             ;   in Loop: Header=BB25_942 Depth=1
	s_and_not1_saveexec_b32 s0, s0
; %bb.949:                              ;   in Loop: Header=BB25_942 Depth=1
	v_mul_f32_e32 v88, v97, v97
	s_delay_alu instid0(VALU_DEP_1) | instskip(NEXT) | instid1(VALU_DEP_1)
	v_fmaak_f32 v89, s27, v88, 0x3ca908c9
	v_fmaak_f32 v89, v88, v89, 0xbd5c1c4e
	s_delay_alu instid0(VALU_DEP_1) | instskip(NEXT) | instid1(VALU_DEP_1)
	v_fmaak_f32 v89, v88, v89, 0x3e088382
	v_fmaak_f32 v89, v88, v89, 0xbeaaaa99
	s_delay_alu instid0(VALU_DEP_1) | instskip(NEXT) | instid1(VALU_DEP_1)
	v_mul_f32_e64 v89, |v97|, v89
	v_fma_f32 v249, v88, v89, |v97|
; %bb.950:                              ;   in Loop: Header=BB25_942 Depth=1
	s_or_b32 exec_lo, exec_lo, s0
	v_cmp_ngt_f32_e64 s0, 0x3f200000, |v98|
                                        ; implicit-def: $vgpr253
	s_delay_alu instid0(VALU_DEP_1) | instskip(NEXT) | instid1(SALU_CYCLE_1)
	s_and_saveexec_b32 s1, s0
	s_xor_b32 s0, exec_lo, s1
	s_cbranch_execz .LBB25_952
; %bb.951:                              ;   in Loop: Header=BB25_942 Depth=1
	v_add_f32_e64 v88, |v98|, |v98|
	s_delay_alu instid0(VALU_DEP_1) | instskip(SKIP_1) | instid1(VALU_DEP_2)
	v_mul_f32_e32 v89, 0x3fb8aa3b, v88
	v_cmp_ngt_f32_e32 vcc_lo, 0xc2ce8ed0, v88
	v_rndne_f32_e32 v90, v89
	v_fma_f32 v91, 0x3fb8aa3b, v88, -v89
	s_delay_alu instid0(VALU_DEP_2) | instskip(NEXT) | instid1(VALU_DEP_2)
	v_sub_f32_e32 v89, v89, v90
	v_fmac_f32_e32 v91, 0x32a5705f, v88
	v_cvt_i32_f32_e32 v90, v90
	s_delay_alu instid0(VALU_DEP_2) | instskip(NEXT) | instid1(VALU_DEP_1)
	v_add_f32_e32 v89, v89, v91
	v_exp_f32_e32 v89, v89
	s_waitcnt_depctr 0xfff
	v_ldexp_f32 v89, v89, v90
	s_delay_alu instid0(VALU_DEP_1) | instskip(SKIP_1) | instid1(VALU_DEP_2)
	v_cndmask_b32_e32 v89, 0, v89, vcc_lo
	v_cmp_nlt_f32_e32 vcc_lo, 0x42b17218, v88
	v_cndmask_b32_e32 v88, 0x7f800000, v89, vcc_lo
	s_delay_alu instid0(VALU_DEP_1) | instskip(NEXT) | instid1(VALU_DEP_1)
	v_add_f32_e32 v88, 1.0, v88
	v_rcp_f32_e32 v88, v88
	s_waitcnt_depctr 0xfff
	v_fma_f32 v253, v88, -2.0, 1.0
.LBB25_952:                             ;   in Loop: Header=BB25_942 Depth=1
	s_and_not1_saveexec_b32 s0, s0
; %bb.953:                              ;   in Loop: Header=BB25_942 Depth=1
	v_mul_f32_e32 v88, v98, v98
	s_delay_alu instid0(VALU_DEP_1) | instskip(NEXT) | instid1(VALU_DEP_1)
	v_fmaak_f32 v89, s27, v88, 0x3ca908c9
	v_fmaak_f32 v89, v88, v89, 0xbd5c1c4e
	s_delay_alu instid0(VALU_DEP_1) | instskip(NEXT) | instid1(VALU_DEP_1)
	v_fmaak_f32 v89, v88, v89, 0x3e088382
	v_fmaak_f32 v89, v88, v89, 0xbeaaaa99
	s_delay_alu instid0(VALU_DEP_1) | instskip(NEXT) | instid1(VALU_DEP_1)
	v_mul_f32_e64 v89, |v98|, v89
	v_fma_f32 v253, v88, v89, |v98|
; %bb.954:                              ;   in Loop: Header=BB25_942 Depth=1
	s_or_b32 exec_lo, exec_lo, s0
	v_cmp_ngt_f32_e64 s0, 0x3f200000, |v99|
                                        ; implicit-def: $vgpr248
	s_delay_alu instid0(VALU_DEP_1) | instskip(NEXT) | instid1(SALU_CYCLE_1)
	s_and_saveexec_b32 s1, s0
	s_xor_b32 s0, exec_lo, s1
	s_cbranch_execz .LBB25_956
; %bb.955:                              ;   in Loop: Header=BB25_942 Depth=1
	v_add_f32_e64 v88, |v99|, |v99|
	s_delay_alu instid0(VALU_DEP_1) | instskip(SKIP_1) | instid1(VALU_DEP_2)
	v_mul_f32_e32 v89, 0x3fb8aa3b, v88
	v_cmp_ngt_f32_e32 vcc_lo, 0xc2ce8ed0, v88
	v_rndne_f32_e32 v90, v89
	v_fma_f32 v91, 0x3fb8aa3b, v88, -v89
	s_delay_alu instid0(VALU_DEP_2) | instskip(NEXT) | instid1(VALU_DEP_2)
	v_sub_f32_e32 v89, v89, v90
	v_fmac_f32_e32 v91, 0x32a5705f, v88
	v_cvt_i32_f32_e32 v90, v90
	s_delay_alu instid0(VALU_DEP_2) | instskip(NEXT) | instid1(VALU_DEP_1)
	v_add_f32_e32 v89, v89, v91
	v_exp_f32_e32 v89, v89
	s_waitcnt_depctr 0xfff
	v_ldexp_f32 v89, v89, v90
	s_delay_alu instid0(VALU_DEP_1) | instskip(SKIP_1) | instid1(VALU_DEP_2)
	v_cndmask_b32_e32 v89, 0, v89, vcc_lo
	v_cmp_nlt_f32_e32 vcc_lo, 0x42b17218, v88
	v_cndmask_b32_e32 v88, 0x7f800000, v89, vcc_lo
	s_delay_alu instid0(VALU_DEP_1) | instskip(NEXT) | instid1(VALU_DEP_1)
	v_add_f32_e32 v88, 1.0, v88
	v_rcp_f32_e32 v88, v88
	s_waitcnt_depctr 0xfff
	v_fma_f32 v248, v88, -2.0, 1.0
.LBB25_956:                             ;   in Loop: Header=BB25_942 Depth=1
	s_and_not1_saveexec_b32 s0, s0
; %bb.957:                              ;   in Loop: Header=BB25_942 Depth=1
	v_mul_f32_e32 v88, v99, v99
	s_delay_alu instid0(VALU_DEP_1) | instskip(NEXT) | instid1(VALU_DEP_1)
	v_fmaak_f32 v89, s27, v88, 0x3ca908c9
	v_fmaak_f32 v89, v88, v89, 0xbd5c1c4e
	s_delay_alu instid0(VALU_DEP_1) | instskip(NEXT) | instid1(VALU_DEP_1)
	v_fmaak_f32 v89, v88, v89, 0x3e088382
	v_fmaak_f32 v89, v88, v89, 0xbeaaaa99
	s_delay_alu instid0(VALU_DEP_1) | instskip(NEXT) | instid1(VALU_DEP_1)
	v_mul_f32_e64 v89, |v99|, v89
	v_fma_f32 v248, v88, v89, |v99|
; %bb.958:                              ;   in Loop: Header=BB25_942 Depth=1
	s_or_b32 exec_lo, exec_lo, s0
	v_cmp_ngt_f32_e64 s0, 0x3f200000, |v100|
                                        ; implicit-def: $vgpr88
                                        ; kill: killed $vgpr88
	s_delay_alu instid0(VALU_DEP_1) | instskip(NEXT) | instid1(SALU_CYCLE_1)
	s_and_saveexec_b32 s1, s0
	s_xor_b32 s0, exec_lo, s1
	s_cbranch_execz .LBB25_960
; %bb.959:                              ;   in Loop: Header=BB25_942 Depth=1
	v_add_f32_e64 v88, |v100|, |v100|
	s_delay_alu instid0(VALU_DEP_1) | instskip(SKIP_1) | instid1(VALU_DEP_2)
	v_mul_f32_e32 v89, 0x3fb8aa3b, v88
	v_cmp_ngt_f32_e32 vcc_lo, 0xc2ce8ed0, v88
	v_rndne_f32_e32 v90, v89
	v_fma_f32 v91, 0x3fb8aa3b, v88, -v89
	s_delay_alu instid0(VALU_DEP_2) | instskip(NEXT) | instid1(VALU_DEP_2)
	v_sub_f32_e32 v89, v89, v90
	v_fmac_f32_e32 v91, 0x32a5705f, v88
	v_cvt_i32_f32_e32 v90, v90
	s_delay_alu instid0(VALU_DEP_2) | instskip(NEXT) | instid1(VALU_DEP_1)
	v_add_f32_e32 v89, v89, v91
	v_exp_f32_e32 v89, v89
	s_waitcnt_depctr 0xfff
	v_ldexp_f32 v89, v89, v90
	s_delay_alu instid0(VALU_DEP_1) | instskip(SKIP_1) | instid1(VALU_DEP_2)
	v_cndmask_b32_e32 v89, 0, v89, vcc_lo
	v_cmp_nlt_f32_e32 vcc_lo, 0x42b17218, v88
	v_cndmask_b32_e32 v88, 0x7f800000, v89, vcc_lo
	s_delay_alu instid0(VALU_DEP_1) | instskip(NEXT) | instid1(VALU_DEP_1)
	v_add_f32_e32 v88, 1.0, v88
	v_rcp_f32_e32 v88, v88
	s_waitcnt_depctr 0xfff
	v_fma_f32 v88, v88, -2.0, 1.0
	scratch_store_b32 off, v88, off offset:224 ; 4-byte Folded Spill
.LBB25_960:                             ;   in Loop: Header=BB25_942 Depth=1
	s_and_not1_saveexec_b32 s0, s0
	s_cbranch_execz .LBB25_962
; %bb.961:                              ;   in Loop: Header=BB25_942 Depth=1
	v_mul_f32_e32 v88, v100, v100
	s_delay_alu instid0(VALU_DEP_1) | instskip(NEXT) | instid1(VALU_DEP_1)
	v_fmaak_f32 v89, s27, v88, 0x3ca908c9
	v_fmaak_f32 v89, v88, v89, 0xbd5c1c4e
	s_delay_alu instid0(VALU_DEP_1) | instskip(NEXT) | instid1(VALU_DEP_1)
	v_fmaak_f32 v89, v88, v89, 0x3e088382
	v_fmaak_f32 v89, v88, v89, 0xbeaaaa99
	s_delay_alu instid0(VALU_DEP_1) | instskip(NEXT) | instid1(VALU_DEP_1)
	v_mul_f32_e64 v89, |v100|, v89
	v_fma_f32 v88, v88, v89, |v100|
	scratch_store_b32 off, v88, off offset:224 ; 4-byte Folded Spill
.LBB25_962:                             ;   in Loop: Header=BB25_942 Depth=1
	s_or_b32 exec_lo, exec_lo, s0
	v_cmp_ngt_f32_e64 s0, 0x3f200000, |v101|
                                        ; implicit-def: $vgpr88
                                        ; kill: killed $vgpr88
	s_delay_alu instid0(VALU_DEP_1) | instskip(NEXT) | instid1(SALU_CYCLE_1)
	s_and_saveexec_b32 s1, s0
	s_xor_b32 s0, exec_lo, s1
	s_cbranch_execz .LBB25_964
; %bb.963:                              ;   in Loop: Header=BB25_942 Depth=1
	v_add_f32_e64 v88, |v101|, |v101|
	s_delay_alu instid0(VALU_DEP_1) | instskip(SKIP_1) | instid1(VALU_DEP_2)
	v_mul_f32_e32 v89, 0x3fb8aa3b, v88
	v_cmp_ngt_f32_e32 vcc_lo, 0xc2ce8ed0, v88
	v_rndne_f32_e32 v90, v89
	v_fma_f32 v91, 0x3fb8aa3b, v88, -v89
	s_delay_alu instid0(VALU_DEP_2) | instskip(NEXT) | instid1(VALU_DEP_2)
	v_sub_f32_e32 v89, v89, v90
	v_fmac_f32_e32 v91, 0x32a5705f, v88
	v_cvt_i32_f32_e32 v90, v90
	s_delay_alu instid0(VALU_DEP_2) | instskip(NEXT) | instid1(VALU_DEP_1)
	v_add_f32_e32 v89, v89, v91
	v_exp_f32_e32 v89, v89
	s_waitcnt_depctr 0xfff
	v_ldexp_f32 v89, v89, v90
	s_delay_alu instid0(VALU_DEP_1) | instskip(SKIP_1) | instid1(VALU_DEP_2)
	v_cndmask_b32_e32 v89, 0, v89, vcc_lo
	v_cmp_nlt_f32_e32 vcc_lo, 0x42b17218, v88
	v_cndmask_b32_e32 v88, 0x7f800000, v89, vcc_lo
	s_delay_alu instid0(VALU_DEP_1) | instskip(NEXT) | instid1(VALU_DEP_1)
	v_add_f32_e32 v88, 1.0, v88
	v_rcp_f32_e32 v88, v88
	s_waitcnt_depctr 0xfff
	v_fma_f32 v88, v88, -2.0, 1.0
	scratch_store_b32 off, v88, off offset:256 ; 4-byte Folded Spill
.LBB25_964:                             ;   in Loop: Header=BB25_942 Depth=1
	s_and_not1_saveexec_b32 s0, s0
	s_cbranch_execz .LBB25_966
; %bb.965:                              ;   in Loop: Header=BB25_942 Depth=1
	v_mul_f32_e32 v88, v101, v101
	s_delay_alu instid0(VALU_DEP_1) | instskip(NEXT) | instid1(VALU_DEP_1)
	v_fmaak_f32 v89, s27, v88, 0x3ca908c9
	v_fmaak_f32 v89, v88, v89, 0xbd5c1c4e
	s_delay_alu instid0(VALU_DEP_1) | instskip(NEXT) | instid1(VALU_DEP_1)
	v_fmaak_f32 v89, v88, v89, 0x3e088382
	v_fmaak_f32 v89, v88, v89, 0xbeaaaa99
	s_delay_alu instid0(VALU_DEP_1) | instskip(NEXT) | instid1(VALU_DEP_1)
	v_mul_f32_e64 v89, |v101|, v89
	v_fma_f32 v88, v88, v89, |v101|
	scratch_store_b32 off, v88, off offset:256 ; 4-byte Folded Spill
.LBB25_966:                             ;   in Loop: Header=BB25_942 Depth=1
	;; [unrolled: 50-line block ×4, first 2 shown]
	s_or_b32 exec_lo, exec_lo, s0
	s_clause 0x1
	scratch_load_b128 v[112:115], off, off offset:96
	scratch_load_b128 v[116:119], off, off offset:112
	v_dual_mov_b32 v95, s23 :: v_dual_mov_b32 v94, s22
	v_dual_mov_b32 v93, s21 :: v_dual_mov_b32 v92, s20
	v_dual_mov_b32 v91, s19 :: v_dual_mov_b32 v90, s18
	v_dual_mov_b32 v89, s17 :: v_dual_mov_b32 v88, s16
	s_waitcnt vmcnt(0)
	s_delay_alu instid0(VALU_DEP_1) | instskip(NEXT) | instid1(VALU_DEP_1)
	v_wmma_f32_16x16x16_f16 v[104:111], v[80:87], v[112:119], v[88:95]
	v_wmma_f32_16x16x16_f16 v[104:111], v[72:79], v[144:151], v[104:111]
	s_delay_alu instid0(VALU_DEP_1) | instskip(NEXT) | instid1(VALU_DEP_1)
	v_wmma_f32_16x16x16_f16 v[104:111], v[64:71], v[136:143], v[104:111]
	v_wmma_f32_16x16x16_f16 v[104:111], v[56:63], v[128:135], v[104:111]
	s_clause 0x1
	scratch_load_b128 v[56:59], off, off offset:32
	scratch_load_b128 v[60:63], off, off offset:48
	s_waitcnt vmcnt(0)
	v_wmma_f32_16x16x16_f16 v[104:111], v[48:55], v[56:63], v[104:111]
	s_delay_alu instid0(VALU_DEP_1)
	v_wmma_f32_16x16x16_f16 v[104:111], v[40:47], v[120:127], v[104:111]
	s_clause 0x1
	scratch_load_b128 v[40:43], off, off offset:64
	scratch_load_b128 v[44:47], off, off offset:80
	s_waitcnt vmcnt(0)
	v_wmma_f32_16x16x16_f16 v[104:111], v[32:39], v[40:47], v[104:111]
	s_clause 0x1
	scratch_load_b128 v[32:35], off, off
	scratch_load_b128 v[36:39], off, off offset:16
                                        ; implicit-def: $vgpr42
	s_waitcnt vmcnt(0)
	v_wmma_f32_16x16x16_f16 v[104:111], v[208:215], v[32:39], v[104:111]
	s_delay_alu instid0(VALU_DEP_1) | instskip(NEXT) | instid1(VALU_DEP_1)
	v_cmp_ngt_f32_e64 s0, 0x3f200000, |v104|
	s_and_saveexec_b32 s1, s0
	s_delay_alu instid0(SALU_CYCLE_1)
	s_xor_b32 s0, exec_lo, s1
	s_cbranch_execz .LBB25_976
; %bb.975:                              ;   in Loop: Header=BB25_942 Depth=1
	v_add_f32_e64 v32, |v104|, |v104|
	s_delay_alu instid0(VALU_DEP_1) | instskip(SKIP_1) | instid1(VALU_DEP_2)
	v_mul_f32_e32 v33, 0x3fb8aa3b, v32
	v_cmp_ngt_f32_e32 vcc_lo, 0xc2ce8ed0, v32
	v_rndne_f32_e32 v34, v33
	v_fma_f32 v35, 0x3fb8aa3b, v32, -v33
	s_delay_alu instid0(VALU_DEP_2) | instskip(NEXT) | instid1(VALU_DEP_2)
	v_sub_f32_e32 v33, v33, v34
	v_fmac_f32_e32 v35, 0x32a5705f, v32
	v_cvt_i32_f32_e32 v34, v34
	s_delay_alu instid0(VALU_DEP_2) | instskip(NEXT) | instid1(VALU_DEP_1)
	v_add_f32_e32 v33, v33, v35
	v_exp_f32_e32 v33, v33
	s_waitcnt_depctr 0xfff
	v_ldexp_f32 v33, v33, v34
	s_delay_alu instid0(VALU_DEP_1) | instskip(SKIP_1) | instid1(VALU_DEP_2)
	v_cndmask_b32_e32 v33, 0, v33, vcc_lo
	v_cmp_nlt_f32_e32 vcc_lo, 0x42b17218, v32
	v_cndmask_b32_e32 v32, 0x7f800000, v33, vcc_lo
	s_delay_alu instid0(VALU_DEP_1) | instskip(NEXT) | instid1(VALU_DEP_1)
	v_add_f32_e32 v32, 1.0, v32
	v_rcp_f32_e32 v32, v32
	s_waitcnt_depctr 0xfff
	v_fma_f32 v42, v32, -2.0, 1.0
.LBB25_976:                             ;   in Loop: Header=BB25_942 Depth=1
	s_and_not1_saveexec_b32 s0, s0
; %bb.977:                              ;   in Loop: Header=BB25_942 Depth=1
	v_mul_f32_e32 v32, v104, v104
	s_delay_alu instid0(VALU_DEP_1) | instskip(NEXT) | instid1(VALU_DEP_1)
	v_fmaak_f32 v33, s27, v32, 0x3ca908c9
	v_fmaak_f32 v33, v32, v33, 0xbd5c1c4e
	s_delay_alu instid0(VALU_DEP_1) | instskip(NEXT) | instid1(VALU_DEP_1)
	v_fmaak_f32 v33, v32, v33, 0x3e088382
	v_fmaak_f32 v33, v32, v33, 0xbeaaaa99
	s_delay_alu instid0(VALU_DEP_1) | instskip(NEXT) | instid1(VALU_DEP_1)
	v_mul_f32_e64 v33, |v104|, v33
	v_fma_f32 v42, v32, v33, |v104|
; %bb.978:                              ;   in Loop: Header=BB25_942 Depth=1
	s_or_b32 exec_lo, exec_lo, s0
	v_cmp_ngt_f32_e64 s0, 0x3f200000, |v105|
                                        ; implicit-def: $vgpr43
	s_delay_alu instid0(VALU_DEP_1) | instskip(NEXT) | instid1(SALU_CYCLE_1)
	s_and_saveexec_b32 s1, s0
	s_xor_b32 s0, exec_lo, s1
	s_cbranch_execz .LBB25_980
; %bb.979:                              ;   in Loop: Header=BB25_942 Depth=1
	v_add_f32_e64 v32, |v105|, |v105|
	s_delay_alu instid0(VALU_DEP_1) | instskip(SKIP_1) | instid1(VALU_DEP_2)
	v_mul_f32_e32 v33, 0x3fb8aa3b, v32
	v_cmp_ngt_f32_e32 vcc_lo, 0xc2ce8ed0, v32
	v_rndne_f32_e32 v34, v33
	v_fma_f32 v35, 0x3fb8aa3b, v32, -v33
	s_delay_alu instid0(VALU_DEP_2) | instskip(NEXT) | instid1(VALU_DEP_2)
	v_sub_f32_e32 v33, v33, v34
	v_fmac_f32_e32 v35, 0x32a5705f, v32
	v_cvt_i32_f32_e32 v34, v34
	s_delay_alu instid0(VALU_DEP_2) | instskip(NEXT) | instid1(VALU_DEP_1)
	v_add_f32_e32 v33, v33, v35
	v_exp_f32_e32 v33, v33
	s_waitcnt_depctr 0xfff
	v_ldexp_f32 v33, v33, v34
	s_delay_alu instid0(VALU_DEP_1) | instskip(SKIP_1) | instid1(VALU_DEP_2)
	v_cndmask_b32_e32 v33, 0, v33, vcc_lo
	v_cmp_nlt_f32_e32 vcc_lo, 0x42b17218, v32
	v_cndmask_b32_e32 v32, 0x7f800000, v33, vcc_lo
	s_delay_alu instid0(VALU_DEP_1) | instskip(NEXT) | instid1(VALU_DEP_1)
	v_add_f32_e32 v32, 1.0, v32
	v_rcp_f32_e32 v32, v32
	s_waitcnt_depctr 0xfff
	v_fma_f32 v43, v32, -2.0, 1.0
.LBB25_980:                             ;   in Loop: Header=BB25_942 Depth=1
	s_and_not1_saveexec_b32 s0, s0
; %bb.981:                              ;   in Loop: Header=BB25_942 Depth=1
	v_mul_f32_e32 v32, v105, v105
	s_delay_alu instid0(VALU_DEP_1) | instskip(NEXT) | instid1(VALU_DEP_1)
	v_fmaak_f32 v33, s27, v32, 0x3ca908c9
	v_fmaak_f32 v33, v32, v33, 0xbd5c1c4e
	s_delay_alu instid0(VALU_DEP_1) | instskip(NEXT) | instid1(VALU_DEP_1)
	v_fmaak_f32 v33, v32, v33, 0x3e088382
	v_fmaak_f32 v33, v32, v33, 0xbeaaaa99
	s_delay_alu instid0(VALU_DEP_1) | instskip(NEXT) | instid1(VALU_DEP_1)
	v_mul_f32_e64 v33, |v105|, v33
	v_fma_f32 v43, v32, v33, |v105|
; %bb.982:                              ;   in Loop: Header=BB25_942 Depth=1
	s_or_b32 exec_lo, exec_lo, s0
	v_cmp_ngt_f32_e64 s0, 0x3f200000, |v106|
                                        ; implicit-def: $vgpr46
	s_delay_alu instid0(VALU_DEP_1) | instskip(NEXT) | instid1(SALU_CYCLE_1)
	s_and_saveexec_b32 s1, s0
	s_xor_b32 s0, exec_lo, s1
	s_cbranch_execz .LBB25_984
; %bb.983:                              ;   in Loop: Header=BB25_942 Depth=1
	v_add_f32_e64 v32, |v106|, |v106|
	s_delay_alu instid0(VALU_DEP_1) | instskip(SKIP_1) | instid1(VALU_DEP_2)
	v_mul_f32_e32 v33, 0x3fb8aa3b, v32
	v_cmp_ngt_f32_e32 vcc_lo, 0xc2ce8ed0, v32
	v_rndne_f32_e32 v34, v33
	v_fma_f32 v35, 0x3fb8aa3b, v32, -v33
	s_delay_alu instid0(VALU_DEP_2) | instskip(NEXT) | instid1(VALU_DEP_2)
	v_sub_f32_e32 v33, v33, v34
	v_fmac_f32_e32 v35, 0x32a5705f, v32
	v_cvt_i32_f32_e32 v34, v34
	s_delay_alu instid0(VALU_DEP_2) | instskip(NEXT) | instid1(VALU_DEP_1)
	v_add_f32_e32 v33, v33, v35
	v_exp_f32_e32 v33, v33
	s_waitcnt_depctr 0xfff
	v_ldexp_f32 v33, v33, v34
	s_delay_alu instid0(VALU_DEP_1) | instskip(SKIP_1) | instid1(VALU_DEP_2)
	v_cndmask_b32_e32 v33, 0, v33, vcc_lo
	v_cmp_nlt_f32_e32 vcc_lo, 0x42b17218, v32
	v_cndmask_b32_e32 v32, 0x7f800000, v33, vcc_lo
	s_delay_alu instid0(VALU_DEP_1) | instskip(NEXT) | instid1(VALU_DEP_1)
	v_add_f32_e32 v32, 1.0, v32
	v_rcp_f32_e32 v32, v32
	s_waitcnt_depctr 0xfff
	v_fma_f32 v46, v32, -2.0, 1.0
.LBB25_984:                             ;   in Loop: Header=BB25_942 Depth=1
	s_and_not1_saveexec_b32 s0, s0
; %bb.985:                              ;   in Loop: Header=BB25_942 Depth=1
	v_mul_f32_e32 v32, v106, v106
	s_delay_alu instid0(VALU_DEP_1) | instskip(NEXT) | instid1(VALU_DEP_1)
	v_fmaak_f32 v33, s27, v32, 0x3ca908c9
	v_fmaak_f32 v33, v32, v33, 0xbd5c1c4e
	s_delay_alu instid0(VALU_DEP_1) | instskip(NEXT) | instid1(VALU_DEP_1)
	v_fmaak_f32 v33, v32, v33, 0x3e088382
	v_fmaak_f32 v33, v32, v33, 0xbeaaaa99
	s_delay_alu instid0(VALU_DEP_1) | instskip(NEXT) | instid1(VALU_DEP_1)
	v_mul_f32_e64 v33, |v106|, v33
	v_fma_f32 v46, v32, v33, |v106|
; %bb.986:                              ;   in Loop: Header=BB25_942 Depth=1
	s_or_b32 exec_lo, exec_lo, s0
	v_cmp_ngt_f32_e64 s0, 0x3f200000, |v107|
                                        ; implicit-def: $vgpr47
	s_delay_alu instid0(VALU_DEP_1) | instskip(NEXT) | instid1(SALU_CYCLE_1)
	s_and_saveexec_b32 s1, s0
	s_xor_b32 s0, exec_lo, s1
	s_cbranch_execz .LBB25_988
; %bb.987:                              ;   in Loop: Header=BB25_942 Depth=1
	v_add_f32_e64 v32, |v107|, |v107|
	s_delay_alu instid0(VALU_DEP_1) | instskip(SKIP_1) | instid1(VALU_DEP_2)
	v_mul_f32_e32 v33, 0x3fb8aa3b, v32
	v_cmp_ngt_f32_e32 vcc_lo, 0xc2ce8ed0, v32
	v_rndne_f32_e32 v34, v33
	v_fma_f32 v35, 0x3fb8aa3b, v32, -v33
	s_delay_alu instid0(VALU_DEP_2) | instskip(NEXT) | instid1(VALU_DEP_2)
	v_sub_f32_e32 v33, v33, v34
	v_fmac_f32_e32 v35, 0x32a5705f, v32
	v_cvt_i32_f32_e32 v34, v34
	s_delay_alu instid0(VALU_DEP_2) | instskip(NEXT) | instid1(VALU_DEP_1)
	v_add_f32_e32 v33, v33, v35
	v_exp_f32_e32 v33, v33
	s_waitcnt_depctr 0xfff
	v_ldexp_f32 v33, v33, v34
	s_delay_alu instid0(VALU_DEP_1) | instskip(SKIP_1) | instid1(VALU_DEP_2)
	v_cndmask_b32_e32 v33, 0, v33, vcc_lo
	v_cmp_nlt_f32_e32 vcc_lo, 0x42b17218, v32
	v_cndmask_b32_e32 v32, 0x7f800000, v33, vcc_lo
	s_delay_alu instid0(VALU_DEP_1) | instskip(NEXT) | instid1(VALU_DEP_1)
	v_add_f32_e32 v32, 1.0, v32
	v_rcp_f32_e32 v32, v32
	s_waitcnt_depctr 0xfff
	v_fma_f32 v47, v32, -2.0, 1.0
.LBB25_988:                             ;   in Loop: Header=BB25_942 Depth=1
	s_and_not1_saveexec_b32 s0, s0
; %bb.989:                              ;   in Loop: Header=BB25_942 Depth=1
	v_mul_f32_e32 v32, v107, v107
	s_delay_alu instid0(VALU_DEP_1) | instskip(NEXT) | instid1(VALU_DEP_1)
	v_fmaak_f32 v33, s27, v32, 0x3ca908c9
	v_fmaak_f32 v33, v32, v33, 0xbd5c1c4e
	s_delay_alu instid0(VALU_DEP_1) | instskip(NEXT) | instid1(VALU_DEP_1)
	v_fmaak_f32 v33, v32, v33, 0x3e088382
	v_fmaak_f32 v33, v32, v33, 0xbeaaaa99
	s_delay_alu instid0(VALU_DEP_1) | instskip(NEXT) | instid1(VALU_DEP_1)
	v_mul_f32_e64 v33, |v107|, v33
	v_fma_f32 v47, v32, v33, |v107|
; %bb.990:                              ;   in Loop: Header=BB25_942 Depth=1
	s_or_b32 exec_lo, exec_lo, s0
	v_cmp_ngt_f32_e64 s0, 0x3f200000, |v108|
                                        ; implicit-def: $vgpr53
	s_delay_alu instid0(VALU_DEP_1) | instskip(NEXT) | instid1(SALU_CYCLE_1)
	s_and_saveexec_b32 s1, s0
	s_xor_b32 s0, exec_lo, s1
	s_cbranch_execz .LBB25_992
; %bb.991:                              ;   in Loop: Header=BB25_942 Depth=1
	v_add_f32_e64 v32, |v108|, |v108|
	s_delay_alu instid0(VALU_DEP_1) | instskip(SKIP_1) | instid1(VALU_DEP_2)
	v_mul_f32_e32 v33, 0x3fb8aa3b, v32
	v_cmp_ngt_f32_e32 vcc_lo, 0xc2ce8ed0, v32
	v_rndne_f32_e32 v34, v33
	v_fma_f32 v35, 0x3fb8aa3b, v32, -v33
	s_delay_alu instid0(VALU_DEP_2) | instskip(NEXT) | instid1(VALU_DEP_2)
	v_sub_f32_e32 v33, v33, v34
	v_fmac_f32_e32 v35, 0x32a5705f, v32
	v_cvt_i32_f32_e32 v34, v34
	s_delay_alu instid0(VALU_DEP_2) | instskip(NEXT) | instid1(VALU_DEP_1)
	v_add_f32_e32 v33, v33, v35
	v_exp_f32_e32 v33, v33
	s_waitcnt_depctr 0xfff
	v_ldexp_f32 v33, v33, v34
	s_delay_alu instid0(VALU_DEP_1) | instskip(SKIP_1) | instid1(VALU_DEP_2)
	v_cndmask_b32_e32 v33, 0, v33, vcc_lo
	v_cmp_nlt_f32_e32 vcc_lo, 0x42b17218, v32
	v_cndmask_b32_e32 v32, 0x7f800000, v33, vcc_lo
	s_delay_alu instid0(VALU_DEP_1) | instskip(NEXT) | instid1(VALU_DEP_1)
	v_add_f32_e32 v32, 1.0, v32
	v_rcp_f32_e32 v32, v32
	s_waitcnt_depctr 0xfff
	v_fma_f32 v53, v32, -2.0, 1.0
.LBB25_992:                             ;   in Loop: Header=BB25_942 Depth=1
	s_and_not1_saveexec_b32 s0, s0
; %bb.993:                              ;   in Loop: Header=BB25_942 Depth=1
	v_mul_f32_e32 v32, v108, v108
	s_delay_alu instid0(VALU_DEP_1) | instskip(NEXT) | instid1(VALU_DEP_1)
	v_fmaak_f32 v33, s27, v32, 0x3ca908c9
	v_fmaak_f32 v33, v32, v33, 0xbd5c1c4e
	s_delay_alu instid0(VALU_DEP_1) | instskip(NEXT) | instid1(VALU_DEP_1)
	v_fmaak_f32 v33, v32, v33, 0x3e088382
	v_fmaak_f32 v33, v32, v33, 0xbeaaaa99
	s_delay_alu instid0(VALU_DEP_1) | instskip(NEXT) | instid1(VALU_DEP_1)
	v_mul_f32_e64 v33, |v108|, v33
	v_fma_f32 v53, v32, v33, |v108|
; %bb.994:                              ;   in Loop: Header=BB25_942 Depth=1
	s_or_b32 exec_lo, exec_lo, s0
	v_cmp_ngt_f32_e64 s0, 0x3f200000, |v109|
                                        ; implicit-def: $vgpr55
	s_delay_alu instid0(VALU_DEP_1) | instskip(NEXT) | instid1(SALU_CYCLE_1)
	s_and_saveexec_b32 s1, s0
	s_xor_b32 s0, exec_lo, s1
	s_cbranch_execz .LBB25_996
; %bb.995:                              ;   in Loop: Header=BB25_942 Depth=1
	v_add_f32_e64 v32, |v109|, |v109|
	s_delay_alu instid0(VALU_DEP_1) | instskip(SKIP_1) | instid1(VALU_DEP_2)
	v_mul_f32_e32 v33, 0x3fb8aa3b, v32
	v_cmp_ngt_f32_e32 vcc_lo, 0xc2ce8ed0, v32
	v_rndne_f32_e32 v34, v33
	v_fma_f32 v35, 0x3fb8aa3b, v32, -v33
	s_delay_alu instid0(VALU_DEP_2) | instskip(NEXT) | instid1(VALU_DEP_2)
	v_sub_f32_e32 v33, v33, v34
	v_fmac_f32_e32 v35, 0x32a5705f, v32
	v_cvt_i32_f32_e32 v34, v34
	s_delay_alu instid0(VALU_DEP_2) | instskip(NEXT) | instid1(VALU_DEP_1)
	v_add_f32_e32 v33, v33, v35
	v_exp_f32_e32 v33, v33
	s_waitcnt_depctr 0xfff
	v_ldexp_f32 v33, v33, v34
	s_delay_alu instid0(VALU_DEP_1) | instskip(SKIP_1) | instid1(VALU_DEP_2)
	v_cndmask_b32_e32 v33, 0, v33, vcc_lo
	v_cmp_nlt_f32_e32 vcc_lo, 0x42b17218, v32
	v_cndmask_b32_e32 v32, 0x7f800000, v33, vcc_lo
	s_delay_alu instid0(VALU_DEP_1) | instskip(NEXT) | instid1(VALU_DEP_1)
	v_add_f32_e32 v32, 1.0, v32
	v_rcp_f32_e32 v32, v32
	s_waitcnt_depctr 0xfff
	v_fma_f32 v55, v32, -2.0, 1.0
.LBB25_996:                             ;   in Loop: Header=BB25_942 Depth=1
	s_and_not1_saveexec_b32 s0, s0
; %bb.997:                              ;   in Loop: Header=BB25_942 Depth=1
	v_mul_f32_e32 v32, v109, v109
	s_delay_alu instid0(VALU_DEP_1) | instskip(NEXT) | instid1(VALU_DEP_1)
	v_fmaak_f32 v33, s27, v32, 0x3ca908c9
	v_fmaak_f32 v33, v32, v33, 0xbd5c1c4e
	s_delay_alu instid0(VALU_DEP_1) | instskip(NEXT) | instid1(VALU_DEP_1)
	v_fmaak_f32 v33, v32, v33, 0x3e088382
	v_fmaak_f32 v33, v32, v33, 0xbeaaaa99
	s_delay_alu instid0(VALU_DEP_1) | instskip(NEXT) | instid1(VALU_DEP_1)
	v_mul_f32_e64 v33, |v109|, v33
	v_fma_f32 v55, v32, v33, |v109|
; %bb.998:                              ;   in Loop: Header=BB25_942 Depth=1
	s_or_b32 exec_lo, exec_lo, s0
	v_cmp_ngt_f32_e64 s0, 0x3f200000, |v110|
                                        ; implicit-def: $vgpr60
	s_delay_alu instid0(VALU_DEP_1) | instskip(NEXT) | instid1(SALU_CYCLE_1)
	s_and_saveexec_b32 s1, s0
	s_xor_b32 s0, exec_lo, s1
	s_cbranch_execz .LBB25_1000
; %bb.999:                              ;   in Loop: Header=BB25_942 Depth=1
	v_add_f32_e64 v32, |v110|, |v110|
	s_delay_alu instid0(VALU_DEP_1) | instskip(SKIP_1) | instid1(VALU_DEP_2)
	v_mul_f32_e32 v33, 0x3fb8aa3b, v32
	v_cmp_ngt_f32_e32 vcc_lo, 0xc2ce8ed0, v32
	v_rndne_f32_e32 v34, v33
	v_fma_f32 v35, 0x3fb8aa3b, v32, -v33
	s_delay_alu instid0(VALU_DEP_2) | instskip(NEXT) | instid1(VALU_DEP_2)
	v_sub_f32_e32 v33, v33, v34
	v_fmac_f32_e32 v35, 0x32a5705f, v32
	v_cvt_i32_f32_e32 v34, v34
	s_delay_alu instid0(VALU_DEP_2) | instskip(NEXT) | instid1(VALU_DEP_1)
	v_add_f32_e32 v33, v33, v35
	v_exp_f32_e32 v33, v33
	s_waitcnt_depctr 0xfff
	v_ldexp_f32 v33, v33, v34
	s_delay_alu instid0(VALU_DEP_1) | instskip(SKIP_1) | instid1(VALU_DEP_2)
	v_cndmask_b32_e32 v33, 0, v33, vcc_lo
	v_cmp_nlt_f32_e32 vcc_lo, 0x42b17218, v32
	v_cndmask_b32_e32 v32, 0x7f800000, v33, vcc_lo
	s_delay_alu instid0(VALU_DEP_1) | instskip(NEXT) | instid1(VALU_DEP_1)
	v_add_f32_e32 v32, 1.0, v32
	v_rcp_f32_e32 v32, v32
	s_waitcnt_depctr 0xfff
	v_fma_f32 v60, v32, -2.0, 1.0
.LBB25_1000:                            ;   in Loop: Header=BB25_942 Depth=1
	s_and_not1_saveexec_b32 s0, s0
; %bb.1001:                             ;   in Loop: Header=BB25_942 Depth=1
	v_mul_f32_e32 v32, v110, v110
	s_delay_alu instid0(VALU_DEP_1) | instskip(NEXT) | instid1(VALU_DEP_1)
	v_fmaak_f32 v33, s27, v32, 0x3ca908c9
	v_fmaak_f32 v33, v32, v33, 0xbd5c1c4e
	s_delay_alu instid0(VALU_DEP_1) | instskip(NEXT) | instid1(VALU_DEP_1)
	v_fmaak_f32 v33, v32, v33, 0x3e088382
	v_fmaak_f32 v33, v32, v33, 0xbeaaaa99
	s_delay_alu instid0(VALU_DEP_1) | instskip(NEXT) | instid1(VALU_DEP_1)
	v_mul_f32_e64 v33, |v110|, v33
	v_fma_f32 v60, v32, v33, |v110|
; %bb.1002:                             ;   in Loop: Header=BB25_942 Depth=1
	s_or_b32 exec_lo, exec_lo, s0
	v_cmp_ngt_f32_e64 s0, 0x3f200000, |v111|
                                        ; implicit-def: $vgpr52
	s_delay_alu instid0(VALU_DEP_1) | instskip(NEXT) | instid1(SALU_CYCLE_1)
	s_and_saveexec_b32 s1, s0
	s_xor_b32 s0, exec_lo, s1
	s_cbranch_execz .LBB25_1004
; %bb.1003:                             ;   in Loop: Header=BB25_942 Depth=1
	v_add_f32_e64 v32, |v111|, |v111|
	s_delay_alu instid0(VALU_DEP_1) | instskip(SKIP_1) | instid1(VALU_DEP_2)
	v_mul_f32_e32 v33, 0x3fb8aa3b, v32
	v_cmp_ngt_f32_e32 vcc_lo, 0xc2ce8ed0, v32
	v_rndne_f32_e32 v34, v33
	v_fma_f32 v35, 0x3fb8aa3b, v32, -v33
	s_delay_alu instid0(VALU_DEP_2) | instskip(NEXT) | instid1(VALU_DEP_2)
	v_sub_f32_e32 v33, v33, v34
	v_fmac_f32_e32 v35, 0x32a5705f, v32
	v_cvt_i32_f32_e32 v34, v34
	s_delay_alu instid0(VALU_DEP_2) | instskip(NEXT) | instid1(VALU_DEP_1)
	v_add_f32_e32 v33, v33, v35
	v_exp_f32_e32 v33, v33
	s_waitcnt_depctr 0xfff
	v_ldexp_f32 v33, v33, v34
	s_delay_alu instid0(VALU_DEP_1) | instskip(SKIP_1) | instid1(VALU_DEP_2)
	v_cndmask_b32_e32 v33, 0, v33, vcc_lo
	v_cmp_nlt_f32_e32 vcc_lo, 0x42b17218, v32
	v_cndmask_b32_e32 v32, 0x7f800000, v33, vcc_lo
	s_delay_alu instid0(VALU_DEP_1) | instskip(NEXT) | instid1(VALU_DEP_1)
	v_add_f32_e32 v32, 1.0, v32
	v_rcp_f32_e32 v32, v32
	s_waitcnt_depctr 0xfff
	v_fma_f32 v52, v32, -2.0, 1.0
.LBB25_1004:                            ;   in Loop: Header=BB25_942 Depth=1
	s_and_not1_saveexec_b32 s0, s0
; %bb.1005:                             ;   in Loop: Header=BB25_942 Depth=1
	v_mul_f32_e32 v32, v111, v111
	s_delay_alu instid0(VALU_DEP_1) | instskip(NEXT) | instid1(VALU_DEP_1)
	v_fmaak_f32 v33, s27, v32, 0x3ca908c9
	v_fmaak_f32 v33, v32, v33, 0xbd5c1c4e
	s_delay_alu instid0(VALU_DEP_1) | instskip(NEXT) | instid1(VALU_DEP_1)
	v_fmaak_f32 v33, v32, v33, 0x3e088382
	v_fmaak_f32 v33, v32, v33, 0xbeaaaa99
	s_delay_alu instid0(VALU_DEP_1) | instskip(NEXT) | instid1(VALU_DEP_1)
	v_mul_f32_e64 v33, |v111|, v33
	v_fma_f32 v52, v32, v33, |v111|
; %bb.1006:                             ;   in Loop: Header=BB25_942 Depth=1
	s_or_b32 exec_lo, exec_lo, s0
	s_clause 0x1
	scratch_load_b128 v[61:64], off, off offset:96
	scratch_load_b128 v[65:68], off, off offset:112
	v_dual_mov_b32 v39, s23 :: v_dual_mov_b32 v38, s22
	v_dual_mov_b32 v37, s21 :: v_dual_mov_b32 v36, s20
	;; [unrolled: 1-line block ×4, first 2 shown]
                                        ; implicit-def: $vgpr41
	s_waitcnt vmcnt(0)
	s_delay_alu instid0(VALU_DEP_1)
	v_wmma_f32_16x16x16_f16 v[208:215], v[240:247], v[61:68], v[32:39]
	s_clause 0x1
	scratch_load_b128 v[32:35], off, off offset:32
	scratch_load_b128 v[36:39], off, off offset:48
	v_dual_mov_b32 v247, v68 :: v_dual_mov_b32 v246, v67
	v_wmma_f32_16x16x16_f16 v[208:215], v[232:239], v[144:151], v[208:215]
	v_dual_mov_b32 v239, v151 :: v_dual_mov_b32 v238, v150
	v_dual_mov_b32 v245, v66 :: v_dual_mov_b32 v244, v65
	s_delay_alu instid0(VALU_DEP_3) | instskip(SKIP_2) | instid1(VALU_DEP_3)
	v_wmma_f32_16x16x16_f16 v[208:215], v[224:231], v[136:143], v[208:215]
	v_dual_mov_b32 v231, v143 :: v_dual_mov_b32 v230, v142
	v_dual_mov_b32 v243, v64 :: v_dual_mov_b32 v242, v63
	v_wmma_f32_16x16x16_f16 v[208:215], v[216:223], v[128:135], v[208:215]
	v_dual_mov_b32 v223, v135 :: v_dual_mov_b32 v222, v134
	v_dual_mov_b32 v241, v62 :: v_dual_mov_b32 v240, v61
	;; [unrolled: 1-line block ×11, first 2 shown]
	s_waitcnt vmcnt(0)
	v_wmma_f32_16x16x16_f16 v[208:215], v[200:207], v[32:39], v[208:215]
	v_dual_mov_b32 v207, v127 :: v_dual_mov_b32 v206, v126
	v_dual_mov_b32 v205, v125 :: v_dual_mov_b32 v204, v124
	;; [unrolled: 1-line block ×4, first 2 shown]
	s_delay_alu instid0(VALU_DEP_1)
	v_wmma_f32_16x16x16_f16 v[208:215], v[192:199], v[200:207], v[208:215]
	s_clause 0x3
	scratch_load_b128 v[192:195], off, off offset:64
	scratch_load_b128 v[196:199], off, off offset:80
	scratch_load_b128 v[32:35], off, off
	scratch_load_b128 v[36:39], off, off offset:16
	s_waitcnt vmcnt(2)
	v_wmma_f32_16x16x16_f16 v[208:215], v[184:191], v[192:199], v[208:215]
	s_waitcnt vmcnt(0)
	s_delay_alu instid0(VALU_DEP_1) | instskip(NEXT) | instid1(VALU_DEP_1)
	v_wmma_f32_16x16x16_f16 v[208:215], v[176:183], v[32:39], v[208:215]
	v_cmp_ngt_f32_e64 s0, 0x3f200000, |v208|
	s_delay_alu instid0(VALU_DEP_1) | instskip(NEXT) | instid1(SALU_CYCLE_1)
	s_and_saveexec_b32 s1, s0
	s_xor_b32 s0, exec_lo, s1
	s_cbranch_execz .LBB25_1008
; %bb.1007:                             ;   in Loop: Header=BB25_942 Depth=1
	v_add_f32_e64 v32, |v208|, |v208|
	s_delay_alu instid0(VALU_DEP_1) | instskip(SKIP_1) | instid1(VALU_DEP_2)
	v_mul_f32_e32 v33, 0x3fb8aa3b, v32
	v_cmp_ngt_f32_e32 vcc_lo, 0xc2ce8ed0, v32
	v_rndne_f32_e32 v34, v33
	v_fma_f32 v35, 0x3fb8aa3b, v32, -v33
	s_delay_alu instid0(VALU_DEP_2) | instskip(NEXT) | instid1(VALU_DEP_2)
	v_sub_f32_e32 v33, v33, v34
	v_fmac_f32_e32 v35, 0x32a5705f, v32
	v_cvt_i32_f32_e32 v34, v34
	s_delay_alu instid0(VALU_DEP_2) | instskip(NEXT) | instid1(VALU_DEP_1)
	v_add_f32_e32 v33, v33, v35
	v_exp_f32_e32 v33, v33
	s_waitcnt_depctr 0xfff
	v_ldexp_f32 v33, v33, v34
	s_delay_alu instid0(VALU_DEP_1) | instskip(SKIP_1) | instid1(VALU_DEP_2)
	v_cndmask_b32_e32 v33, 0, v33, vcc_lo
	v_cmp_nlt_f32_e32 vcc_lo, 0x42b17218, v32
	v_cndmask_b32_e32 v32, 0x7f800000, v33, vcc_lo
	s_delay_alu instid0(VALU_DEP_1) | instskip(NEXT) | instid1(VALU_DEP_1)
	v_add_f32_e32 v32, 1.0, v32
	v_rcp_f32_e32 v32, v32
	s_waitcnt_depctr 0xfff
	v_fma_f32 v41, v32, -2.0, 1.0
.LBB25_1008:                            ;   in Loop: Header=BB25_942 Depth=1
	s_and_not1_saveexec_b32 s0, s0
; %bb.1009:                             ;   in Loop: Header=BB25_942 Depth=1
	v_mul_f32_e32 v32, v208, v208
	s_delay_alu instid0(VALU_DEP_1) | instskip(NEXT) | instid1(VALU_DEP_1)
	v_fmaak_f32 v33, s27, v32, 0x3ca908c9
	v_fmaak_f32 v33, v32, v33, 0xbd5c1c4e
	s_delay_alu instid0(VALU_DEP_1) | instskip(NEXT) | instid1(VALU_DEP_1)
	v_fmaak_f32 v33, v32, v33, 0x3e088382
	v_fmaak_f32 v33, v32, v33, 0xbeaaaa99
	s_delay_alu instid0(VALU_DEP_1) | instskip(NEXT) | instid1(VALU_DEP_1)
	v_mul_f32_e64 v33, |v208|, v33
	v_fma_f32 v41, v32, v33, |v208|
; %bb.1010:                             ;   in Loop: Header=BB25_942 Depth=1
	s_or_b32 exec_lo, exec_lo, s0
	v_cmp_ngt_f32_e64 s0, 0x3f200000, |v209|
                                        ; implicit-def: $vgpr44
	s_delay_alu instid0(VALU_DEP_1) | instskip(NEXT) | instid1(SALU_CYCLE_1)
	s_and_saveexec_b32 s1, s0
	s_xor_b32 s0, exec_lo, s1
	s_cbranch_execz .LBB25_1012
; %bb.1011:                             ;   in Loop: Header=BB25_942 Depth=1
	v_add_f32_e64 v32, |v209|, |v209|
	s_delay_alu instid0(VALU_DEP_1) | instskip(SKIP_1) | instid1(VALU_DEP_2)
	v_mul_f32_e32 v33, 0x3fb8aa3b, v32
	v_cmp_ngt_f32_e32 vcc_lo, 0xc2ce8ed0, v32
	v_rndne_f32_e32 v34, v33
	v_fma_f32 v35, 0x3fb8aa3b, v32, -v33
	s_delay_alu instid0(VALU_DEP_2) | instskip(NEXT) | instid1(VALU_DEP_2)
	v_sub_f32_e32 v33, v33, v34
	v_fmac_f32_e32 v35, 0x32a5705f, v32
	v_cvt_i32_f32_e32 v34, v34
	s_delay_alu instid0(VALU_DEP_2) | instskip(NEXT) | instid1(VALU_DEP_1)
	v_add_f32_e32 v33, v33, v35
	v_exp_f32_e32 v33, v33
	s_waitcnt_depctr 0xfff
	v_ldexp_f32 v33, v33, v34
	s_delay_alu instid0(VALU_DEP_1) | instskip(SKIP_1) | instid1(VALU_DEP_2)
	v_cndmask_b32_e32 v33, 0, v33, vcc_lo
	v_cmp_nlt_f32_e32 vcc_lo, 0x42b17218, v32
	v_cndmask_b32_e32 v32, 0x7f800000, v33, vcc_lo
	s_delay_alu instid0(VALU_DEP_1) | instskip(NEXT) | instid1(VALU_DEP_1)
	v_add_f32_e32 v32, 1.0, v32
	v_rcp_f32_e32 v32, v32
	s_waitcnt_depctr 0xfff
	v_fma_f32 v44, v32, -2.0, 1.0
.LBB25_1012:                            ;   in Loop: Header=BB25_942 Depth=1
	s_and_not1_saveexec_b32 s0, s0
; %bb.1013:                             ;   in Loop: Header=BB25_942 Depth=1
	v_mul_f32_e32 v32, v209, v209
	s_delay_alu instid0(VALU_DEP_1) | instskip(NEXT) | instid1(VALU_DEP_1)
	v_fmaak_f32 v33, s27, v32, 0x3ca908c9
	v_fmaak_f32 v33, v32, v33, 0xbd5c1c4e
	s_delay_alu instid0(VALU_DEP_1) | instskip(NEXT) | instid1(VALU_DEP_1)
	v_fmaak_f32 v33, v32, v33, 0x3e088382
	v_fmaak_f32 v33, v32, v33, 0xbeaaaa99
	s_delay_alu instid0(VALU_DEP_1) | instskip(NEXT) | instid1(VALU_DEP_1)
	v_mul_f32_e64 v33, |v209|, v33
	v_fma_f32 v44, v32, v33, |v209|
; %bb.1014:                             ;   in Loop: Header=BB25_942 Depth=1
	s_or_b32 exec_lo, exec_lo, s0
	v_cmp_ngt_f32_e64 s0, 0x3f200000, |v210|
                                        ; implicit-def: $vgpr45
	s_delay_alu instid0(VALU_DEP_1) | instskip(NEXT) | instid1(SALU_CYCLE_1)
	s_and_saveexec_b32 s1, s0
	s_xor_b32 s0, exec_lo, s1
	s_cbranch_execz .LBB25_1016
; %bb.1015:                             ;   in Loop: Header=BB25_942 Depth=1
	v_add_f32_e64 v32, |v210|, |v210|
	s_delay_alu instid0(VALU_DEP_1) | instskip(SKIP_1) | instid1(VALU_DEP_2)
	v_mul_f32_e32 v33, 0x3fb8aa3b, v32
	v_cmp_ngt_f32_e32 vcc_lo, 0xc2ce8ed0, v32
	v_rndne_f32_e32 v34, v33
	v_fma_f32 v35, 0x3fb8aa3b, v32, -v33
	s_delay_alu instid0(VALU_DEP_2) | instskip(NEXT) | instid1(VALU_DEP_2)
	v_sub_f32_e32 v33, v33, v34
	v_fmac_f32_e32 v35, 0x32a5705f, v32
	v_cvt_i32_f32_e32 v34, v34
	s_delay_alu instid0(VALU_DEP_2) | instskip(NEXT) | instid1(VALU_DEP_1)
	v_add_f32_e32 v33, v33, v35
	v_exp_f32_e32 v33, v33
	s_waitcnt_depctr 0xfff
	v_ldexp_f32 v33, v33, v34
	s_delay_alu instid0(VALU_DEP_1) | instskip(SKIP_1) | instid1(VALU_DEP_2)
	v_cndmask_b32_e32 v33, 0, v33, vcc_lo
	v_cmp_nlt_f32_e32 vcc_lo, 0x42b17218, v32
	v_cndmask_b32_e32 v32, 0x7f800000, v33, vcc_lo
	s_delay_alu instid0(VALU_DEP_1) | instskip(NEXT) | instid1(VALU_DEP_1)
	v_add_f32_e32 v32, 1.0, v32
	v_rcp_f32_e32 v32, v32
	s_waitcnt_depctr 0xfff
	v_fma_f32 v45, v32, -2.0, 1.0
.LBB25_1016:                            ;   in Loop: Header=BB25_942 Depth=1
	s_and_not1_saveexec_b32 s0, s0
; %bb.1017:                             ;   in Loop: Header=BB25_942 Depth=1
	v_mul_f32_e32 v32, v210, v210
	s_delay_alu instid0(VALU_DEP_1) | instskip(NEXT) | instid1(VALU_DEP_1)
	v_fmaak_f32 v33, s27, v32, 0x3ca908c9
	v_fmaak_f32 v33, v32, v33, 0xbd5c1c4e
	s_delay_alu instid0(VALU_DEP_1) | instskip(NEXT) | instid1(VALU_DEP_1)
	v_fmaak_f32 v33, v32, v33, 0x3e088382
	v_fmaak_f32 v33, v32, v33, 0xbeaaaa99
	s_delay_alu instid0(VALU_DEP_1) | instskip(NEXT) | instid1(VALU_DEP_1)
	v_mul_f32_e64 v33, |v210|, v33
	v_fma_f32 v45, v32, v33, |v210|
; %bb.1018:                             ;   in Loop: Header=BB25_942 Depth=1
	s_or_b32 exec_lo, exec_lo, s0
	v_cmp_ngt_f32_e64 s0, 0x3f200000, |v211|
                                        ; implicit-def: $vgpr49
	s_delay_alu instid0(VALU_DEP_1) | instskip(NEXT) | instid1(SALU_CYCLE_1)
	s_and_saveexec_b32 s1, s0
	s_xor_b32 s0, exec_lo, s1
	s_cbranch_execz .LBB25_1020
; %bb.1019:                             ;   in Loop: Header=BB25_942 Depth=1
	v_add_f32_e64 v32, |v211|, |v211|
	s_delay_alu instid0(VALU_DEP_1) | instskip(SKIP_1) | instid1(VALU_DEP_2)
	v_mul_f32_e32 v33, 0x3fb8aa3b, v32
	v_cmp_ngt_f32_e32 vcc_lo, 0xc2ce8ed0, v32
	v_rndne_f32_e32 v34, v33
	v_fma_f32 v35, 0x3fb8aa3b, v32, -v33
	s_delay_alu instid0(VALU_DEP_2) | instskip(NEXT) | instid1(VALU_DEP_2)
	v_sub_f32_e32 v33, v33, v34
	v_fmac_f32_e32 v35, 0x32a5705f, v32
	v_cvt_i32_f32_e32 v34, v34
	s_delay_alu instid0(VALU_DEP_2) | instskip(NEXT) | instid1(VALU_DEP_1)
	v_add_f32_e32 v33, v33, v35
	v_exp_f32_e32 v33, v33
	s_waitcnt_depctr 0xfff
	v_ldexp_f32 v33, v33, v34
	s_delay_alu instid0(VALU_DEP_1) | instskip(SKIP_1) | instid1(VALU_DEP_2)
	v_cndmask_b32_e32 v33, 0, v33, vcc_lo
	v_cmp_nlt_f32_e32 vcc_lo, 0x42b17218, v32
	v_cndmask_b32_e32 v32, 0x7f800000, v33, vcc_lo
	s_delay_alu instid0(VALU_DEP_1) | instskip(NEXT) | instid1(VALU_DEP_1)
	v_add_f32_e32 v32, 1.0, v32
	v_rcp_f32_e32 v32, v32
	s_waitcnt_depctr 0xfff
	v_fma_f32 v49, v32, -2.0, 1.0
.LBB25_1020:                            ;   in Loop: Header=BB25_942 Depth=1
	s_and_not1_saveexec_b32 s0, s0
; %bb.1021:                             ;   in Loop: Header=BB25_942 Depth=1
	v_mul_f32_e32 v32, v211, v211
	s_delay_alu instid0(VALU_DEP_1) | instskip(NEXT) | instid1(VALU_DEP_1)
	v_fmaak_f32 v33, s27, v32, 0x3ca908c9
	v_fmaak_f32 v33, v32, v33, 0xbd5c1c4e
	s_delay_alu instid0(VALU_DEP_1) | instskip(NEXT) | instid1(VALU_DEP_1)
	v_fmaak_f32 v33, v32, v33, 0x3e088382
	v_fmaak_f32 v33, v32, v33, 0xbeaaaa99
	s_delay_alu instid0(VALU_DEP_1) | instskip(NEXT) | instid1(VALU_DEP_1)
	v_mul_f32_e64 v33, |v211|, v33
	v_fma_f32 v49, v32, v33, |v211|
; %bb.1022:                             ;   in Loop: Header=BB25_942 Depth=1
	s_or_b32 exec_lo, exec_lo, s0
	v_cmp_ngt_f32_e64 s0, 0x3f200000, |v212|
                                        ; implicit-def: $vgpr54
	s_delay_alu instid0(VALU_DEP_1) | instskip(NEXT) | instid1(SALU_CYCLE_1)
	s_and_saveexec_b32 s1, s0
	s_xor_b32 s0, exec_lo, s1
	s_cbranch_execz .LBB25_1024
; %bb.1023:                             ;   in Loop: Header=BB25_942 Depth=1
	v_add_f32_e64 v32, |v212|, |v212|
	s_delay_alu instid0(VALU_DEP_1) | instskip(SKIP_1) | instid1(VALU_DEP_2)
	v_mul_f32_e32 v33, 0x3fb8aa3b, v32
	v_cmp_ngt_f32_e32 vcc_lo, 0xc2ce8ed0, v32
	v_rndne_f32_e32 v34, v33
	v_fma_f32 v35, 0x3fb8aa3b, v32, -v33
	s_delay_alu instid0(VALU_DEP_2) | instskip(NEXT) | instid1(VALU_DEP_2)
	v_sub_f32_e32 v33, v33, v34
	v_fmac_f32_e32 v35, 0x32a5705f, v32
	v_cvt_i32_f32_e32 v34, v34
	s_delay_alu instid0(VALU_DEP_2) | instskip(NEXT) | instid1(VALU_DEP_1)
	v_add_f32_e32 v33, v33, v35
	v_exp_f32_e32 v33, v33
	s_waitcnt_depctr 0xfff
	v_ldexp_f32 v33, v33, v34
	s_delay_alu instid0(VALU_DEP_1) | instskip(SKIP_1) | instid1(VALU_DEP_2)
	v_cndmask_b32_e32 v33, 0, v33, vcc_lo
	v_cmp_nlt_f32_e32 vcc_lo, 0x42b17218, v32
	v_cndmask_b32_e32 v32, 0x7f800000, v33, vcc_lo
	s_delay_alu instid0(VALU_DEP_1) | instskip(NEXT) | instid1(VALU_DEP_1)
	v_add_f32_e32 v32, 1.0, v32
	v_rcp_f32_e32 v32, v32
	s_waitcnt_depctr 0xfff
	v_fma_f32 v54, v32, -2.0, 1.0
.LBB25_1024:                            ;   in Loop: Header=BB25_942 Depth=1
	s_and_not1_saveexec_b32 s0, s0
; %bb.1025:                             ;   in Loop: Header=BB25_942 Depth=1
	v_mul_f32_e32 v32, v212, v212
	s_delay_alu instid0(VALU_DEP_1) | instskip(NEXT) | instid1(VALU_DEP_1)
	v_fmaak_f32 v33, s27, v32, 0x3ca908c9
	v_fmaak_f32 v33, v32, v33, 0xbd5c1c4e
	s_delay_alu instid0(VALU_DEP_1) | instskip(NEXT) | instid1(VALU_DEP_1)
	v_fmaak_f32 v33, v32, v33, 0x3e088382
	v_fmaak_f32 v33, v32, v33, 0xbeaaaa99
	s_delay_alu instid0(VALU_DEP_1) | instskip(NEXT) | instid1(VALU_DEP_1)
	v_mul_f32_e64 v33, |v212|, v33
	v_fma_f32 v54, v32, v33, |v212|
; %bb.1026:                             ;   in Loop: Header=BB25_942 Depth=1
	s_or_b32 exec_lo, exec_lo, s0
	v_cmp_ngt_f32_e64 s0, 0x3f200000, |v213|
                                        ; implicit-def: $vgpr56
	s_delay_alu instid0(VALU_DEP_1) | instskip(NEXT) | instid1(SALU_CYCLE_1)
	s_and_saveexec_b32 s1, s0
	s_xor_b32 s0, exec_lo, s1
	s_cbranch_execz .LBB25_1028
; %bb.1027:                             ;   in Loop: Header=BB25_942 Depth=1
	v_add_f32_e64 v32, |v213|, |v213|
	s_delay_alu instid0(VALU_DEP_1) | instskip(SKIP_1) | instid1(VALU_DEP_2)
	v_mul_f32_e32 v33, 0x3fb8aa3b, v32
	v_cmp_ngt_f32_e32 vcc_lo, 0xc2ce8ed0, v32
	v_rndne_f32_e32 v34, v33
	v_fma_f32 v35, 0x3fb8aa3b, v32, -v33
	s_delay_alu instid0(VALU_DEP_2) | instskip(NEXT) | instid1(VALU_DEP_2)
	v_sub_f32_e32 v33, v33, v34
	v_fmac_f32_e32 v35, 0x32a5705f, v32
	v_cvt_i32_f32_e32 v34, v34
	s_delay_alu instid0(VALU_DEP_2) | instskip(NEXT) | instid1(VALU_DEP_1)
	v_add_f32_e32 v33, v33, v35
	v_exp_f32_e32 v33, v33
	s_waitcnt_depctr 0xfff
	v_ldexp_f32 v33, v33, v34
	s_delay_alu instid0(VALU_DEP_1) | instskip(SKIP_1) | instid1(VALU_DEP_2)
	v_cndmask_b32_e32 v33, 0, v33, vcc_lo
	v_cmp_nlt_f32_e32 vcc_lo, 0x42b17218, v32
	v_cndmask_b32_e32 v32, 0x7f800000, v33, vcc_lo
	s_delay_alu instid0(VALU_DEP_1) | instskip(NEXT) | instid1(VALU_DEP_1)
	v_add_f32_e32 v32, 1.0, v32
	v_rcp_f32_e32 v32, v32
	s_waitcnt_depctr 0xfff
	v_fma_f32 v56, v32, -2.0, 1.0
.LBB25_1028:                            ;   in Loop: Header=BB25_942 Depth=1
	s_and_not1_saveexec_b32 s0, s0
; %bb.1029:                             ;   in Loop: Header=BB25_942 Depth=1
	v_mul_f32_e32 v32, v213, v213
	s_delay_alu instid0(VALU_DEP_1) | instskip(NEXT) | instid1(VALU_DEP_1)
	v_fmaak_f32 v33, s27, v32, 0x3ca908c9
	v_fmaak_f32 v33, v32, v33, 0xbd5c1c4e
	s_delay_alu instid0(VALU_DEP_1) | instskip(NEXT) | instid1(VALU_DEP_1)
	v_fmaak_f32 v33, v32, v33, 0x3e088382
	v_fmaak_f32 v33, v32, v33, 0xbeaaaa99
	s_delay_alu instid0(VALU_DEP_1) | instskip(NEXT) | instid1(VALU_DEP_1)
	v_mul_f32_e64 v33, |v213|, v33
	v_fma_f32 v56, v32, v33, |v213|
; %bb.1030:                             ;   in Loop: Header=BB25_942 Depth=1
	s_or_b32 exec_lo, exec_lo, s0
	v_cmp_ngt_f32_e64 s0, 0x3f200000, |v214|
                                        ; implicit-def: $vgpr57
	s_delay_alu instid0(VALU_DEP_1) | instskip(NEXT) | instid1(SALU_CYCLE_1)
	s_and_saveexec_b32 s1, s0
	s_xor_b32 s0, exec_lo, s1
	s_cbranch_execz .LBB25_1032
; %bb.1031:                             ;   in Loop: Header=BB25_942 Depth=1
	v_add_f32_e64 v32, |v214|, |v214|
	s_delay_alu instid0(VALU_DEP_1) | instskip(SKIP_1) | instid1(VALU_DEP_2)
	v_mul_f32_e32 v33, 0x3fb8aa3b, v32
	v_cmp_ngt_f32_e32 vcc_lo, 0xc2ce8ed0, v32
	v_rndne_f32_e32 v34, v33
	v_fma_f32 v35, 0x3fb8aa3b, v32, -v33
	s_delay_alu instid0(VALU_DEP_2) | instskip(NEXT) | instid1(VALU_DEP_2)
	v_sub_f32_e32 v33, v33, v34
	v_fmac_f32_e32 v35, 0x32a5705f, v32
	v_cvt_i32_f32_e32 v34, v34
	s_delay_alu instid0(VALU_DEP_2) | instskip(NEXT) | instid1(VALU_DEP_1)
	v_add_f32_e32 v33, v33, v35
	v_exp_f32_e32 v33, v33
	s_waitcnt_depctr 0xfff
	v_ldexp_f32 v33, v33, v34
	s_delay_alu instid0(VALU_DEP_1) | instskip(SKIP_1) | instid1(VALU_DEP_2)
	v_cndmask_b32_e32 v33, 0, v33, vcc_lo
	v_cmp_nlt_f32_e32 vcc_lo, 0x42b17218, v32
	v_cndmask_b32_e32 v32, 0x7f800000, v33, vcc_lo
	s_delay_alu instid0(VALU_DEP_1) | instskip(NEXT) | instid1(VALU_DEP_1)
	v_add_f32_e32 v32, 1.0, v32
	v_rcp_f32_e32 v32, v32
	s_waitcnt_depctr 0xfff
	v_fma_f32 v57, v32, -2.0, 1.0
.LBB25_1032:                            ;   in Loop: Header=BB25_942 Depth=1
	s_and_not1_saveexec_b32 s0, s0
; %bb.1033:                             ;   in Loop: Header=BB25_942 Depth=1
	v_mul_f32_e32 v32, v214, v214
	s_delay_alu instid0(VALU_DEP_1) | instskip(NEXT) | instid1(VALU_DEP_1)
	v_fmaak_f32 v33, s27, v32, 0x3ca908c9
	v_fmaak_f32 v33, v32, v33, 0xbd5c1c4e
	s_delay_alu instid0(VALU_DEP_1) | instskip(NEXT) | instid1(VALU_DEP_1)
	v_fmaak_f32 v33, v32, v33, 0x3e088382
	v_fmaak_f32 v33, v32, v33, 0xbeaaaa99
	s_delay_alu instid0(VALU_DEP_1) | instskip(NEXT) | instid1(VALU_DEP_1)
	v_mul_f32_e64 v33, |v214|, v33
	v_fma_f32 v57, v32, v33, |v214|
; %bb.1034:                             ;   in Loop: Header=BB25_942 Depth=1
	s_or_b32 exec_lo, exec_lo, s0
	v_cmp_ngt_f32_e64 s0, 0x3f200000, |v215|
                                        ; implicit-def: $vgpr40
	s_delay_alu instid0(VALU_DEP_1) | instskip(NEXT) | instid1(SALU_CYCLE_1)
	s_and_saveexec_b32 s1, s0
	s_xor_b32 s0, exec_lo, s1
	s_cbranch_execz .LBB25_1036
; %bb.1035:                             ;   in Loop: Header=BB25_942 Depth=1
	v_add_f32_e64 v32, |v215|, |v215|
	s_delay_alu instid0(VALU_DEP_1) | instskip(SKIP_1) | instid1(VALU_DEP_2)
	v_mul_f32_e32 v33, 0x3fb8aa3b, v32
	v_cmp_ngt_f32_e32 vcc_lo, 0xc2ce8ed0, v32
	v_rndne_f32_e32 v34, v33
	v_fma_f32 v35, 0x3fb8aa3b, v32, -v33
	s_delay_alu instid0(VALU_DEP_2) | instskip(NEXT) | instid1(VALU_DEP_2)
	v_sub_f32_e32 v33, v33, v34
	v_fmac_f32_e32 v35, 0x32a5705f, v32
	v_cvt_i32_f32_e32 v34, v34
	s_delay_alu instid0(VALU_DEP_2) | instskip(NEXT) | instid1(VALU_DEP_1)
	v_add_f32_e32 v33, v33, v35
	v_exp_f32_e32 v33, v33
	s_waitcnt_depctr 0xfff
	v_ldexp_f32 v33, v33, v34
	s_delay_alu instid0(VALU_DEP_1) | instskip(SKIP_1) | instid1(VALU_DEP_2)
	v_cndmask_b32_e32 v33, 0, v33, vcc_lo
	v_cmp_nlt_f32_e32 vcc_lo, 0x42b17218, v32
	v_cndmask_b32_e32 v32, 0x7f800000, v33, vcc_lo
	s_delay_alu instid0(VALU_DEP_1) | instskip(NEXT) | instid1(VALU_DEP_1)
	v_add_f32_e32 v32, 1.0, v32
	v_rcp_f32_e32 v32, v32
	s_waitcnt_depctr 0xfff
	v_fma_f32 v40, v32, -2.0, 1.0
.LBB25_1036:                            ;   in Loop: Header=BB25_942 Depth=1
	s_and_not1_saveexec_b32 s0, s0
; %bb.1037:                             ;   in Loop: Header=BB25_942 Depth=1
	v_mul_f32_e32 v32, v215, v215
	s_delay_alu instid0(VALU_DEP_1) | instskip(NEXT) | instid1(VALU_DEP_1)
	v_fmaak_f32 v33, s27, v32, 0x3ca908c9
	v_fmaak_f32 v33, v32, v33, 0xbd5c1c4e
	s_delay_alu instid0(VALU_DEP_1) | instskip(NEXT) | instid1(VALU_DEP_1)
	v_fmaak_f32 v33, v32, v33, 0x3e088382
	v_fmaak_f32 v33, v32, v33, 0xbeaaaa99
	s_delay_alu instid0(VALU_DEP_1) | instskip(NEXT) | instid1(VALU_DEP_1)
	v_mul_f32_e64 v33, |v215|, v33
	v_fma_f32 v40, v32, v33, |v215|
; %bb.1038:                             ;   in Loop: Header=BB25_942 Depth=1
	s_or_b32 exec_lo, exec_lo, s0
	v_dual_mov_b32 v68, s23 :: v_dual_mov_b32 v67, s22
	v_dual_mov_b32 v66, s21 :: v_dual_mov_b32 v65, s20
	;; [unrolled: 1-line block ×4, first 2 shown]
	s_delay_alu instid0(VALU_DEP_1) | instskip(SKIP_4) | instid1(VALU_DEP_1)
	v_wmma_f32_16x16x16_f16 v[32:39], v[168:175], v[240:247], v[61:68]
	s_clause 0x1
	scratch_load_b128 v[61:64], off, off offset:480
	scratch_load_b128 v[65:68], off, off offset:496
	v_wmma_f32_16x16x16_f16 v[32:39], v[160:167], v[232:239], v[32:39]
	v_wmma_f32_16x16x16_f16 v[32:39], v[152:159], v[224:231], v[32:39]
	s_waitcnt vmcnt(0)
	s_delay_alu instid0(VALU_DEP_1)
	v_wmma_f32_16x16x16_f16 v[32:39], v[61:68], v[216:223], v[32:39]
	s_clause 0x3
	scratch_load_b128 v[61:64], off, off offset:32
	scratch_load_b128 v[65:68], off, off offset:48
	;; [unrolled: 1-line block ×4, first 2 shown]
	s_waitcnt vmcnt(0)
	v_wmma_f32_16x16x16_f16 v[32:39], v[69:76], v[61:68], v[32:39]
	s_clause 0x1
	scratch_load_b128 v[61:64], off, off offset:416
	scratch_load_b128 v[65:68], off, off offset:432
	s_waitcnt vmcnt(0)
	v_wmma_f32_16x16x16_f16 v[32:39], v[61:68], v[200:207], v[32:39]
	s_clause 0x1
	scratch_load_b128 v[61:64], off, off offset:384
	scratch_load_b128 v[65:68], off, off offset:400
	s_waitcnt vmcnt(0)
	v_wmma_f32_16x16x16_f16 v[32:39], v[61:68], v[192:199], v[32:39]
	s_clause 0x3
	scratch_load_b128 v[61:64], off, off
	scratch_load_b128 v[65:68], off, off offset:16
	scratch_load_b128 v[69:72], off, off offset:352
	;; [unrolled: 1-line block ×3, first 2 shown]
	s_waitcnt vmcnt(0)
	v_wmma_f32_16x16x16_f16 v[32:39], v[69:76], v[61:68], v[32:39]
                                        ; implicit-def: $vgpr68
	s_delay_alu instid0(VALU_DEP_1) | instskip(NEXT) | instid1(VALU_DEP_1)
	v_cmp_ngt_f32_e64 s0, 0x3f200000, |v32|
	s_and_saveexec_b32 s1, s0
	s_delay_alu instid0(SALU_CYCLE_1)
	s_xor_b32 s0, exec_lo, s1
	s_cbranch_execz .LBB25_1040
; %bb.1039:                             ;   in Loop: Header=BB25_942 Depth=1
	v_add_f32_e64 v48, |v32|, |v32|
	s_delay_alu instid0(VALU_DEP_1) | instskip(SKIP_1) | instid1(VALU_DEP_2)
	v_mul_f32_e32 v50, 0x3fb8aa3b, v48
	v_cmp_ngt_f32_e32 vcc_lo, 0xc2ce8ed0, v48
	v_rndne_f32_e32 v51, v50
	v_fma_f32 v58, 0x3fb8aa3b, v48, -v50
	s_delay_alu instid0(VALU_DEP_2) | instskip(NEXT) | instid1(VALU_DEP_2)
	v_sub_f32_e32 v50, v50, v51
	v_fmac_f32_e32 v58, 0x32a5705f, v48
	v_cvt_i32_f32_e32 v51, v51
	s_delay_alu instid0(VALU_DEP_2) | instskip(NEXT) | instid1(VALU_DEP_1)
	v_add_f32_e32 v50, v50, v58
	v_exp_f32_e32 v50, v50
	s_waitcnt_depctr 0xfff
	v_ldexp_f32 v50, v50, v51
	s_delay_alu instid0(VALU_DEP_1) | instskip(SKIP_1) | instid1(VALU_DEP_2)
	v_cndmask_b32_e32 v50, 0, v50, vcc_lo
	v_cmp_nlt_f32_e32 vcc_lo, 0x42b17218, v48
	v_cndmask_b32_e32 v48, 0x7f800000, v50, vcc_lo
	s_delay_alu instid0(VALU_DEP_1) | instskip(NEXT) | instid1(VALU_DEP_1)
	v_add_f32_e32 v48, 1.0, v48
	v_rcp_f32_e32 v48, v48
	s_waitcnt_depctr 0xfff
	v_fma_f32 v68, v48, -2.0, 1.0
.LBB25_1040:                            ;   in Loop: Header=BB25_942 Depth=1
	s_and_not1_saveexec_b32 s0, s0
; %bb.1041:                             ;   in Loop: Header=BB25_942 Depth=1
	v_mul_f32_e32 v48, v32, v32
	s_delay_alu instid0(VALU_DEP_1) | instskip(NEXT) | instid1(VALU_DEP_1)
	v_fmaak_f32 v50, s27, v48, 0x3ca908c9
	v_fmaak_f32 v50, v48, v50, 0xbd5c1c4e
	s_delay_alu instid0(VALU_DEP_1) | instskip(NEXT) | instid1(VALU_DEP_1)
	v_fmaak_f32 v50, v48, v50, 0x3e088382
	v_fmaak_f32 v50, v48, v50, 0xbeaaaa99
	s_delay_alu instid0(VALU_DEP_1) | instskip(NEXT) | instid1(VALU_DEP_1)
	v_mul_f32_e64 v50, |v32|, v50
	v_fma_f32 v68, v48, v50, |v32|
; %bb.1042:                             ;   in Loop: Header=BB25_942 Depth=1
	s_or_b32 exec_lo, exec_lo, s0
	v_cmp_ngt_f32_e64 s0, 0x3f200000, |v33|
                                        ; implicit-def: $vgpr69
	s_delay_alu instid0(VALU_DEP_1) | instskip(NEXT) | instid1(SALU_CYCLE_1)
	s_and_saveexec_b32 s1, s0
	s_xor_b32 s0, exec_lo, s1
	s_cbranch_execz .LBB25_1044
; %bb.1043:                             ;   in Loop: Header=BB25_942 Depth=1
	v_add_f32_e64 v48, |v33|, |v33|
	s_delay_alu instid0(VALU_DEP_1) | instskip(SKIP_1) | instid1(VALU_DEP_2)
	v_mul_f32_e32 v50, 0x3fb8aa3b, v48
	v_cmp_ngt_f32_e32 vcc_lo, 0xc2ce8ed0, v48
	v_rndne_f32_e32 v51, v50
	v_fma_f32 v58, 0x3fb8aa3b, v48, -v50
	s_delay_alu instid0(VALU_DEP_2) | instskip(NEXT) | instid1(VALU_DEP_2)
	v_sub_f32_e32 v50, v50, v51
	v_fmac_f32_e32 v58, 0x32a5705f, v48
	v_cvt_i32_f32_e32 v51, v51
	s_delay_alu instid0(VALU_DEP_2) | instskip(NEXT) | instid1(VALU_DEP_1)
	v_add_f32_e32 v50, v50, v58
	v_exp_f32_e32 v50, v50
	s_waitcnt_depctr 0xfff
	v_ldexp_f32 v50, v50, v51
	s_delay_alu instid0(VALU_DEP_1) | instskip(SKIP_1) | instid1(VALU_DEP_2)
	v_cndmask_b32_e32 v50, 0, v50, vcc_lo
	v_cmp_nlt_f32_e32 vcc_lo, 0x42b17218, v48
	v_cndmask_b32_e32 v48, 0x7f800000, v50, vcc_lo
	s_delay_alu instid0(VALU_DEP_1) | instskip(NEXT) | instid1(VALU_DEP_1)
	v_add_f32_e32 v48, 1.0, v48
	v_rcp_f32_e32 v48, v48
	s_waitcnt_depctr 0xfff
	v_fma_f32 v69, v48, -2.0, 1.0
.LBB25_1044:                            ;   in Loop: Header=BB25_942 Depth=1
	s_and_not1_saveexec_b32 s0, s0
; %bb.1045:                             ;   in Loop: Header=BB25_942 Depth=1
	v_mul_f32_e32 v48, v33, v33
	s_delay_alu instid0(VALU_DEP_1) | instskip(NEXT) | instid1(VALU_DEP_1)
	v_fmaak_f32 v50, s27, v48, 0x3ca908c9
	v_fmaak_f32 v50, v48, v50, 0xbd5c1c4e
	s_delay_alu instid0(VALU_DEP_1) | instskip(NEXT) | instid1(VALU_DEP_1)
	v_fmaak_f32 v50, v48, v50, 0x3e088382
	v_fmaak_f32 v50, v48, v50, 0xbeaaaa99
	s_delay_alu instid0(VALU_DEP_1) | instskip(NEXT) | instid1(VALU_DEP_1)
	v_mul_f32_e64 v50, |v33|, v50
	v_fma_f32 v69, v48, v50, |v33|
; %bb.1046:                             ;   in Loop: Header=BB25_942 Depth=1
	s_or_b32 exec_lo, exec_lo, s0
	v_cmp_ngt_f32_e64 s0, 0x3f200000, |v34|
                                        ; implicit-def: $vgpr70
	s_delay_alu instid0(VALU_DEP_1) | instskip(NEXT) | instid1(SALU_CYCLE_1)
	s_and_saveexec_b32 s1, s0
	s_xor_b32 s0, exec_lo, s1
	s_cbranch_execz .LBB25_1048
; %bb.1047:                             ;   in Loop: Header=BB25_942 Depth=1
	v_add_f32_e64 v48, |v34|, |v34|
	s_delay_alu instid0(VALU_DEP_1) | instskip(SKIP_1) | instid1(VALU_DEP_2)
	v_mul_f32_e32 v50, 0x3fb8aa3b, v48
	v_cmp_ngt_f32_e32 vcc_lo, 0xc2ce8ed0, v48
	v_rndne_f32_e32 v51, v50
	v_fma_f32 v58, 0x3fb8aa3b, v48, -v50
	s_delay_alu instid0(VALU_DEP_2) | instskip(NEXT) | instid1(VALU_DEP_2)
	v_sub_f32_e32 v50, v50, v51
	v_fmac_f32_e32 v58, 0x32a5705f, v48
	v_cvt_i32_f32_e32 v51, v51
	s_delay_alu instid0(VALU_DEP_2) | instskip(NEXT) | instid1(VALU_DEP_1)
	v_add_f32_e32 v50, v50, v58
	v_exp_f32_e32 v50, v50
	s_waitcnt_depctr 0xfff
	v_ldexp_f32 v50, v50, v51
	s_delay_alu instid0(VALU_DEP_1) | instskip(SKIP_1) | instid1(VALU_DEP_2)
	v_cndmask_b32_e32 v50, 0, v50, vcc_lo
	v_cmp_nlt_f32_e32 vcc_lo, 0x42b17218, v48
	v_cndmask_b32_e32 v48, 0x7f800000, v50, vcc_lo
	s_delay_alu instid0(VALU_DEP_1) | instskip(NEXT) | instid1(VALU_DEP_1)
	v_add_f32_e32 v48, 1.0, v48
	v_rcp_f32_e32 v48, v48
	s_waitcnt_depctr 0xfff
	v_fma_f32 v70, v48, -2.0, 1.0
.LBB25_1048:                            ;   in Loop: Header=BB25_942 Depth=1
	s_and_not1_saveexec_b32 s0, s0
; %bb.1049:                             ;   in Loop: Header=BB25_942 Depth=1
	v_mul_f32_e32 v48, v34, v34
	s_delay_alu instid0(VALU_DEP_1) | instskip(NEXT) | instid1(VALU_DEP_1)
	v_fmaak_f32 v50, s27, v48, 0x3ca908c9
	v_fmaak_f32 v50, v48, v50, 0xbd5c1c4e
	s_delay_alu instid0(VALU_DEP_1) | instskip(NEXT) | instid1(VALU_DEP_1)
	v_fmaak_f32 v50, v48, v50, 0x3e088382
	v_fmaak_f32 v50, v48, v50, 0xbeaaaa99
	s_delay_alu instid0(VALU_DEP_1) | instskip(NEXT) | instid1(VALU_DEP_1)
	v_mul_f32_e64 v50, |v34|, v50
	v_fma_f32 v70, v48, v50, |v34|
; %bb.1050:                             ;   in Loop: Header=BB25_942 Depth=1
	s_or_b32 exec_lo, exec_lo, s0
	v_cmp_ngt_f32_e64 s0, 0x3f200000, |v35|
                                        ; implicit-def: $vgpr71
	s_delay_alu instid0(VALU_DEP_1) | instskip(NEXT) | instid1(SALU_CYCLE_1)
	s_and_saveexec_b32 s1, s0
	s_xor_b32 s0, exec_lo, s1
	s_cbranch_execz .LBB25_1052
; %bb.1051:                             ;   in Loop: Header=BB25_942 Depth=1
	v_add_f32_e64 v48, |v35|, |v35|
	s_delay_alu instid0(VALU_DEP_1) | instskip(SKIP_1) | instid1(VALU_DEP_2)
	v_mul_f32_e32 v50, 0x3fb8aa3b, v48
	v_cmp_ngt_f32_e32 vcc_lo, 0xc2ce8ed0, v48
	v_rndne_f32_e32 v51, v50
	v_fma_f32 v58, 0x3fb8aa3b, v48, -v50
	s_delay_alu instid0(VALU_DEP_2) | instskip(NEXT) | instid1(VALU_DEP_2)
	v_sub_f32_e32 v50, v50, v51
	v_fmac_f32_e32 v58, 0x32a5705f, v48
	v_cvt_i32_f32_e32 v51, v51
	s_delay_alu instid0(VALU_DEP_2) | instskip(NEXT) | instid1(VALU_DEP_1)
	v_add_f32_e32 v50, v50, v58
	v_exp_f32_e32 v50, v50
	s_waitcnt_depctr 0xfff
	v_ldexp_f32 v50, v50, v51
	s_delay_alu instid0(VALU_DEP_1) | instskip(SKIP_1) | instid1(VALU_DEP_2)
	v_cndmask_b32_e32 v50, 0, v50, vcc_lo
	v_cmp_nlt_f32_e32 vcc_lo, 0x42b17218, v48
	v_cndmask_b32_e32 v48, 0x7f800000, v50, vcc_lo
	s_delay_alu instid0(VALU_DEP_1) | instskip(NEXT) | instid1(VALU_DEP_1)
	v_add_f32_e32 v48, 1.0, v48
	v_rcp_f32_e32 v48, v48
	s_waitcnt_depctr 0xfff
	v_fma_f32 v71, v48, -2.0, 1.0
.LBB25_1052:                            ;   in Loop: Header=BB25_942 Depth=1
	s_and_not1_saveexec_b32 s0, s0
; %bb.1053:                             ;   in Loop: Header=BB25_942 Depth=1
	v_mul_f32_e32 v48, v35, v35
	s_delay_alu instid0(VALU_DEP_1) | instskip(NEXT) | instid1(VALU_DEP_1)
	v_fmaak_f32 v50, s27, v48, 0x3ca908c9
	v_fmaak_f32 v50, v48, v50, 0xbd5c1c4e
	s_delay_alu instid0(VALU_DEP_1) | instskip(NEXT) | instid1(VALU_DEP_1)
	v_fmaak_f32 v50, v48, v50, 0x3e088382
	v_fmaak_f32 v50, v48, v50, 0xbeaaaa99
	s_delay_alu instid0(VALU_DEP_1) | instskip(NEXT) | instid1(VALU_DEP_1)
	v_mul_f32_e64 v50, |v35|, v50
	v_fma_f32 v71, v48, v50, |v35|
; %bb.1054:                             ;   in Loop: Header=BB25_942 Depth=1
	s_or_b32 exec_lo, exec_lo, s0
	v_cmp_ngt_f32_e64 s0, 0x3f200000, |v36|
                                        ; implicit-def: $vgpr72
	s_delay_alu instid0(VALU_DEP_1) | instskip(NEXT) | instid1(SALU_CYCLE_1)
	s_and_saveexec_b32 s1, s0
	s_xor_b32 s0, exec_lo, s1
	s_cbranch_execz .LBB25_1056
; %bb.1055:                             ;   in Loop: Header=BB25_942 Depth=1
	v_add_f32_e64 v48, |v36|, |v36|
	s_delay_alu instid0(VALU_DEP_1) | instskip(SKIP_1) | instid1(VALU_DEP_2)
	v_mul_f32_e32 v50, 0x3fb8aa3b, v48
	v_cmp_ngt_f32_e32 vcc_lo, 0xc2ce8ed0, v48
	v_rndne_f32_e32 v51, v50
	v_fma_f32 v58, 0x3fb8aa3b, v48, -v50
	s_delay_alu instid0(VALU_DEP_2) | instskip(NEXT) | instid1(VALU_DEP_2)
	v_sub_f32_e32 v50, v50, v51
	v_fmac_f32_e32 v58, 0x32a5705f, v48
	v_cvt_i32_f32_e32 v51, v51
	s_delay_alu instid0(VALU_DEP_2) | instskip(NEXT) | instid1(VALU_DEP_1)
	v_add_f32_e32 v50, v50, v58
	v_exp_f32_e32 v50, v50
	s_waitcnt_depctr 0xfff
	v_ldexp_f32 v50, v50, v51
	s_delay_alu instid0(VALU_DEP_1) | instskip(SKIP_1) | instid1(VALU_DEP_2)
	v_cndmask_b32_e32 v50, 0, v50, vcc_lo
	v_cmp_nlt_f32_e32 vcc_lo, 0x42b17218, v48
	v_cndmask_b32_e32 v48, 0x7f800000, v50, vcc_lo
	s_delay_alu instid0(VALU_DEP_1) | instskip(NEXT) | instid1(VALU_DEP_1)
	v_add_f32_e32 v48, 1.0, v48
	v_rcp_f32_e32 v48, v48
	s_waitcnt_depctr 0xfff
	v_fma_f32 v72, v48, -2.0, 1.0
.LBB25_1056:                            ;   in Loop: Header=BB25_942 Depth=1
	s_and_not1_saveexec_b32 s0, s0
; %bb.1057:                             ;   in Loop: Header=BB25_942 Depth=1
	v_mul_f32_e32 v48, v36, v36
	s_delay_alu instid0(VALU_DEP_1) | instskip(NEXT) | instid1(VALU_DEP_1)
	v_fmaak_f32 v50, s27, v48, 0x3ca908c9
	v_fmaak_f32 v50, v48, v50, 0xbd5c1c4e
	s_delay_alu instid0(VALU_DEP_1) | instskip(NEXT) | instid1(VALU_DEP_1)
	v_fmaak_f32 v50, v48, v50, 0x3e088382
	v_fmaak_f32 v50, v48, v50, 0xbeaaaa99
	s_delay_alu instid0(VALU_DEP_1) | instskip(NEXT) | instid1(VALU_DEP_1)
	v_mul_f32_e64 v50, |v36|, v50
	v_fma_f32 v72, v48, v50, |v36|
; %bb.1058:                             ;   in Loop: Header=BB25_942 Depth=1
	s_or_b32 exec_lo, exec_lo, s0
	v_cmp_ngt_f32_e64 s0, 0x3f200000, |v37|
                                        ; implicit-def: $vgpr73
	s_delay_alu instid0(VALU_DEP_1) | instskip(NEXT) | instid1(SALU_CYCLE_1)
	s_and_saveexec_b32 s1, s0
	s_xor_b32 s0, exec_lo, s1
	s_cbranch_execz .LBB25_1060
; %bb.1059:                             ;   in Loop: Header=BB25_942 Depth=1
	v_add_f32_e64 v48, |v37|, |v37|
	s_delay_alu instid0(VALU_DEP_1) | instskip(SKIP_1) | instid1(VALU_DEP_2)
	v_mul_f32_e32 v50, 0x3fb8aa3b, v48
	v_cmp_ngt_f32_e32 vcc_lo, 0xc2ce8ed0, v48
	v_rndne_f32_e32 v51, v50
	v_fma_f32 v58, 0x3fb8aa3b, v48, -v50
	s_delay_alu instid0(VALU_DEP_2) | instskip(NEXT) | instid1(VALU_DEP_2)
	v_sub_f32_e32 v50, v50, v51
	v_fmac_f32_e32 v58, 0x32a5705f, v48
	v_cvt_i32_f32_e32 v51, v51
	s_delay_alu instid0(VALU_DEP_2) | instskip(NEXT) | instid1(VALU_DEP_1)
	v_add_f32_e32 v50, v50, v58
	v_exp_f32_e32 v50, v50
	s_waitcnt_depctr 0xfff
	v_ldexp_f32 v50, v50, v51
	s_delay_alu instid0(VALU_DEP_1) | instskip(SKIP_1) | instid1(VALU_DEP_2)
	v_cndmask_b32_e32 v50, 0, v50, vcc_lo
	v_cmp_nlt_f32_e32 vcc_lo, 0x42b17218, v48
	v_cndmask_b32_e32 v48, 0x7f800000, v50, vcc_lo
	s_delay_alu instid0(VALU_DEP_1) | instskip(NEXT) | instid1(VALU_DEP_1)
	v_add_f32_e32 v48, 1.0, v48
	v_rcp_f32_e32 v48, v48
	s_waitcnt_depctr 0xfff
	v_fma_f32 v73, v48, -2.0, 1.0
.LBB25_1060:                            ;   in Loop: Header=BB25_942 Depth=1
	s_and_not1_saveexec_b32 s0, s0
; %bb.1061:                             ;   in Loop: Header=BB25_942 Depth=1
	v_mul_f32_e32 v48, v37, v37
	s_delay_alu instid0(VALU_DEP_1) | instskip(NEXT) | instid1(VALU_DEP_1)
	v_fmaak_f32 v50, s27, v48, 0x3ca908c9
	v_fmaak_f32 v50, v48, v50, 0xbd5c1c4e
	s_delay_alu instid0(VALU_DEP_1) | instskip(NEXT) | instid1(VALU_DEP_1)
	v_fmaak_f32 v50, v48, v50, 0x3e088382
	v_fmaak_f32 v50, v48, v50, 0xbeaaaa99
	s_delay_alu instid0(VALU_DEP_1) | instskip(NEXT) | instid1(VALU_DEP_1)
	v_mul_f32_e64 v50, |v37|, v50
	v_fma_f32 v73, v48, v50, |v37|
; %bb.1062:                             ;   in Loop: Header=BB25_942 Depth=1
	s_or_b32 exec_lo, exec_lo, s0
	v_cmp_ngt_f32_e64 s0, 0x3f200000, |v38|
                                        ; implicit-def: $vgpr74
	s_delay_alu instid0(VALU_DEP_1) | instskip(NEXT) | instid1(SALU_CYCLE_1)
	s_and_saveexec_b32 s1, s0
	s_xor_b32 s0, exec_lo, s1
	s_cbranch_execz .LBB25_1064
; %bb.1063:                             ;   in Loop: Header=BB25_942 Depth=1
	v_add_f32_e64 v48, |v38|, |v38|
	s_delay_alu instid0(VALU_DEP_1) | instskip(SKIP_1) | instid1(VALU_DEP_2)
	v_mul_f32_e32 v50, 0x3fb8aa3b, v48
	v_cmp_ngt_f32_e32 vcc_lo, 0xc2ce8ed0, v48
	v_rndne_f32_e32 v51, v50
	v_fma_f32 v58, 0x3fb8aa3b, v48, -v50
	s_delay_alu instid0(VALU_DEP_2) | instskip(NEXT) | instid1(VALU_DEP_2)
	v_sub_f32_e32 v50, v50, v51
	v_fmac_f32_e32 v58, 0x32a5705f, v48
	v_cvt_i32_f32_e32 v51, v51
	s_delay_alu instid0(VALU_DEP_2) | instskip(NEXT) | instid1(VALU_DEP_1)
	v_add_f32_e32 v50, v50, v58
	v_exp_f32_e32 v50, v50
	s_waitcnt_depctr 0xfff
	v_ldexp_f32 v50, v50, v51
	s_delay_alu instid0(VALU_DEP_1) | instskip(SKIP_1) | instid1(VALU_DEP_2)
	v_cndmask_b32_e32 v50, 0, v50, vcc_lo
	v_cmp_nlt_f32_e32 vcc_lo, 0x42b17218, v48
	v_cndmask_b32_e32 v48, 0x7f800000, v50, vcc_lo
	s_delay_alu instid0(VALU_DEP_1) | instskip(NEXT) | instid1(VALU_DEP_1)
	v_add_f32_e32 v48, 1.0, v48
	v_rcp_f32_e32 v48, v48
	s_waitcnt_depctr 0xfff
	v_fma_f32 v74, v48, -2.0, 1.0
.LBB25_1064:                            ;   in Loop: Header=BB25_942 Depth=1
	s_and_not1_saveexec_b32 s0, s0
; %bb.1065:                             ;   in Loop: Header=BB25_942 Depth=1
	v_mul_f32_e32 v48, v38, v38
	s_delay_alu instid0(VALU_DEP_1) | instskip(NEXT) | instid1(VALU_DEP_1)
	v_fmaak_f32 v50, s27, v48, 0x3ca908c9
	v_fmaak_f32 v50, v48, v50, 0xbd5c1c4e
	s_delay_alu instid0(VALU_DEP_1) | instskip(NEXT) | instid1(VALU_DEP_1)
	v_fmaak_f32 v50, v48, v50, 0x3e088382
	v_fmaak_f32 v50, v48, v50, 0xbeaaaa99
	s_delay_alu instid0(VALU_DEP_1) | instskip(NEXT) | instid1(VALU_DEP_1)
	v_mul_f32_e64 v50, |v38|, v50
	v_fma_f32 v74, v48, v50, |v38|
; %bb.1066:                             ;   in Loop: Header=BB25_942 Depth=1
	s_or_b32 exec_lo, exec_lo, s0
	v_cmp_ngt_f32_e64 s0, 0x3f200000, |v39|
                                        ; implicit-def: $vgpr75
	s_delay_alu instid0(VALU_DEP_1) | instskip(NEXT) | instid1(SALU_CYCLE_1)
	s_and_saveexec_b32 s1, s0
	s_xor_b32 s0, exec_lo, s1
	s_cbranch_execz .LBB25_1068
; %bb.1067:                             ;   in Loop: Header=BB25_942 Depth=1
	v_add_f32_e64 v48, |v39|, |v39|
	s_delay_alu instid0(VALU_DEP_1) | instskip(SKIP_1) | instid1(VALU_DEP_2)
	v_mul_f32_e32 v50, 0x3fb8aa3b, v48
	v_cmp_ngt_f32_e32 vcc_lo, 0xc2ce8ed0, v48
	v_rndne_f32_e32 v51, v50
	v_fma_f32 v58, 0x3fb8aa3b, v48, -v50
	s_delay_alu instid0(VALU_DEP_2) | instskip(NEXT) | instid1(VALU_DEP_2)
	v_sub_f32_e32 v50, v50, v51
	v_fmac_f32_e32 v58, 0x32a5705f, v48
	v_cvt_i32_f32_e32 v51, v51
	s_delay_alu instid0(VALU_DEP_2) | instskip(NEXT) | instid1(VALU_DEP_1)
	v_add_f32_e32 v50, v50, v58
	v_exp_f32_e32 v50, v50
	s_waitcnt_depctr 0xfff
	v_ldexp_f32 v50, v50, v51
	s_delay_alu instid0(VALU_DEP_1) | instskip(SKIP_1) | instid1(VALU_DEP_2)
	v_cndmask_b32_e32 v50, 0, v50, vcc_lo
	v_cmp_nlt_f32_e32 vcc_lo, 0x42b17218, v48
	v_cndmask_b32_e32 v48, 0x7f800000, v50, vcc_lo
	s_delay_alu instid0(VALU_DEP_1) | instskip(NEXT) | instid1(VALU_DEP_1)
	v_add_f32_e32 v48, 1.0, v48
	v_rcp_f32_e32 v48, v48
	s_waitcnt_depctr 0xfff
	v_fma_f32 v75, v48, -2.0, 1.0
.LBB25_1068:                            ;   in Loop: Header=BB25_942 Depth=1
	s_and_not1_saveexec_b32 s0, s0
; %bb.1069:                             ;   in Loop: Header=BB25_942 Depth=1
	v_mul_f32_e32 v48, v39, v39
	s_delay_alu instid0(VALU_DEP_1) | instskip(NEXT) | instid1(VALU_DEP_1)
	v_fmaak_f32 v50, s27, v48, 0x3ca908c9
	v_fmaak_f32 v50, v48, v50, 0xbd5c1c4e
	s_delay_alu instid0(VALU_DEP_1) | instskip(NEXT) | instid1(VALU_DEP_1)
	v_fmaak_f32 v50, v48, v50, 0x3e088382
	v_fmaak_f32 v50, v48, v50, 0xbeaaaa99
	s_delay_alu instid0(VALU_DEP_1) | instskip(NEXT) | instid1(VALU_DEP_1)
	v_mul_f32_e64 v50, |v39|, v50
	v_fma_f32 v75, v48, v50, |v39|
; %bb.1070:                             ;   in Loop: Header=BB25_942 Depth=1
	s_or_b32 exec_lo, exec_lo, s0
	v_bfi_b32 v58, 0x7fffffff, v42, v104
	scratch_load_b32 v42, off, off offset:320 ; 4-byte Folded Reload
	v_bfi_b32 v51, 0x7fffffff, v44, v209
	v_bfi_b32 v44, 0x7fffffff, v54, v212
	;; [unrolled: 1-line block ×7, first 2 shown]
	s_mul_hi_i32 s1, s8, s10
	s_mul_i32 s0, s8, s10
	v_bfi_b32 v65, 0x7fffffff, v249, v97
	s_lshl_b64 s[0:1], s[0:1], 2
	v_bfi_b32 v50, 0x7fffffff, v41, v208
	s_add_u32 s0, s11, s0
	s_addc_u32 s1, s13, s1
	v_bfi_b32 v48, 0x7fffffff, v45, v210
	v_bfi_b32 v45, 0x7fffffff, v56, v213
	;; [unrolled: 1-line block ×15, first 2 shown]
	v_add_nc_u32_e32 v111, 0x800, v252
	s_add_i32 s14, s14, 1
	s_add_i32 s8, s8, 64
	scratch_load_b32 v147, off, off offset:740 ; 4-byte Folded Reload
	v_add_nc_u32_e32 v108, 0x400, v252
	v_add_nc_u32_e32 v116, 0xc00, v252
	;; [unrolled: 1-line block ×3, first 2 shown]
	s_waitcnt vmcnt(1)
	v_bfi_b32 v60, 0x7fffffff, v42, v103
	scratch_load_b32 v42, off, off offset:192 ; 4-byte Folded Reload
	s_waitcnt vmcnt(0)
	v_bfi_b32 v64, 0x7fffffff, v42, v96
	scratch_load_b32 v42, off, off offset:224 ; 4-byte Folded Reload
	;; [unrolled: 3-line block ×4, first 2 shown]
	s_waitcnt vmcnt(0)
	v_bfi_b32 v61, 0x7fffffff, v42, v102
	v_bfi_b32 v42, 0x7fffffff, v70, v34
	;; [unrolled: 1-line block ×3, first 2 shown]
	scratch_load_b64 v[36:37], off, off offset:744 ; 8-byte Folded Reload
	s_waitcnt vmcnt(0)
	v_add_co_u32 v36, vcc_lo, s0, v36
	v_add_co_ci_u32_e32 v37, vcc_lo, s1, v37, vcc_lo
	s_delay_alu instid0(VALU_DEP_2) | instskip(NEXT) | instid1(VALU_DEP_2)
	v_add_co_u32 v96, vcc_lo, v36, v147
	v_add_co_ci_u32_e32 v97, vcc_lo, 0, v37, vcc_lo
	ds_load_u16 v92, v250 offset:17408
	ds_load_u16 v93, v250 offset:17412
	;; [unrolled: 1-line block ×32, first 2 shown]
	global_load_b128 v[96:99], v[96:97], off
	scratch_load_b32 v139, off, off offset:624 ; 4-byte Folded Reload
	s_waitcnt lgkmcnt(28)
	v_fma_mix_f32 v67, v67, s33, v95 op_sel_hi:[0,0,1]
	v_fma_mix_f32 v64, v64, s33, v92 op_sel_hi:[0,0,1]
	;; [unrolled: 1-line block ×4, first 2 shown]
	s_waitcnt lgkmcnt(27)
	v_fma_mix_f32 v62, v62, s33, v90 op_sel_hi:[0,0,1]
	v_add_f32_e32 v94, 0x40051340, v67
	v_dual_add_f32 v92, 0x40051340, v64 :: v_dual_add_f32 v93, 0x40051340, v65
	s_waitcnt lgkmcnt(26)
	v_fma_mix_f32 v63, v63, s33, v91 op_sel_hi:[0,0,1]
	v_add_f32_e32 v90, 0x40051340, v62
	s_waitcnt lgkmcnt(25)
	v_fma_mix_f32 v61, v61, s33, v88 op_sel_hi:[0,0,1]
	s_waitcnt lgkmcnt(22)
	v_fma_mix_f32 v59, v59, s33, v87 op_sel_hi:[0,0,1]
	;; [unrolled: 2-line block ×3, first 2 shown]
	v_add_f32_e32 v91, 0x40051340, v63
	s_waitcnt vmcnt(0)
	ds_store_b128 v139, v[96:99]
	scratch_load_b64 v[96:97], off, off offset:752 ; 8-byte Folded Reload
	s_waitcnt vmcnt(0)
	v_add_co_u32 v96, vcc_lo, s0, v96
	v_add_co_ci_u32_e32 v97, vcc_lo, s1, v97, vcc_lo
	s_delay_alu instid0(VALU_DEP_2) | instskip(NEXT) | instid1(VALU_DEP_2)
	v_add_co_u32 v96, vcc_lo, v96, v147
	v_add_co_ci_u32_e32 v97, vcc_lo, 0, v97, vcc_lo
	global_load_b128 v[96:99], v[96:97], off
	scratch_load_b32 v140, off, off offset:628 ; 4-byte Folded Reload
	s_waitcnt vmcnt(0)
	ds_store_b128 v140, v[96:99]
	scratch_load_b64 v[96:97], off, off offset:760 ; 8-byte Folded Reload
	s_waitcnt vmcnt(0)
	v_add_co_u32 v96, vcc_lo, s0, v96
	v_add_co_ci_u32_e32 v97, vcc_lo, s1, v97, vcc_lo
	s_delay_alu instid0(VALU_DEP_2) | instskip(NEXT) | instid1(VALU_DEP_2)
	v_add_co_u32 v96, vcc_lo, v96, v147
	v_add_co_ci_u32_e32 v97, vcc_lo, 0, v97, vcc_lo
	global_load_b128 v[96:99], v[96:97], off
	scratch_load_b32 v141, off, off offset:632 ; 4-byte Folded Reload
	;; [unrolled: 11-line block ×6, first 2 shown]
	s_waitcnt vmcnt(0)
	ds_store_b128 v145, v[96:99]
	scratch_load_b64 v[96:97], off, off offset:800 ; 8-byte Folded Reload
	s_waitcnt vmcnt(0)
	v_add_co_u32 v96, vcc_lo, s0, v96
	v_add_co_ci_u32_e32 v97, vcc_lo, s1, v97, vcc_lo
	s_delay_alu instid0(VALU_DEP_2) | instskip(NEXT) | instid1(VALU_DEP_2)
	v_add_co_u32 v96, vcc_lo, v96, v147
	v_add_co_ci_u32_e32 v97, vcc_lo, 0, v97, vcc_lo
	global_load_b128 v[96:99], v[96:97], off
	s_clause 0x1
	scratch_load_b32 v146, off, off offset:652
	scratch_load_b32 v95, off, off offset:160
	s_waitcnt vmcnt(1)
	ds_store_b128 v146, v[96:99]
	s_waitcnt vmcnt(0)
	v_max3_f32 v92, v95, v92, v93
	v_add_f32_e32 v93, 0x40051340, v66
	s_delay_alu instid0(VALU_DEP_1)
	v_max3_f32 v92, v92, v93, v94
	v_fma_mix_f32 v94, v60, s33, v89 op_sel_hi:[0,0,1]
	v_add_f32_e32 v60, 0x40051340, v61
	s_waitcnt lgkmcnt(23)
	v_fma_mix_f32 v93, v50, s33, v82 op_sel_hi:[0,0,1]
	s_waitcnt lgkmcnt(19)
	v_fma_mix_f32 v89, v44, s33, v78 op_sel_hi:[0,0,1]
	v_max3_f32 v90, v92, v90, v91
	v_add_f32_e32 v88, 0x40051340, v94
	v_fma_mix_f32 v92, v51, s33, v83 op_sel_hi:[0,0,1]
	v_fma_mix_f32 v91, v48, s33, v80 op_sel_hi:[0,0,1]
	s_waitcnt lgkmcnt(15)
	v_fma_mix_f32 v78, v46, s33, v74 op_sel_hi:[0,0,1]
	v_fma_mix_f32 v80, v41, s33, v76 op_sel_hi:[0,0,1]
	v_max3_f32 v88, v90, v60, v88
	v_fma_mix_f32 v60, v58, s33, v86 op_sel_hi:[0,0,1]
	v_dual_add_f32 v86, 0x40051340, v59 :: v_dual_add_f32 v51, 0x40051340, v92
	v_fma_mix_f32 v90, v49, s33, v81 op_sel_hi:[0,0,1]
	v_add_f32_e32 v48, 0x40051340, v91
	s_delay_alu instid0(VALU_DEP_4)
	v_add_f32_e32 v58, 0x40051340, v60
	s_waitcnt lgkmcnt(13)
	v_fma_mix_f32 v76, v42, s33, v72 op_sel_hi:[0,0,1]
	s_waitcnt lgkmcnt(10)
	v_fma_mix_f32 v72, v35, s33, v71 op_sel_hi:[0,0,1]
	v_add_f32_e32 v49, 0x40051340, v90
	s_waitcnt lgkmcnt(9)
	v_fma_mix_f32 v71, v33, s33, v69 op_sel_hi:[0,0,1]
	v_max3_f32 v86, v88, v58, v86
	v_fma_mix_f32 v58, v56, s33, v39 op_sel_hi:[0,0,1]
	v_fma_mix_f32 v56, v57, s33, v85 op_sel_hi:[0,0,1]
	;; [unrolled: 1-line block ×3, first 2 shown]
	v_add_f32_e32 v50, 0x40051340, v93
	v_fma_mix_f32 v79, v40, s33, v77 op_sel_hi:[0,0,1]
	v_add_f32_e32 v39, 0x40051340, v58
	v_add_f32_e32 v57, 0x40051340, v56
	v_dual_add_f32 v45, 0x40051340, v88 :: v_dual_add_f32 v44, 0x40051340, v89
	s_delay_alu instid0(VALU_DEP_4) | instskip(SKIP_1) | instid1(VALU_DEP_4)
	v_add_f32_e32 v41, 0x40051340, v79
	v_fma_mix_f32 v77, v47, s33, v75 op_sel_hi:[0,0,1]
	v_max3_f32 v57, v86, v39, v57
	v_fma_mix_f32 v39, v54, s33, v37 op_sel_hi:[0,0,1]
	v_add_f32_e32 v54, 0x40051340, v38
	v_fma_mix_f32 v75, v43, s33, v73 op_sel_hi:[0,0,1]
	s_waitcnt lgkmcnt(8)
	v_fma_mix_f32 v73, v32, s33, v68 op_sel_hi:[0,0,1]
	v_dual_add_f32 v40, 0x40051340, v80 :: v_dual_add_f32 v37, 0x40051340, v39
	v_fma_mix_f32 v74, v34, s33, v70 op_sel_hi:[0,0,1]
	v_dual_add_f32 v42, 0x40051340, v75 :: v_dual_add_f32 v35, 0x40051340, v72
	s_delay_alu instid0(VALU_DEP_4) | instskip(NEXT) | instid1(VALU_DEP_4)
	v_add_f32_e32 v33, 0x40051340, v73
	v_max3_f32 v54, v57, v37, v54
	v_fma_mix_f32 v37, v53, s33, v36 op_sel_hi:[0,0,1]
	v_fma_mix_f32 v36, v52, s33, v84 op_sel_hi:[0,0,1]
	v_add_f32_e32 v34, 0x40051340, v74
	v_add_f32_e32 v32, 0x40051340, v71
	s_delay_alu instid0(VALU_DEP_3) | instskip(NEXT) | instid1(VALU_DEP_1)
	v_dual_add_f32 v52, 0x40051340, v37 :: v_dual_add_f32 v53, 0x40051340, v36
	v_max3_f32 v52, v54, v52, v53
	s_delay_alu instid0(VALU_DEP_1) | instskip(NEXT) | instid1(VALU_DEP_1)
	v_max3_f32 v50, v52, v50, v51
	v_max3_f32 v48, v50, v48, v49
	s_delay_alu instid0(VALU_DEP_1) | instskip(NEXT) | instid1(VALU_DEP_1)
	v_max3_f32 v44, v48, v44, v45
	v_max3_f32 v40, v44, v40, v41
	v_dual_add_f32 v41, 0x40051340, v78 :: v_dual_add_f32 v44, 0x40051340, v77
	s_delay_alu instid0(VALU_DEP_1) | instskip(SKIP_1) | instid1(VALU_DEP_1)
	v_max3_f32 v40, v40, v41, v44
	v_add_f32_e32 v41, 0x40051340, v76
	v_max3_f32 v40, v40, v41, v42
	s_delay_alu instid0(VALU_DEP_1) | instskip(NEXT) | instid1(VALU_DEP_1)
	v_max3_f32 v34, v40, v34, v35
	v_max3_f32 v32, v34, v32, v33
	ds_bpermute_b32 v33, v251, v32
	s_waitcnt lgkmcnt(0)
	v_max_f32_e32 v33, v33, v33
	s_delay_alu instid0(VALU_DEP_1) | instskip(NEXT) | instid1(VALU_DEP_1)
	v_max_f32_e32 v128, v32, v33
	v_sub_f32_e32 v32, v64, v128
	s_delay_alu instid0(VALU_DEP_1) | instskip(SKIP_2) | instid1(VALU_DEP_3)
	v_mul_f32_e32 v33, 0x3fb8aa3b, v32
	v_cmp_ngt_f32_e32 vcc_lo, 0xc2ce8ed0, v32
	v_cmp_nlt_f32_e64 s0, 0x42b17218, v32
	v_fma_f32 v34, 0x3fb8aa3b, v32, -v33
	s_delay_alu instid0(VALU_DEP_1) | instskip(SKIP_1) | instid1(VALU_DEP_1)
	v_fmac_f32_e32 v34, 0x32a5705f, v32
	v_sub_f32_e32 v32, v65, v128
	v_mul_f32_e32 v35, 0x3fb8aa3b, v32
	v_cmp_ngt_f32_e64 s1, 0xc2ce8ed0, v32
	v_cmp_nlt_f32_e64 s3, 0x42b17218, v32
	s_delay_alu instid0(VALU_DEP_3) | instskip(NEXT) | instid1(VALU_DEP_1)
	v_fma_f32 v40, 0x3fb8aa3b, v32, -v35
	v_fmac_f32_e32 v40, 0x32a5705f, v32
	v_rndne_f32_e32 v32, v33
	s_delay_alu instid0(VALU_DEP_1) | instskip(SKIP_1) | instid1(VALU_DEP_2)
	v_sub_f32_e32 v33, v33, v32
	v_cvt_i32_f32_e32 v32, v32
	v_add_f32_e32 v33, v33, v34
	v_rndne_f32_e32 v34, v35
	s_delay_alu instid0(VALU_DEP_2) | instskip(NEXT) | instid1(VALU_DEP_1)
	v_exp_f32_e32 v33, v33
	v_sub_f32_e32 v35, v35, v34
	v_cvt_i32_f32_e32 v34, v34
	s_delay_alu instid0(VALU_DEP_2) | instskip(SKIP_3) | instid1(VALU_DEP_1)
	v_add_f32_e32 v35, v35, v40
	s_waitcnt_depctr 0xfff
	v_ldexp_f32 v32, v33, v32
	v_exp_f32_e32 v33, v35
	v_cndmask_b32_e32 v32, 0, v32, vcc_lo
	s_delay_alu instid0(VALU_DEP_1)
	v_cndmask_b32_e64 v81, 0x7f800000, v32, s0
	s_waitcnt_depctr 0xfff
	v_ldexp_f32 v33, v33, v34
	s_clause 0x1
	scratch_load_b32 v34, off, off offset:656
	scratch_load_b32 v32, off, off offset:512
	s_waitcnt vmcnt(0)
	s_waitcnt_vscnt null, 0x0
	s_barrier
	v_cndmask_b32_e64 v33, 0, v33, s1
	buffer_gl0_inv
	v_cndmask_b32_e64 v82, 0x7f800000, v33, s3
	v_cmp_eq_u32_e32 vcc_lo, 1, v34
	v_cmp_eq_u32_e64 s1, 0, v32
	v_cmp_eq_u32_e64 s2, 1, v32
	ds_bpermute_b32 v32, v251, v81
	v_cmp_eq_u32_e64 s0, 0, v34
	ds_bpermute_b32 v34, v251, v82
	s_waitcnt lgkmcnt(1)
	v_cndmask_b32_e32 v33, v81, v32, vcc_lo
	v_cndmask_b32_e64 v32, v81, v32, s0
	s_delay_alu instid0(VALU_DEP_2) | instskip(NEXT) | instid1(VALU_DEP_2)
	v_cndmask_b32_e64 v40, v33, v82, s2
	v_cndmask_b32_e64 v35, v32, v82, s1
	v_cvt_f16_f32_e32 v32, v32
	v_cvt_f16_f32_e32 v33, v33
	s_waitcnt lgkmcnt(0)
	s_delay_alu instid0(VALU_DEP_3) | instskip(SKIP_1) | instid1(VALU_DEP_3)
	v_cndmask_b32_e64 v35, v35, v34, s0
	v_cndmask_b32_e32 v34, v40, v34, vcc_lo
	v_pack_b32_f16 v96, v32, v33
	v_sub_f32_e32 v32, v66, v128
	s_delay_alu instid0(VALU_DEP_4) | instskip(NEXT) | instid1(VALU_DEP_4)
	v_cvt_f16_f32_e32 v40, v35
	v_cvt_f16_f32_e32 v41, v34
	s_delay_alu instid0(VALU_DEP_3) | instskip(SKIP_2) | instid1(VALU_DEP_4)
	v_mul_f32_e32 v33, 0x3fb8aa3b, v32
	v_cmp_ngt_f32_e64 s3, 0xc2ce8ed0, v32
	v_cmp_nlt_f32_e64 s4, 0x42b17218, v32
	v_pack_b32_f16 v97, v40, v41
	s_delay_alu instid0(VALU_DEP_4) | instskip(SKIP_1) | instid1(VALU_DEP_1)
	v_fma_f32 v40, 0x3fb8aa3b, v32, -v33
	v_rndne_f32_e32 v41, v33
	v_dual_fmac_f32 v40, 0x32a5705f, v32 :: v_dual_sub_f32 v33, v33, v41
	s_delay_alu instid0(VALU_DEP_1) | instskip(SKIP_1) | instid1(VALU_DEP_2)
	v_add_f32_e32 v33, v33, v40
	v_cvt_i32_f32_e32 v40, v41
	v_exp_f32_e32 v33, v33
	s_waitcnt_depctr 0xfff
	v_ldexp_f32 v33, v33, v40
	s_delay_alu instid0(VALU_DEP_1) | instskip(NEXT) | instid1(VALU_DEP_1)
	v_cndmask_b32_e64 v32, 0, v33, s3
	v_cndmask_b32_e64 v83, 0x7f800000, v32, s4
	s_delay_alu instid0(VALU_DEP_1) | instskip(SKIP_3) | instid1(VALU_DEP_1)
	v_cndmask_b32_e64 v33, v34, v83, s2
	ds_bpermute_b32 v34, v251, v83
	v_cndmask_b32_e64 v32, v35, v83, s1
	s_waitcnt lgkmcnt(0)
	v_cndmask_b32_e64 v32, v32, v34, s0
	v_cndmask_b32_e32 v33, v33, v34, vcc_lo
	s_delay_alu instid0(VALU_DEP_2) | instskip(NEXT) | instid1(VALU_DEP_2)
	v_cvt_f16_f32_e32 v34, v32
	v_cvt_f16_f32_e32 v35, v33
	s_delay_alu instid0(VALU_DEP_1) | instskip(SKIP_1) | instid1(VALU_DEP_1)
	v_pack_b32_f16 v98, v34, v35
	v_sub_f32_e32 v34, v67, v128
	v_mul_f32_e32 v35, 0x3fb8aa3b, v34
	v_cmp_ngt_f32_e64 s3, 0xc2ce8ed0, v34
	v_cmp_nlt_f32_e64 s4, 0x42b17218, v34
	s_delay_alu instid0(VALU_DEP_3) | instskip(SKIP_1) | instid1(VALU_DEP_1)
	v_fma_f32 v40, 0x3fb8aa3b, v34, -v35
	v_rndne_f32_e32 v41, v35
	v_dual_fmac_f32 v40, 0x32a5705f, v34 :: v_dual_sub_f32 v35, v35, v41
	s_delay_alu instid0(VALU_DEP_1) | instskip(SKIP_1) | instid1(VALU_DEP_2)
	v_add_f32_e32 v35, v35, v40
	v_cvt_i32_f32_e32 v40, v41
	v_exp_f32_e32 v35, v35
	s_waitcnt_depctr 0xfff
	v_ldexp_f32 v35, v35, v40
	s_delay_alu instid0(VALU_DEP_1) | instskip(NEXT) | instid1(VALU_DEP_1)
	v_cndmask_b32_e64 v34, 0, v35, s3
	v_cndmask_b32_e64 v84, 0x7f800000, v34, s4
	ds_bpermute_b32 v34, v251, v84
	v_cndmask_b32_e64 v32, v32, v84, s1
	v_cndmask_b32_e64 v33, v33, v84, s2
	s_waitcnt lgkmcnt(0)
	s_delay_alu instid0(VALU_DEP_2) | instskip(NEXT) | instid1(VALU_DEP_2)
	v_cndmask_b32_e64 v32, v32, v34, s0
	v_cndmask_b32_e32 v33, v33, v34, vcc_lo
	s_delay_alu instid0(VALU_DEP_2) | instskip(NEXT) | instid1(VALU_DEP_2)
	v_cvt_f16_f32_e32 v34, v32
	v_cvt_f16_f32_e32 v35, v33
	s_delay_alu instid0(VALU_DEP_1) | instskip(SKIP_1) | instid1(VALU_DEP_1)
	v_pack_b32_f16 v99, v34, v35
	v_sub_f32_e32 v34, v62, v128
	v_mul_f32_e32 v35, 0x3fb8aa3b, v34
	v_cmp_ngt_f32_e64 s3, 0xc2ce8ed0, v34
	v_cmp_nlt_f32_e64 s4, 0x42b17218, v34
	s_delay_alu instid0(VALU_DEP_3) | instskip(SKIP_1) | instid1(VALU_DEP_1)
	v_fma_f32 v40, 0x3fb8aa3b, v34, -v35
	v_rndne_f32_e32 v41, v35
	v_dual_fmac_f32 v40, 0x32a5705f, v34 :: v_dual_sub_f32 v35, v35, v41
	s_delay_alu instid0(VALU_DEP_1) | instskip(SKIP_1) | instid1(VALU_DEP_2)
	v_add_f32_e32 v35, v35, v40
	v_cvt_i32_f32_e32 v40, v41
	v_exp_f32_e32 v35, v35
	s_waitcnt_depctr 0xfff
	v_ldexp_f32 v35, v35, v40
	s_delay_alu instid0(VALU_DEP_1) | instskip(NEXT) | instid1(VALU_DEP_1)
	v_cndmask_b32_e64 v34, 0, v35, s3
	v_cndmask_b32_e64 v85, 0x7f800000, v34, s4
	ds_bpermute_b32 v34, v251, v85
	v_cndmask_b32_e64 v32, v32, v85, s1
	v_cndmask_b32_e64 v33, v33, v85, s2
	s_waitcnt lgkmcnt(0)
	s_delay_alu instid0(VALU_DEP_2) | instskip(NEXT) | instid1(VALU_DEP_2)
	;; [unrolled: 29-line block ×5, first 2 shown]
	v_cndmask_b32_e64 v32, v32, v34, s0
	v_cndmask_b32_e32 v33, v33, v34, vcc_lo
	s_delay_alu instid0(VALU_DEP_2) | instskip(NEXT) | instid1(VALU_DEP_2)
	v_cvt_f16_f32_e32 v32, v32
	v_cvt_f16_f32_e32 v33, v33
	s_delay_alu instid0(VALU_DEP_1) | instskip(SKIP_1) | instid1(VALU_DEP_1)
	v_pack_b32_f16 v103, v32, v33
	v_sub_f32_e32 v32, v95, v128
	v_mul_f32_e32 v33, 0x3fb8aa3b, v32
	v_cmp_ngt_f32_e64 s3, 0xc2ce8ed0, v32
	v_cmp_nlt_f32_e64 s4, 0x42b17218, v32
	v_cmp_le_f32_e64 s5, 0xc1a00000, v32
	s_delay_alu instid0(VALU_DEP_4) | instskip(SKIP_1) | instid1(VALU_DEP_1)
	v_fma_f32 v34, 0x3fb8aa3b, v32, -v33
	v_rndne_f32_e32 v35, v33
	v_dual_fmac_f32 v34, 0x32a5705f, v32 :: v_dual_sub_f32 v33, v33, v35
	s_delay_alu instid0(VALU_DEP_1) | instskip(SKIP_1) | instid1(VALU_DEP_2)
	v_add_f32_e32 v33, v33, v34
	v_cvt_i32_f32_e32 v34, v35
	v_exp_f32_e32 v33, v33
	s_waitcnt_depctr 0xfff
	v_ldexp_f32 v33, v33, v34
	s_delay_alu instid0(VALU_DEP_1) | instskip(NEXT) | instid1(VALU_DEP_1)
	v_cndmask_b32_e64 v32, 0, v33, s3
	v_cndmask_b32_e64 v32, 0x7f800000, v32, s4
	s_delay_alu instid0(VALU_DEP_1)
	v_cndmask_b32_e64 v112, 0, v32, s5
	ds_load_2addr_b32 v[32:33], v252 offset1:16
	ds_load_2addr_b32 v[34:35], v252 offset0:68 offset1:84
	ds_load_2addr_b32 v[48:49], v252 offset0:136 offset1:152
	;; [unrolled: 1-line block ×13, first 2 shown]
	v_cvt_f16_f32_e32 v57, v112
	s_delay_alu instid0(VALU_DEP_1)
	v_pk_mul_f16 v24, v57, v24 op_sel_hi:[0,1]
	v_pk_mul_f16 v25, v57, v25 op_sel_hi:[0,1]
	;; [unrolled: 1-line block ×8, first 2 shown]
	s_waitcnt lgkmcnt(12)
	v_perm_b32 v40, v34, v32, 0x5040100
	s_waitcnt lgkmcnt(10)
	v_perm_b32 v41, v50, v48, 0x5040100
	;; [unrolled: 2-line block ×8, first 2 shown]
	v_pk_mul_f16 v16, v57, v16 op_sel_hi:[0,1]
	v_pk_mul_f16 v17, v57, v17 op_sel_hi:[0,1]
	;; [unrolled: 1-line block ×4, first 2 shown]
	v_wmma_f16_16x16x16_f16 v[24:31], v[40:47], v[96:103], v[24:31]
	v_perm_b32 v42, v53, v52, 0x7060302
	v_perm_b32 v46, v95, v94, 0x7060302
	;; [unrolled: 1-line block ×8, first 2 shown]
	v_pk_mul_f16 v20, v57, v20 op_sel_hi:[0,1]
	v_pk_mul_f16 v21, v57, v21 op_sel_hi:[0,1]
	;; [unrolled: 1-line block ×4, first 2 shown]
	v_wmma_f16_16x16x16_f16 v[24:31], v[40:47], v[96:103], v[24:31] op_sel:[0,0,1]
	scratch_load_b32 v46, off, off offset:672 ; 4-byte Folded Reload
	v_perm_b32 v40, v35, v33, 0x5040100
	v_perm_b32 v41, v51, v49, 0x5040100
	;; [unrolled: 1-line block ×3, first 2 shown]
	v_pk_mul_f16 v8, v57, v8 op_sel_hi:[0,1]
	v_pk_mul_f16 v9, v57, v9 op_sel_hi:[0,1]
	;; [unrolled: 1-line block ×16, first 2 shown]
	s_waitcnt vmcnt(0)
	ds_load_b32 v32, v46 offset:1088
	ds_load_2addr_b32 v[52:53], v108 offset0:100 offset1:116
	ds_load_2addr_b32 v[64:65], v108 offset0:168 offset1:184
	;; [unrolled: 1-line block ×3, first 2 shown]
	ds_load_b32 v34, v46 offset:2176
	ds_load_b32 v48, v46 offset:3264
	ds_load_2addr_b32 v[107:108], v116 offset0:132 offset1:148
	ds_load_2addr_b32 v[109:110], v116 offset0:200 offset1:216
	;; [unrolled: 1-line block ×3, first 2 shown]
	s_waitcnt lgkmcnt(7)
	v_perm_b32 v42, v52, v32, 0x5040100
	s_waitcnt lgkmcnt(5)
	v_perm_b32 v43, v94, v64, 0x5040100
	;; [unrolled: 2-line block ×5, first 2 shown]
	s_delay_alu instid0(VALU_DEP_1)
	v_wmma_f16_16x16x16_f16 v[16:23], v[40:47], v[96:103], v[16:23]
	v_perm_b32 v40, v35, v33, 0x7060302
	v_perm_b32 v41, v51, v49, 0x7060302
	;; [unrolled: 1-line block ×8, first 2 shown]
	ds_load_2addr_b32 v[32:33], v252 offset0:32 offset1:48
	ds_load_2addr_b32 v[34:35], v252 offset0:100 offset1:116
	;; [unrolled: 1-line block ×4, first 2 shown]
	v_add_nc_u32_e32 v94, 0x2000, v252
	v_wmma_f16_16x16x16_f16 v[16:23], v[40:47], v[96:103], v[16:23] op_sel:[0,0,1]
	scratch_load_b32 v46, off, off offset:700 ; 4-byte Folded Reload
	v_perm_b32 v43, v95, v65, 0x5040100
	v_perm_b32 v47, v115, v110, 0x5040100
	s_waitcnt lgkmcnt(2)
	v_perm_b32 v40, v34, v32, 0x5040100
	s_waitcnt lgkmcnt(0)
	v_perm_b32 v41, v50, v48, 0x5040100
	s_waitcnt vmcnt(0)
	ds_load_b32 v52, v46 offset:1088
	ds_load_b32 v55, v46 offset:2176
	ds_load_2addr_b32 v[66:67], v111 offset0:132 offset1:148
	ds_load_2addr_b32 v[68:69], v111 offset0:200 offset1:216
	;; [unrolled: 1-line block ×3, first 2 shown]
	ds_load_b32 v62, v46 offset:3264
	s_waitcnt lgkmcnt(5)
	v_perm_b32 v42, v53, v52, 0x5040100
	s_waitcnt lgkmcnt(3)
	v_perm_b32 v44, v66, v55, 0x5040100
	;; [unrolled: 2-line block ×4, first 2 shown]
	s_delay_alu instid0(VALU_DEP_1)
	v_wmma_f16_16x16x16_f16 v[8:15], v[40:47], v[96:103], v[8:15]
	v_perm_b32 v43, v95, v65, 0x7060302
	v_perm_b32 v47, v115, v110, 0x7060302
	;; [unrolled: 1-line block ×8, first 2 shown]
	ds_load_2addr_b32 v[64:65], v122 offset0:44 offset1:64
	v_wmma_f16_16x16x16_f16 v[8:15], v[40:47], v[96:103], v[8:15] op_sel:[0,0,1]
	scratch_load_b32 v46, off, off offset:720 ; 4-byte Folded Reload
	v_perm_b32 v40, v35, v33, 0x5040100
	v_perm_b32 v41, v51, v49, 0x5040100
	;; [unrolled: 1-line block ×4, first 2 shown]
	s_waitcnt lgkmcnt(0)
	v_perm_b32 v47, v64, v106, 0x5040100
	s_waitcnt vmcnt(0)
	ds_load_b32 v32, v46 offset:1088
	ds_load_b32 v34, v46 offset:2176
	;; [unrolled: 1-line block ×3, first 2 shown]
	s_waitcnt lgkmcnt(2)
	v_perm_b32 v42, v54, v32, 0x5040100
	s_waitcnt lgkmcnt(1)
	v_perm_b32 v44, v67, v34, 0x5040100
	;; [unrolled: 2-line block ×3, first 2 shown]
	s_delay_alu instid0(VALU_DEP_1)
	v_wmma_f16_16x16x16_f16 v[0:7], v[40:47], v[96:103], v[0:7]
	v_perm_b32 v42, v54, v32, 0x7060302
	v_sub_f32_e32 v32, v60, v128
	v_perm_b32 v40, v35, v33, 0x7060302
	v_perm_b32 v44, v67, v34, 0x7060302
	;; [unrolled: 1-line block ×4, first 2 shown]
	v_mul_f32_e32 v33, 0x3fb8aa3b, v32
	v_perm_b32 v45, v117, v69, 0x7060302
	v_perm_b32 v46, v104, v48, 0x7060302
	;; [unrolled: 1-line block ×3, first 2 shown]
	v_cmp_ngt_f32_e64 s3, 0xc2ce8ed0, v32
	v_fma_f32 v34, 0x3fb8aa3b, v32, -v33
	v_rndne_f32_e32 v35, v33
	v_cmp_nlt_f32_e64 s4, 0x42b17218, v32
	v_wmma_f16_16x16x16_f16 v[0:7], v[40:47], v[96:103], v[0:7] op_sel:[0,0,1]
	s_delay_alu instid0(VALU_DEP_3) | instskip(SKIP_1) | instid1(VALU_DEP_2)
	v_dual_fmac_f32 v34, 0x32a5705f, v32 :: v_dual_sub_f32 v33, v33, v35
	v_cvt_i32_f32_e32 v35, v35
	v_dual_add_f32 v33, v33, v34 :: v_dual_sub_f32 v34, v59, v128
	s_delay_alu instid0(VALU_DEP_1) | instskip(NEXT) | instid1(VALU_DEP_1)
	v_exp_f32_e32 v33, v33
	v_mul_f32_e32 v40, 0x3fb8aa3b, v34
	v_cmp_ngt_f32_e64 s5, 0xc2ce8ed0, v34
	v_cmp_nlt_f32_e64 s6, 0x42b17218, v34
	s_delay_alu instid0(VALU_DEP_3)
	v_fma_f32 v41, 0x3fb8aa3b, v34, -v40
	v_rndne_f32_e32 v42, v40
	s_waitcnt_depctr 0xfff
	v_ldexp_f32 v33, v33, v35
	v_fmac_f32_e32 v41, 0x32a5705f, v34
	v_sub_f32_e32 v40, v40, v42
	v_cvt_i32_f32_e32 v35, v42
	s_delay_alu instid0(VALU_DEP_4) | instskip(NEXT) | instid1(VALU_DEP_3)
	v_cndmask_b32_e64 v33, 0, v33, s3
	v_add_f32_e32 v40, v40, v41
	s_delay_alu instid0(VALU_DEP_2) | instskip(NEXT) | instid1(VALU_DEP_2)
	v_cndmask_b32_e64 v114, 0x7f800000, v33, s4
	v_exp_f32_e32 v32, v40
	s_waitcnt_depctr 0xfff
	v_ldexp_f32 v32, v32, v35
	s_delay_alu instid0(VALU_DEP_1) | instskip(NEXT) | instid1(VALU_DEP_1)
	v_cndmask_b32_e64 v32, 0, v32, s5
	v_cndmask_b32_e64 v115, 0x7f800000, v32, s6
	ds_bpermute_b32 v32, v251, v114
	ds_bpermute_b32 v34, v251, v115
	s_waitcnt lgkmcnt(1)
	v_cndmask_b32_e32 v33, v114, v32, vcc_lo
	v_cndmask_b32_e64 v32, v114, v32, s0
	s_delay_alu instid0(VALU_DEP_2) | instskip(NEXT) | instid1(VALU_DEP_2)
	v_cndmask_b32_e64 v40, v33, v115, s2
	v_cndmask_b32_e64 v35, v32, v115, s1
	v_cvt_f16_f32_e32 v32, v32
	v_cvt_f16_f32_e32 v33, v33
	s_waitcnt lgkmcnt(0)
	s_delay_alu instid0(VALU_DEP_3) | instskip(SKIP_1) | instid1(VALU_DEP_3)
	v_cndmask_b32_e64 v35, v35, v34, s0
	v_cndmask_b32_e32 v34, v40, v34, vcc_lo
	v_pack_b32_f16 v96, v32, v33
	v_sub_f32_e32 v32, v58, v128
	s_delay_alu instid0(VALU_DEP_4) | instskip(NEXT) | instid1(VALU_DEP_4)
	v_cvt_f16_f32_e32 v40, v35
	v_cvt_f16_f32_e32 v41, v34
	s_delay_alu instid0(VALU_DEP_3) | instskip(SKIP_2) | instid1(VALU_DEP_4)
	v_mul_f32_e32 v33, 0x3fb8aa3b, v32
	v_cmp_ngt_f32_e64 s3, 0xc2ce8ed0, v32
	v_cmp_nlt_f32_e64 s4, 0x42b17218, v32
	v_pack_b32_f16 v97, v40, v41
	s_delay_alu instid0(VALU_DEP_4) | instskip(SKIP_1) | instid1(VALU_DEP_1)
	v_fma_f32 v40, 0x3fb8aa3b, v32, -v33
	v_rndne_f32_e32 v41, v33
	v_dual_fmac_f32 v40, 0x32a5705f, v32 :: v_dual_sub_f32 v33, v33, v41
	s_delay_alu instid0(VALU_DEP_1) | instskip(SKIP_1) | instid1(VALU_DEP_2)
	v_add_f32_e32 v33, v33, v40
	v_cvt_i32_f32_e32 v40, v41
	v_exp_f32_e32 v33, v33
	s_waitcnt_depctr 0xfff
	v_ldexp_f32 v33, v33, v40
	s_delay_alu instid0(VALU_DEP_1) | instskip(NEXT) | instid1(VALU_DEP_1)
	v_cndmask_b32_e64 v32, 0, v33, s3
	v_cndmask_b32_e64 v116, 0x7f800000, v32, s4
	s_delay_alu instid0(VALU_DEP_1) | instskip(SKIP_3) | instid1(VALU_DEP_1)
	v_cndmask_b32_e64 v33, v34, v116, s2
	ds_bpermute_b32 v34, v251, v116
	v_cndmask_b32_e64 v32, v35, v116, s1
	s_waitcnt lgkmcnt(0)
	v_cndmask_b32_e64 v32, v32, v34, s0
	v_cndmask_b32_e32 v33, v33, v34, vcc_lo
	s_delay_alu instid0(VALU_DEP_2) | instskip(NEXT) | instid1(VALU_DEP_2)
	v_cvt_f16_f32_e32 v34, v32
	v_cvt_f16_f32_e32 v35, v33
	s_delay_alu instid0(VALU_DEP_1) | instskip(SKIP_1) | instid1(VALU_DEP_1)
	v_pack_b32_f16 v98, v34, v35
	v_sub_f32_e32 v34, v56, v128
	v_mul_f32_e32 v35, 0x3fb8aa3b, v34
	v_cmp_ngt_f32_e64 s3, 0xc2ce8ed0, v34
	v_cmp_nlt_f32_e64 s4, 0x42b17218, v34
	s_delay_alu instid0(VALU_DEP_3) | instskip(SKIP_1) | instid1(VALU_DEP_1)
	v_fma_f32 v40, 0x3fb8aa3b, v34, -v35
	v_rndne_f32_e32 v41, v35
	v_dual_fmac_f32 v40, 0x32a5705f, v34 :: v_dual_sub_f32 v35, v35, v41
	s_delay_alu instid0(VALU_DEP_1) | instskip(SKIP_1) | instid1(VALU_DEP_2)
	v_add_f32_e32 v35, v35, v40
	v_cvt_i32_f32_e32 v40, v41
	v_exp_f32_e32 v35, v35
	s_waitcnt_depctr 0xfff
	v_ldexp_f32 v35, v35, v40
	s_delay_alu instid0(VALU_DEP_1) | instskip(NEXT) | instid1(VALU_DEP_1)
	v_cndmask_b32_e64 v34, 0, v35, s3
	v_cndmask_b32_e64 v117, 0x7f800000, v34, s4
	ds_bpermute_b32 v34, v251, v117
	v_cndmask_b32_e64 v32, v32, v117, s1
	v_cndmask_b32_e64 v33, v33, v117, s2
	s_waitcnt lgkmcnt(0)
	s_delay_alu instid0(VALU_DEP_2) | instskip(NEXT) | instid1(VALU_DEP_2)
	v_cndmask_b32_e64 v32, v32, v34, s0
	v_cndmask_b32_e32 v33, v33, v34, vcc_lo
	s_delay_alu instid0(VALU_DEP_2) | instskip(NEXT) | instid1(VALU_DEP_2)
	v_cvt_f16_f32_e32 v34, v32
	v_cvt_f16_f32_e32 v35, v33
	s_delay_alu instid0(VALU_DEP_1) | instskip(SKIP_1) | instid1(VALU_DEP_1)
	v_pack_b32_f16 v99, v34, v35
	v_sub_f32_e32 v34, v39, v128
	v_mul_f32_e32 v35, 0x3fb8aa3b, v34
	v_cmp_ngt_f32_e64 s3, 0xc2ce8ed0, v34
	v_cmp_nlt_f32_e64 s4, 0x42b17218, v34
	s_delay_alu instid0(VALU_DEP_3) | instskip(SKIP_1) | instid1(VALU_DEP_2)
	v_fma_f32 v39, 0x3fb8aa3b, v34, -v35
	v_rndne_f32_e32 v40, v35
	v_fmac_f32_e32 v39, 0x32a5705f, v34
	s_delay_alu instid0(VALU_DEP_2) | instskip(NEXT) | instid1(VALU_DEP_1)
	v_sub_f32_e32 v35, v35, v40
	v_add_f32_e32 v35, v35, v39
	v_cvt_i32_f32_e32 v39, v40
	s_delay_alu instid0(VALU_DEP_2) | instskip(SKIP_2) | instid1(VALU_DEP_1)
	v_exp_f32_e32 v35, v35
	s_waitcnt_depctr 0xfff
	v_ldexp_f32 v35, v35, v39
	v_cndmask_b32_e64 v34, 0, v35, s3
	s_delay_alu instid0(VALU_DEP_1) | instskip(SKIP_4) | instid1(VALU_DEP_2)
	v_cndmask_b32_e64 v118, 0x7f800000, v34, s4
	ds_bpermute_b32 v34, v251, v118
	v_cndmask_b32_e64 v32, v32, v118, s1
	v_cndmask_b32_e64 v33, v33, v118, s2
	s_waitcnt lgkmcnt(0)
	v_cndmask_b32_e64 v32, v32, v34, s0
	s_delay_alu instid0(VALU_DEP_2) | instskip(NEXT) | instid1(VALU_DEP_2)
	v_cndmask_b32_e32 v33, v33, v34, vcc_lo
	v_cvt_f16_f32_e32 v34, v32
	s_delay_alu instid0(VALU_DEP_2) | instskip(NEXT) | instid1(VALU_DEP_1)
	v_cvt_f16_f32_e32 v35, v33
	v_pack_b32_f16 v100, v34, v35
	v_sub_f32_e32 v34, v38, v128
	s_delay_alu instid0(VALU_DEP_1) | instskip(SKIP_2) | instid1(VALU_DEP_3)
	v_mul_f32_e32 v35, 0x3fb8aa3b, v34
	v_cmp_ngt_f32_e64 s3, 0xc2ce8ed0, v34
	v_cmp_nlt_f32_e64 s4, 0x42b17218, v34
	v_fma_f32 v38, 0x3fb8aa3b, v34, -v35
	v_rndne_f32_e32 v39, v35
	s_delay_alu instid0(VALU_DEP_1) | instskip(NEXT) | instid1(VALU_DEP_1)
	v_dual_fmac_f32 v38, 0x32a5705f, v34 :: v_dual_sub_f32 v35, v35, v39
	v_add_f32_e32 v35, v35, v38
	v_cvt_i32_f32_e32 v38, v39
	s_delay_alu instid0(VALU_DEP_2) | instskip(SKIP_2) | instid1(VALU_DEP_1)
	v_exp_f32_e32 v35, v35
	s_waitcnt_depctr 0xfff
	v_ldexp_f32 v35, v35, v38
	v_cndmask_b32_e64 v34, 0, v35, s3
	s_delay_alu instid0(VALU_DEP_1) | instskip(SKIP_4) | instid1(VALU_DEP_2)
	v_cndmask_b32_e64 v119, 0x7f800000, v34, s4
	ds_bpermute_b32 v34, v251, v119
	v_cndmask_b32_e64 v32, v32, v119, s1
	v_cndmask_b32_e64 v33, v33, v119, s2
	s_waitcnt lgkmcnt(0)
	v_cndmask_b32_e64 v32, v32, v34, s0
	s_delay_alu instid0(VALU_DEP_2) | instskip(NEXT) | instid1(VALU_DEP_2)
	v_cndmask_b32_e32 v33, v33, v34, vcc_lo
	v_cvt_f16_f32_e32 v34, v32
	s_delay_alu instid0(VALU_DEP_2) | instskip(NEXT) | instid1(VALU_DEP_1)
	v_cvt_f16_f32_e32 v35, v33
	v_pack_b32_f16 v101, v34, v35
	v_sub_f32_e32 v34, v37, v128
	s_delay_alu instid0(VALU_DEP_1) | instskip(SKIP_2) | instid1(VALU_DEP_3)
	v_mul_f32_e32 v35, 0x3fb8aa3b, v34
	v_cmp_ngt_f32_e64 s3, 0xc2ce8ed0, v34
	v_cmp_nlt_f32_e64 s4, 0x42b17218, v34
	v_fma_f32 v37, 0x3fb8aa3b, v34, -v35
	v_rndne_f32_e32 v38, v35
	s_delay_alu instid0(VALU_DEP_2) | instskip(NEXT) | instid1(VALU_DEP_2)
	v_fmac_f32_e32 v37, 0x32a5705f, v34
	v_sub_f32_e32 v35, v35, v38
	s_delay_alu instid0(VALU_DEP_1) | instskip(SKIP_2) | instid1(VALU_DEP_3)
	v_add_f32_e32 v35, v35, v37
	v_cvt_i32_f32_e32 v37, v38
	v_add_nc_u32_e32 v38, 0x1c00, v252
	v_exp_f32_e32 v35, v35
	s_waitcnt_depctr 0xfff
	v_ldexp_f32 v35, v35, v37
	s_delay_alu instid0(VALU_DEP_1) | instskip(NEXT) | instid1(VALU_DEP_1)
	v_cndmask_b32_e64 v34, 0, v35, s3
	v_cndmask_b32_e64 v120, 0x7f800000, v34, s4
	ds_bpermute_b32 v34, v251, v120
	v_cndmask_b32_e64 v32, v32, v120, s1
	v_cndmask_b32_e64 v33, v33, v120, s2
	s_waitcnt lgkmcnt(0)
	s_delay_alu instid0(VALU_DEP_2) | instskip(NEXT) | instid1(VALU_DEP_2)
	v_cndmask_b32_e64 v32, v32, v34, s0
	v_cndmask_b32_e32 v33, v33, v34, vcc_lo
	s_delay_alu instid0(VALU_DEP_2) | instskip(NEXT) | instid1(VALU_DEP_2)
	v_cvt_f16_f32_e32 v34, v32
	v_cvt_f16_f32_e32 v35, v33
	s_delay_alu instid0(VALU_DEP_1) | instskip(SKIP_1) | instid1(VALU_DEP_1)
	v_pack_b32_f16 v102, v34, v35
	v_sub_f32_e32 v34, v36, v128
	v_mul_f32_e32 v35, 0x3fb8aa3b, v34
	v_cmp_ngt_f32_e64 s3, 0xc2ce8ed0, v34
	v_cmp_nlt_f32_e64 s4, 0x42b17218, v34
	s_delay_alu instid0(VALU_DEP_3) | instskip(SKIP_1) | instid1(VALU_DEP_1)
	v_fma_f32 v36, 0x3fb8aa3b, v34, -v35
	v_rndne_f32_e32 v37, v35
	v_dual_fmac_f32 v36, 0x32a5705f, v34 :: v_dual_sub_f32 v35, v35, v37
	s_delay_alu instid0(VALU_DEP_1) | instskip(SKIP_2) | instid1(VALU_DEP_3)
	v_add_f32_e32 v35, v35, v36
	v_cvt_i32_f32_e32 v36, v37
	v_add_nc_u32_e32 v37, 0x1a00, v252
	v_exp_f32_e32 v35, v35
	s_waitcnt_depctr 0xfff
	v_ldexp_f32 v35, v35, v36
	v_add_nc_u32_e32 v36, 0x1800, v252
	s_delay_alu instid0(VALU_DEP_2) | instskip(SKIP_1) | instid1(VALU_DEP_2)
	v_cndmask_b32_e64 v34, 0, v35, s3
	v_add_nc_u32_e32 v35, 0x1400, v252
	v_cndmask_b32_e64 v121, 0x7f800000, v34, s4
	ds_bpermute_b32 v34, v251, v121
	v_cndmask_b32_e64 v32, v32, v121, s1
	v_cndmask_b32_e64 v33, v33, v121, s2
	s_waitcnt lgkmcnt(0)
	s_delay_alu instid0(VALU_DEP_2) | instskip(NEXT) | instid1(VALU_DEP_2)
	v_cndmask_b32_e64 v32, v32, v34, s0
	v_cndmask_b32_e32 v33, v33, v34, vcc_lo
	s_delay_alu instid0(VALU_DEP_2) | instskip(NEXT) | instid1(VALU_DEP_2)
	v_cvt_f16_f32_e32 v32, v32
	v_cvt_f16_f32_e32 v33, v33
	s_delay_alu instid0(VALU_DEP_1)
	v_pack_b32_f16 v103, v32, v33
	v_add_nc_u32_e32 v32, 0x1200, v252
	ds_load_2addr_b32 v[40:41], v32 offset0:120 offset1:140
	ds_load_2addr_b32 v[42:43], v122 offset0:112 offset1:132
	;; [unrolled: 1-line block ×3, first 2 shown]
	scratch_load_b32 v34, off, off offset:660 ; 4-byte Folded Reload
	s_waitcnt vmcnt(0)
	ds_load_b32 v32, v34 offset:1088
	ds_load_2addr_b32 v[46:47], v35 offset0:60 offset1:148
	ds_load_2addr_b32 v[48:49], v35 offset0:196 offset1:216
	ds_load_2addr_b32 v[50:51], v36 offset0:8 offset1:28
	ds_load_b32 v33, v34 offset:2176
	ds_load_2addr_b32 v[52:53], v36 offset0:76 offset1:164
	ds_load_2addr_b32 v[54:55], v36 offset0:212 offset1:232
	ds_load_2addr_b32 v[56:57], v38 offset0:24 offset1:44
	;; [unrolled: 4-line block ×3, first 2 shown]
	s_waitcnt lgkmcnt(13)
	v_perm_b32 v104, v43, v65, 0x5040100
	s_waitcnt lgkmcnt(12)
	v_perm_b32 v105, v41, v45, 0x5040100
	;; [unrolled: 2-line block ×8, first 2 shown]
	s_delay_alu instid0(VALU_DEP_1)
	v_wmma_f16_16x16x16_f16 v[24:31], v[104:111], v[96:103], v[24:31]
	v_perm_b32 v104, v43, v65, 0x7060302
	v_perm_b32 v111, v63, v61, 0x7060302
	ds_load_2addr_b32 v[63:64], v122 offset0:80 offset1:96
	ds_load_2addr_b32 v[65:66], v122 offset0:148 offset1:164
	;; [unrolled: 1-line block ×4, first 2 shown]
	scratch_load_b32 v39, off, off offset:676 ; 4-byte Folded Reload
	v_perm_b32 v106, v47, v32, 0x7060302
	v_perm_b32 v108, v53, v33, 0x7060302
	;; [unrolled: 1-line block ×6, first 2 shown]
	s_delay_alu instid0(VALU_DEP_1)
	v_wmma_f16_16x16x16_f16 v[24:31], v[104:111], v[96:103], v[24:31] op_sel:[0,0,1]
	s_waitcnt vmcnt(0)
	ds_load_b32 v41, v39 offset:1088
	ds_load_2addr_b32 v[104:105], v35 offset0:164 offset1:180
	ds_load_2addr_b32 v[106:107], v35 offset0:232 offset1:248
	ds_load_2addr_b32 v[108:109], v36 offset0:44 offset1:60
	ds_load_b32 v43, v39 offset:2176
	ds_load_2addr_b32 v[110:111], v36 offset0:180 offset1:196
	ds_load_2addr_b32 v[122:123], v37 offset0:120 offset1:136
	ds_load_2addr_b32 v[124:125], v38 offset0:60 offset1:76
	;; [unrolled: 4-line block ×3, first 2 shown]
	s_waitcnt lgkmcnt(14)
	v_perm_b32 v32, v65, v63, 0x5040100
	s_waitcnt lgkmcnt(12)
	v_perm_b32 v33, v69, v67, 0x5040100
	;; [unrolled: 2-line block ×8, first 2 shown]
	s_delay_alu instid0(VALU_DEP_1)
	v_wmma_f16_16x16x16_f16 v[16:23], v[32:39], v[96:103], v[16:23]
	v_perm_b32 v34, v104, v41, 0x7060302
	v_perm_b32 v36, v110, v43, 0x7060302
	;; [unrolled: 1-line block ×8, first 2 shown]
	v_add_nc_u32_e32 v65, 0x3000, v252
	s_delay_alu instid0(VALU_DEP_2)
	v_wmma_f16_16x16x16_f16 v[16:23], v[32:39], v[96:103], v[16:23] op_sel:[0,0,1]
	scratch_load_b32 v38, off, off offset:708 ; 4-byte Folded Reload
	v_perm_b32 v32, v66, v64, 0x5040100
	v_perm_b32 v33, v70, v68, 0x5040100
	;; [unrolled: 1-line block ×5, first 2 shown]
	s_waitcnt vmcnt(0)
	ds_load_b32 v41, v38 offset:1088
	ds_load_b32 v43, v38 offset:2176
	;; [unrolled: 1-line block ×3, first 2 shown]
	s_waitcnt lgkmcnt(2)
	v_perm_b32 v34, v105, v41, 0x5040100
	s_waitcnt lgkmcnt(1)
	v_perm_b32 v36, v111, v43, 0x5040100
	;; [unrolled: 2-line block ×3, first 2 shown]
	s_delay_alu instid0(VALU_DEP_1)
	v_wmma_f16_16x16x16_f16 v[8:15], v[32:39], v[96:103], v[8:15]
	v_perm_b32 v32, v66, v64, 0x7060302
	v_perm_b32 v33, v70, v68, 0x7060302
	;; [unrolled: 1-line block ×8, first 2 shown]
	ds_load_2addr_b32 v[63:64], v94 offset0:108 offset1:128
	v_wmma_f16_16x16x16_f16 v[8:15], v[32:39], v[96:103], v[8:15] op_sel:[0,0,1]
	scratch_load_b32 v38, off, off offset:724 ; 4-byte Folded Reload
	v_perm_b32 v32, v44, v42, 0x5040100
	v_perm_b32 v33, v46, v40, 0x5040100
	v_perm_b32 v35, v52, v50, 0x5040100
	v_perm_b32 v37, v58, v56, 0x5040100
	s_waitcnt lgkmcnt(0)
	v_perm_b32 v39, v63, v62, 0x5040100
	s_waitcnt vmcnt(0)
	ds_load_b32 v41, v38 offset:1088
	ds_load_b32 v43, v38 offset:2176
	;; [unrolled: 1-line block ×3, first 2 shown]
	s_waitcnt lgkmcnt(2)
	v_perm_b32 v34, v48, v41, 0x5040100
	s_waitcnt lgkmcnt(1)
	v_perm_b32 v36, v54, v43, 0x5040100
	;; [unrolled: 2-line block ×3, first 2 shown]
	s_delay_alu instid0(VALU_DEP_1)
	v_wmma_f16_16x16x16_f16 v[0:7], v[32:39], v[96:103], v[0:7]
	v_perm_b32 v32, v44, v42, 0x7060302
	v_perm_b32 v33, v46, v40, 0x7060302
	;; [unrolled: 1-line block ×8, first 2 shown]
	s_delay_alu instid0(VALU_DEP_1) | instskip(SKIP_4) | instid1(VALU_DEP_4)
	v_wmma_f16_16x16x16_f16 v[0:7], v[32:39], v[96:103], v[0:7] op_sel:[0,0,1]
	v_sub_f32_e32 v32, v93, v128
	v_add_nc_u32_e32 v93, 0x2400, v252
	v_add_nc_u32_e32 v97, 0x2800, v252
	;; [unrolled: 1-line block ×3, first 2 shown]
	v_mul_f32_e32 v33, 0x3fb8aa3b, v32
	v_cmp_ngt_f32_e64 s3, 0xc2ce8ed0, v32
	v_cmp_nlt_f32_e64 s4, 0x42b17218, v32
	s_delay_alu instid0(VALU_DEP_3) | instskip(SKIP_1) | instid1(VALU_DEP_1)
	v_fma_f32 v34, 0x3fb8aa3b, v32, -v33
	v_rndne_f32_e32 v35, v33
	v_dual_fmac_f32 v34, 0x32a5705f, v32 :: v_dual_sub_f32 v33, v33, v35
	v_cvt_i32_f32_e32 v35, v35
	s_delay_alu instid0(VALU_DEP_2) | instskip(NEXT) | instid1(VALU_DEP_1)
	v_dual_add_f32 v33, v33, v34 :: v_dual_sub_f32 v34, v92, v128
	v_exp_f32_e32 v33, v33
	s_delay_alu instid0(VALU_DEP_1) | instskip(SKIP_2) | instid1(VALU_DEP_3)
	v_mul_f32_e32 v36, 0x3fb8aa3b, v34
	v_cmp_ngt_f32_e64 s5, 0xc2ce8ed0, v34
	v_cmp_nlt_f32_e64 s6, 0x42b17218, v34
	v_fma_f32 v37, 0x3fb8aa3b, v34, -v36
	v_rndne_f32_e32 v38, v36
	s_waitcnt_depctr 0xfff
	v_ldexp_f32 v33, v33, v35
	v_fmac_f32_e32 v37, 0x32a5705f, v34
	v_sub_f32_e32 v36, v36, v38
	v_cvt_i32_f32_e32 v35, v38
	s_delay_alu instid0(VALU_DEP_4) | instskip(NEXT) | instid1(VALU_DEP_3)
	v_cndmask_b32_e64 v33, 0, v33, s3
	v_add_f32_e32 v36, v36, v37
	s_delay_alu instid0(VALU_DEP_2) | instskip(NEXT) | instid1(VALU_DEP_2)
	v_cndmask_b32_e64 v122, 0x7f800000, v33, s4
	v_exp_f32_e32 v32, v36
	s_waitcnt_depctr 0xfff
	v_ldexp_f32 v32, v32, v35
	s_delay_alu instid0(VALU_DEP_1) | instskip(NEXT) | instid1(VALU_DEP_1)
	v_cndmask_b32_e64 v32, 0, v32, s5
	v_cndmask_b32_e64 v123, 0x7f800000, v32, s6
	ds_bpermute_b32 v32, v251, v122
	ds_bpermute_b32 v34, v251, v123
	s_waitcnt lgkmcnt(1)
	v_cndmask_b32_e32 v33, v122, v32, vcc_lo
	v_cndmask_b32_e64 v32, v122, v32, s0
	s_delay_alu instid0(VALU_DEP_2) | instskip(NEXT) | instid1(VALU_DEP_2)
	v_cndmask_b32_e64 v36, v33, v123, s2
	v_cndmask_b32_e64 v35, v32, v123, s1
	v_cvt_f16_f32_e32 v32, v32
	v_cvt_f16_f32_e32 v33, v33
	s_waitcnt lgkmcnt(0)
	s_delay_alu instid0(VALU_DEP_3) | instskip(SKIP_1) | instid1(VALU_DEP_3)
	v_cndmask_b32_e64 v35, v35, v34, s0
	v_cndmask_b32_e32 v34, v36, v34, vcc_lo
	v_pack_b32_f16 v32, v32, v33
	s_delay_alu instid0(VALU_DEP_3) | instskip(NEXT) | instid1(VALU_DEP_3)
	v_cvt_f16_f32_e32 v36, v35
	v_cvt_f16_f32_e32 v37, v34
	s_delay_alu instid0(VALU_DEP_1) | instskip(SKIP_1) | instid1(VALU_DEP_1)
	v_pack_b32_f16 v33, v36, v37
	v_sub_f32_e32 v36, v91, v128
	v_mul_f32_e32 v37, 0x3fb8aa3b, v36
	v_cmp_ngt_f32_e64 s3, 0xc2ce8ed0, v36
	v_cmp_nlt_f32_e64 s4, 0x42b17218, v36
	s_delay_alu instid0(VALU_DEP_3) | instskip(SKIP_1) | instid1(VALU_DEP_1)
	v_fma_f32 v38, 0x3fb8aa3b, v36, -v37
	v_rndne_f32_e32 v39, v37
	v_dual_fmac_f32 v38, 0x32a5705f, v36 :: v_dual_sub_f32 v37, v37, v39
	s_delay_alu instid0(VALU_DEP_1) | instskip(SKIP_1) | instid1(VALU_DEP_2)
	v_add_f32_e32 v37, v37, v38
	v_cvt_i32_f32_e32 v38, v39
	v_exp_f32_e32 v37, v37
	s_waitcnt_depctr 0xfff
	v_ldexp_f32 v37, v37, v38
	s_delay_alu instid0(VALU_DEP_1) | instskip(NEXT) | instid1(VALU_DEP_1)
	v_cndmask_b32_e64 v36, 0, v37, s3
	v_cndmask_b32_e64 v124, 0x7f800000, v36, s4
	ds_bpermute_b32 v36, v251, v124
	v_cndmask_b32_e64 v35, v35, v124, s1
	v_cndmask_b32_e64 v34, v34, v124, s2
	s_waitcnt lgkmcnt(0)
	s_delay_alu instid0(VALU_DEP_2) | instskip(NEXT) | instid1(VALU_DEP_2)
	v_cndmask_b32_e64 v35, v35, v36, s0
	v_cndmask_b32_e32 v36, v34, v36, vcc_lo
	s_delay_alu instid0(VALU_DEP_2) | instskip(NEXT) | instid1(VALU_DEP_2)
	v_cvt_f16_f32_e32 v34, v35
	v_cvt_f16_f32_e32 v37, v36
	s_delay_alu instid0(VALU_DEP_1) | instskip(SKIP_1) | instid1(VALU_DEP_1)
	v_pack_b32_f16 v34, v34, v37
	v_sub_f32_e32 v37, v90, v128
	v_mul_f32_e32 v38, 0x3fb8aa3b, v37
	v_cmp_ngt_f32_e64 s3, 0xc2ce8ed0, v37
	v_cmp_nlt_f32_e64 s4, 0x42b17218, v37
	s_delay_alu instid0(VALU_DEP_3) | instskip(SKIP_1) | instid1(VALU_DEP_1)
	v_fma_f32 v39, 0x3fb8aa3b, v37, -v38
	v_rndne_f32_e32 v40, v38
	v_dual_fmac_f32 v39, 0x32a5705f, v37 :: v_dual_sub_f32 v38, v38, v40
	s_delay_alu instid0(VALU_DEP_1) | instskip(SKIP_1) | instid1(VALU_DEP_2)
	v_add_f32_e32 v38, v38, v39
	v_cvt_i32_f32_e32 v39, v40
	v_exp_f32_e32 v38, v38
	s_waitcnt_depctr 0xfff
	v_ldexp_f32 v38, v38, v39
	s_delay_alu instid0(VALU_DEP_1) | instskip(NEXT) | instid1(VALU_DEP_1)
	v_cndmask_b32_e64 v37, 0, v38, s3
	v_cndmask_b32_e64 v125, 0x7f800000, v37, s4
	ds_bpermute_b32 v37, v251, v125
	v_cndmask_b32_e64 v35, v35, v125, s1
	v_cndmask_b32_e64 v36, v36, v125, s2
	s_waitcnt lgkmcnt(0)
	s_delay_alu instid0(VALU_DEP_2) | instskip(NEXT) | instid1(VALU_DEP_2)
	v_cndmask_b32_e64 v38, v35, v37, s0
	v_cndmask_b32_e32 v36, v36, v37, vcc_lo
	s_delay_alu instid0(VALU_DEP_2) | instskip(NEXT) | instid1(VALU_DEP_2)
	v_cvt_f16_f32_e32 v35, v38
	v_cvt_f16_f32_e32 v37, v36
	s_delay_alu instid0(VALU_DEP_1) | instskip(SKIP_1) | instid1(VALU_DEP_1)
	v_pack_b32_f16 v35, v35, v37
	v_sub_f32_e32 v37, v89, v128
	v_mul_f32_e32 v39, 0x3fb8aa3b, v37
	v_cmp_ngt_f32_e64 s3, 0xc2ce8ed0, v37
	v_cmp_nlt_f32_e64 s4, 0x42b17218, v37
	s_delay_alu instid0(VALU_DEP_3) | instskip(SKIP_1) | instid1(VALU_DEP_2)
	v_fma_f32 v40, 0x3fb8aa3b, v37, -v39
	v_rndne_f32_e32 v41, v39
	v_fmac_f32_e32 v40, 0x32a5705f, v37
	s_delay_alu instid0(VALU_DEP_2) | instskip(NEXT) | instid1(VALU_DEP_1)
	v_sub_f32_e32 v39, v39, v41
	v_add_f32_e32 v39, v39, v40
	v_cvt_i32_f32_e32 v40, v41
	s_delay_alu instid0(VALU_DEP_2) | instskip(SKIP_2) | instid1(VALU_DEP_1)
	v_exp_f32_e32 v39, v39
	s_waitcnt_depctr 0xfff
	v_ldexp_f32 v39, v39, v40
	v_cndmask_b32_e64 v37, 0, v39, s3
	s_delay_alu instid0(VALU_DEP_1) | instskip(NEXT) | instid1(VALU_DEP_1)
	v_cndmask_b32_e64 v126, 0x7f800000, v37, s4
	v_cndmask_b32_e64 v37, v38, v126, s1
	ds_bpermute_b32 v38, v251, v126
	v_cndmask_b32_e64 v36, v36, v126, s2
	s_waitcnt lgkmcnt(0)
	v_cndmask_b32_e64 v37, v37, v38, s0
	s_delay_alu instid0(VALU_DEP_2) | instskip(NEXT) | instid1(VALU_DEP_2)
	v_cndmask_b32_e32 v38, v36, v38, vcc_lo
	v_cvt_f16_f32_e32 v36, v37
	s_delay_alu instid0(VALU_DEP_2) | instskip(NEXT) | instid1(VALU_DEP_1)
	v_cvt_f16_f32_e32 v39, v38
	v_pack_b32_f16 v36, v36, v39
	v_sub_f32_e32 v39, v88, v128
	s_delay_alu instid0(VALU_DEP_1) | instskip(SKIP_2) | instid1(VALU_DEP_3)
	v_mul_f32_e32 v40, 0x3fb8aa3b, v39
	v_cmp_ngt_f32_e64 s3, 0xc2ce8ed0, v39
	v_cmp_nlt_f32_e64 s4, 0x42b17218, v39
	v_fma_f32 v41, 0x3fb8aa3b, v39, -v40
	v_rndne_f32_e32 v42, v40
	s_delay_alu instid0(VALU_DEP_1) | instskip(NEXT) | instid1(VALU_DEP_1)
	v_dual_fmac_f32 v41, 0x32a5705f, v39 :: v_dual_sub_f32 v40, v40, v42
	v_add_f32_e32 v40, v40, v41
	v_cvt_i32_f32_e32 v41, v42
	s_delay_alu instid0(VALU_DEP_2) | instskip(SKIP_2) | instid1(VALU_DEP_1)
	v_exp_f32_e32 v40, v40
	s_waitcnt_depctr 0xfff
	v_ldexp_f32 v40, v40, v41
	v_cndmask_b32_e64 v39, 0, v40, s3
	s_delay_alu instid0(VALU_DEP_1) | instskip(SKIP_4) | instid1(VALU_DEP_2)
	v_cndmask_b32_e64 v127, 0x7f800000, v39, s4
	ds_bpermute_b32 v39, v251, v127
	v_cndmask_b32_e64 v37, v37, v127, s1
	v_cndmask_b32_e64 v38, v38, v127, s2
	s_waitcnt lgkmcnt(0)
	v_cndmask_b32_e64 v40, v37, v39, s0
	s_delay_alu instid0(VALU_DEP_2) | instskip(NEXT) | instid1(VALU_DEP_2)
	v_cndmask_b32_e32 v38, v38, v39, vcc_lo
	v_cvt_f16_f32_e32 v37, v40
	s_delay_alu instid0(VALU_DEP_2) | instskip(NEXT) | instid1(VALU_DEP_1)
	v_cvt_f16_f32_e32 v39, v38
	v_pack_b32_f16 v37, v37, v39
	v_sub_f32_e32 v39, v80, v128
	s_delay_alu instid0(VALU_DEP_1) | instskip(SKIP_2) | instid1(VALU_DEP_3)
	v_mul_f32_e32 v41, 0x3fb8aa3b, v39
	v_cmp_ngt_f32_e64 s3, 0xc2ce8ed0, v39
	v_cmp_nlt_f32_e64 s4, 0x42b17218, v39
	v_fma_f32 v42, 0x3fb8aa3b, v39, -v41
	v_rndne_f32_e32 v43, v41
	s_delay_alu instid0(VALU_DEP_2) | instskip(NEXT) | instid1(VALU_DEP_2)
	v_fmac_f32_e32 v42, 0x32a5705f, v39
	v_sub_f32_e32 v41, v41, v43
	s_delay_alu instid0(VALU_DEP_1) | instskip(SKIP_1) | instid1(VALU_DEP_2)
	v_add_f32_e32 v41, v41, v42
	v_cvt_i32_f32_e32 v42, v43
	v_exp_f32_e32 v41, v41
	s_waitcnt_depctr 0xfff
	v_ldexp_f32 v41, v41, v42
	s_delay_alu instid0(VALU_DEP_1) | instskip(NEXT) | instid1(VALU_DEP_1)
	v_cndmask_b32_e64 v39, 0, v41, s3
	v_cndmask_b32_e64 v129, 0x7f800000, v39, s4
	s_delay_alu instid0(VALU_DEP_1) | instskip(SKIP_4) | instid1(VALU_DEP_2)
	v_cndmask_b32_e64 v39, v40, v129, s1
	ds_bpermute_b32 v40, v251, v129
	v_cndmask_b32_e64 v38, v38, v129, s2
	s_waitcnt lgkmcnt(0)
	v_cndmask_b32_e64 v39, v39, v40, s0
	v_cndmask_b32_e32 v40, v38, v40, vcc_lo
	s_delay_alu instid0(VALU_DEP_2) | instskip(NEXT) | instid1(VALU_DEP_2)
	v_cvt_f16_f32_e32 v38, v39
	v_cvt_f16_f32_e32 v41, v40
	s_delay_alu instid0(VALU_DEP_1) | instskip(SKIP_1) | instid1(VALU_DEP_1)
	v_pack_b32_f16 v38, v38, v41
	v_sub_f32_e32 v41, v79, v128
	v_mul_f32_e32 v42, 0x3fb8aa3b, v41
	v_cmp_ngt_f32_e64 s3, 0xc2ce8ed0, v41
	v_cmp_nlt_f32_e64 s4, 0x42b17218, v41
	s_delay_alu instid0(VALU_DEP_3) | instskip(SKIP_1) | instid1(VALU_DEP_1)
	v_fma_f32 v43, 0x3fb8aa3b, v41, -v42
	v_rndne_f32_e32 v44, v42
	v_dual_fmac_f32 v43, 0x32a5705f, v41 :: v_dual_sub_f32 v42, v42, v44
	s_delay_alu instid0(VALU_DEP_1) | instskip(SKIP_1) | instid1(VALU_DEP_2)
	v_add_f32_e32 v42, v42, v43
	v_cvt_i32_f32_e32 v43, v44
	v_exp_f32_e32 v42, v42
	s_waitcnt_depctr 0xfff
	v_ldexp_f32 v42, v42, v43
	s_delay_alu instid0(VALU_DEP_1) | instskip(NEXT) | instid1(VALU_DEP_1)
	v_cndmask_b32_e64 v41, 0, v42, s3
	v_cndmask_b32_e64 v130, 0x7f800000, v41, s4
	ds_bpermute_b32 v41, v251, v130
	v_cndmask_b32_e64 v39, v39, v130, s1
	v_cndmask_b32_e64 v40, v40, v130, s2
	s_waitcnt lgkmcnt(0)
	s_delay_alu instid0(VALU_DEP_2) | instskip(NEXT) | instid1(VALU_DEP_2)
	v_cndmask_b32_e64 v39, v39, v41, s0
	v_cndmask_b32_e32 v40, v40, v41, vcc_lo
	s_delay_alu instid0(VALU_DEP_2) | instskip(NEXT) | instid1(VALU_DEP_2)
	v_cvt_f16_f32_e32 v39, v39
	v_cvt_f16_f32_e32 v40, v40
	s_delay_alu instid0(VALU_DEP_1)
	v_pack_b32_f16 v39, v39, v40
	v_add_nc_u32_e32 v40, 0x2200, v252
	ds_load_2addr_b32 v[48:49], v40 offset0:116 offset1:136
	ds_load_2addr_b32 v[50:51], v94 offset0:176 offset1:196
	;; [unrolled: 1-line block ×3, first 2 shown]
	scratch_load_b32 v46, off, off offset:664 ; 4-byte Folded Reload
	s_waitcnt vmcnt(0)
	ds_load_b32 v70, v46 offset:1088
	ds_load_2addr_b32 v[54:55], v93 offset0:124 offset1:212
	ds_load_2addr_b32 v[56:57], v97 offset0:4 offset1:24
	ds_load_2addr_b32 v[58:59], v97 offset0:72 offset1:92
	ds_load_b32 v90, v46 offset:2176
	ds_load_2addr_b32 v[60:61], v97 offset0:140 offset1:228
	ds_load_2addr_b32 v[62:63], v103 offset0:20 offset1:40
	ds_load_2addr_b32 v[66:67], v103 offset0:88 offset1:108
	ds_load_b32 v91, v46 offset:3264
	ds_load_2addr_b32 v[68:69], v103 offset0:156 offset1:244
	ds_load_2addr_b32 v[79:80], v65 offset0:36 offset1:56
	ds_load_2addr_b32 v[88:89], v65 offset0:104 offset1:124
	s_waitcnt lgkmcnt(13)
	v_perm_b32 v40, v51, v64, 0x5040100
	s_waitcnt lgkmcnt(12)
	v_perm_b32 v41, v53, v49, 0x5040100
	;; [unrolled: 2-line block ×8, first 2 shown]
	s_delay_alu instid0(VALU_DEP_1)
	v_wmma_f16_16x16x16_f16 v[24:31], v[40:47], v[32:39], v[24:31]
	v_perm_b32 v40, v51, v64, 0x7060302
	v_perm_b32 v42, v55, v70, 0x7060302
	;; [unrolled: 1-line block ×8, first 2 shown]
	ds_load_2addr_b32 v[63:64], v94 offset0:144 offset1:160
	ds_load_2addr_b32 v[69:70], v94 offset0:212 offset1:228
	;; [unrolled: 1-line block ×4, first 2 shown]
	v_wmma_f16_16x16x16_f16 v[24:31], v[40:47], v[32:39], v[24:31] op_sel:[0,0,1]
	scratch_load_b32 v46, off, off offset:684 ; 4-byte Folded Reload
	v_add_nc_u32_e32 v44, 0x2a00, v252
	s_waitcnt vmcnt(0)
	ds_load_b32 v49, v46 offset:1088
	ds_load_2addr_b32 v[93:94], v93 offset0:228 offset1:244
	ds_load_2addr_b32 v[95:96], v97 offset0:40 offset1:56
	ds_load_2addr_b32 v[97:98], v97 offset0:108 offset1:124
	ds_load_b32 v51, v46 offset:2176
	ds_load_2addr_b32 v[99:100], v44 offset0:116 offset1:132
	ds_load_2addr_b32 v[101:102], v103 offset0:56 offset1:72
	ds_load_2addr_b32 v[103:104], v103 offset0:124 offset1:140
	;; [unrolled: 4-line block ×3, first 2 shown]
	s_waitcnt lgkmcnt(14)
	v_perm_b32 v40, v69, v63, 0x5040100
	s_waitcnt lgkmcnt(12)
	v_perm_b32 v41, v91, v89, 0x5040100
	;; [unrolled: 2-line block ×8, first 2 shown]
	s_delay_alu instid0(VALU_DEP_1)
	v_wmma_f16_16x16x16_f16 v[16:23], v[40:47], v[32:39], v[16:23]
	v_perm_b32 v42, v93, v49, 0x7060302
	v_perm_b32 v44, v99, v51, 0x7060302
	;; [unrolled: 1-line block ×8, first 2 shown]
	v_add_nc_u32_e32 v69, 0x3800, v252
	s_delay_alu instid0(VALU_DEP_2)
	v_wmma_f16_16x16x16_f16 v[16:23], v[40:47], v[32:39], v[16:23] op_sel:[0,0,1]
	scratch_load_b32 v46, off, off offset:712 ; 4-byte Folded Reload
	v_perm_b32 v40, v70, v64, 0x5040100
	v_perm_b32 v41, v92, v90, 0x5040100
	v_perm_b32 v43, v98, v96, 0x5040100
	v_perm_b32 v45, v104, v102, 0x5040100
	v_perm_b32 v47, v110, v108, 0x5040100
	s_waitcnt vmcnt(0)
	ds_load_b32 v49, v46 offset:1088
	ds_load_b32 v51, v46 offset:2176
	;; [unrolled: 1-line block ×3, first 2 shown]
	s_waitcnt lgkmcnt(2)
	v_perm_b32 v42, v94, v49, 0x5040100
	s_waitcnt lgkmcnt(1)
	v_perm_b32 v44, v100, v51, 0x5040100
	s_waitcnt lgkmcnt(0)
	v_perm_b32 v46, v106, v53, 0x5040100
	s_delay_alu instid0(VALU_DEP_1)
	v_wmma_f16_16x16x16_f16 v[8:15], v[40:47], v[32:39], v[8:15]
	v_perm_b32 v40, v70, v64, 0x7060302
	v_perm_b32 v41, v92, v90, 0x7060302
	;; [unrolled: 1-line block ×8, first 2 shown]
	ds_load_2addr_b32 v[63:64], v65 offset0:172 offset1:192
	v_wmma_f16_16x16x16_f16 v[8:15], v[40:47], v[32:39], v[8:15] op_sel:[0,0,1]
	scratch_load_b32 v46, off, off offset:728 ; 4-byte Folded Reload
	v_perm_b32 v40, v48, v50, 0x5040100
	v_perm_b32 v41, v54, v52, 0x5040100
	;; [unrolled: 1-line block ×4, first 2 shown]
	s_waitcnt lgkmcnt(0)
	v_perm_b32 v47, v63, v88, 0x5040100
	s_waitcnt vmcnt(0)
	ds_load_b32 v49, v46 offset:1088
	ds_load_b32 v51, v46 offset:2176
	;; [unrolled: 1-line block ×3, first 2 shown]
	s_waitcnt lgkmcnt(2)
	v_perm_b32 v42, v56, v49, 0x5040100
	s_waitcnt lgkmcnt(1)
	v_perm_b32 v44, v62, v51, 0x5040100
	;; [unrolled: 2-line block ×3, first 2 shown]
	s_delay_alu instid0(VALU_DEP_1)
	v_wmma_f16_16x16x16_f16 v[0:7], v[40:47], v[32:39], v[0:7]
	v_perm_b32 v40, v48, v50, 0x7060302
	v_perm_b32 v41, v54, v52, 0x7060302
	;; [unrolled: 1-line block ×8, first 2 shown]
	v_add_nc_u32_e32 v66, 0x3400, v252
	v_add_nc_u32_e32 v79, 0x4000, v252
	s_delay_alu instid0(VALU_DEP_3) | instskip(SKIP_1) | instid1(VALU_DEP_1)
	v_wmma_f16_16x16x16_f16 v[0:7], v[40:47], v[32:39], v[0:7] op_sel:[0,0,1]
	v_sub_f32_e32 v32, v78, v128
	v_mul_f32_e32 v33, 0x3fb8aa3b, v32
	v_cmp_ngt_f32_e64 s3, 0xc2ce8ed0, v32
	v_cmp_nlt_f32_e64 s4, 0x42b17218, v32
	s_delay_alu instid0(VALU_DEP_3) | instskip(SKIP_1) | instid1(VALU_DEP_1)
	v_fma_f32 v34, 0x3fb8aa3b, v32, -v33
	v_rndne_f32_e32 v35, v33
	v_dual_fmac_f32 v34, 0x32a5705f, v32 :: v_dual_sub_f32 v33, v33, v35
	v_cvt_i32_f32_e32 v35, v35
	s_delay_alu instid0(VALU_DEP_2) | instskip(SKIP_1) | instid1(VALU_DEP_2)
	v_add_f32_e32 v33, v33, v34
	v_sub_f32_e32 v34, v77, v128
	v_exp_f32_e32 v33, v33
	s_delay_alu instid0(VALU_DEP_1) | instskip(SKIP_2) | instid1(VALU_DEP_3)
	v_mul_f32_e32 v36, 0x3fb8aa3b, v34
	v_cmp_ngt_f32_e64 s5, 0xc2ce8ed0, v34
	v_cmp_nlt_f32_e64 s6, 0x42b17218, v34
	v_fma_f32 v37, 0x3fb8aa3b, v34, -v36
	v_rndne_f32_e32 v38, v36
	s_waitcnt_depctr 0xfff
	v_ldexp_f32 v33, v33, v35
	v_fmac_f32_e32 v37, 0x32a5705f, v34
	v_sub_f32_e32 v36, v36, v38
	v_cvt_i32_f32_e32 v35, v38
	v_add_nc_u32_e32 v38, 0x3e00, v252
	v_cndmask_b32_e64 v33, 0, v33, s3
	s_delay_alu instid0(VALU_DEP_4) | instskip(NEXT) | instid1(VALU_DEP_2)
	v_add_f32_e32 v36, v36, v37
	v_cndmask_b32_e64 v131, 0x7f800000, v33, s4
	s_delay_alu instid0(VALU_DEP_2) | instskip(SKIP_2) | instid1(VALU_DEP_1)
	v_exp_f32_e32 v32, v36
	s_waitcnt_depctr 0xfff
	v_ldexp_f32 v32, v32, v35
	v_cndmask_b32_e64 v32, 0, v32, s5
	s_delay_alu instid0(VALU_DEP_1)
	v_cndmask_b32_e64 v132, 0x7f800000, v32, s6
	ds_bpermute_b32 v32, v251, v131
	ds_bpermute_b32 v34, v251, v132
	s_waitcnt lgkmcnt(1)
	v_cndmask_b32_e32 v33, v131, v32, vcc_lo
	v_cndmask_b32_e64 v32, v131, v32, s0
	s_delay_alu instid0(VALU_DEP_2) | instskip(NEXT) | instid1(VALU_DEP_2)
	v_cndmask_b32_e64 v36, v33, v132, s2
	v_cndmask_b32_e64 v35, v32, v132, s1
	v_cvt_f16_f32_e32 v32, v32
	v_cvt_f16_f32_e32 v33, v33
	s_waitcnt lgkmcnt(0)
	s_delay_alu instid0(VALU_DEP_3) | instskip(SKIP_1) | instid1(VALU_DEP_3)
	v_cndmask_b32_e64 v35, v35, v34, s0
	v_cndmask_b32_e32 v34, v36, v34, vcc_lo
	v_pack_b32_f16 v96, v32, v33
	v_sub_f32_e32 v32, v76, v128
	s_delay_alu instid0(VALU_DEP_4) | instskip(NEXT) | instid1(VALU_DEP_4)
	v_cvt_f16_f32_e32 v36, v35
	v_cvt_f16_f32_e32 v37, v34
	s_delay_alu instid0(VALU_DEP_3) | instskip(SKIP_2) | instid1(VALU_DEP_4)
	v_mul_f32_e32 v33, 0x3fb8aa3b, v32
	v_cmp_ngt_f32_e64 s3, 0xc2ce8ed0, v32
	v_cmp_nlt_f32_e64 s4, 0x42b17218, v32
	v_pack_b32_f16 v97, v36, v37
	s_delay_alu instid0(VALU_DEP_4) | instskip(SKIP_1) | instid1(VALU_DEP_1)
	v_fma_f32 v36, 0x3fb8aa3b, v32, -v33
	v_rndne_f32_e32 v37, v33
	v_dual_fmac_f32 v36, 0x32a5705f, v32 :: v_dual_sub_f32 v33, v33, v37
	s_delay_alu instid0(VALU_DEP_1) | instskip(SKIP_1) | instid1(VALU_DEP_2)
	v_add_f32_e32 v33, v33, v36
	v_cvt_i32_f32_e32 v36, v37
	v_exp_f32_e32 v33, v33
	s_waitcnt_depctr 0xfff
	v_ldexp_f32 v33, v33, v36
	s_delay_alu instid0(VALU_DEP_1) | instskip(NEXT) | instid1(VALU_DEP_1)
	v_cndmask_b32_e64 v32, 0, v33, s3
	v_cndmask_b32_e64 v133, 0x7f800000, v32, s4
	s_delay_alu instid0(VALU_DEP_1) | instskip(SKIP_3) | instid1(VALU_DEP_1)
	v_cndmask_b32_e64 v33, v34, v133, s2
	ds_bpermute_b32 v34, v251, v133
	v_cndmask_b32_e64 v32, v35, v133, s1
	s_waitcnt lgkmcnt(0)
	v_cndmask_b32_e64 v32, v32, v34, s0
	v_cndmask_b32_e32 v33, v33, v34, vcc_lo
	s_delay_alu instid0(VALU_DEP_2) | instskip(NEXT) | instid1(VALU_DEP_2)
	v_cvt_f16_f32_e32 v34, v32
	v_cvt_f16_f32_e32 v35, v33
	s_delay_alu instid0(VALU_DEP_1) | instskip(SKIP_1) | instid1(VALU_DEP_1)
	v_pack_b32_f16 v98, v34, v35
	v_sub_f32_e32 v34, v75, v128
	v_mul_f32_e32 v35, 0x3fb8aa3b, v34
	v_cmp_ngt_f32_e64 s3, 0xc2ce8ed0, v34
	v_cmp_nlt_f32_e64 s4, 0x42b17218, v34
	s_delay_alu instid0(VALU_DEP_3) | instskip(SKIP_1) | instid1(VALU_DEP_1)
	v_fma_f32 v36, 0x3fb8aa3b, v34, -v35
	v_rndne_f32_e32 v37, v35
	v_dual_fmac_f32 v36, 0x32a5705f, v34 :: v_dual_sub_f32 v35, v35, v37
	s_delay_alu instid0(VALU_DEP_1) | instskip(SKIP_1) | instid1(VALU_DEP_2)
	v_add_f32_e32 v35, v35, v36
	v_cvt_i32_f32_e32 v36, v37
	v_exp_f32_e32 v35, v35
	s_waitcnt_depctr 0xfff
	v_ldexp_f32 v35, v35, v36
	s_delay_alu instid0(VALU_DEP_1) | instskip(NEXT) | instid1(VALU_DEP_1)
	v_cndmask_b32_e64 v34, 0, v35, s3
	v_cndmask_b32_e64 v134, 0x7f800000, v34, s4
	ds_bpermute_b32 v34, v251, v134
	v_cndmask_b32_e64 v32, v32, v134, s1
	v_cndmask_b32_e64 v33, v33, v134, s2
	s_waitcnt lgkmcnt(0)
	s_delay_alu instid0(VALU_DEP_2) | instskip(NEXT) | instid1(VALU_DEP_2)
	v_cndmask_b32_e64 v32, v32, v34, s0
	v_cndmask_b32_e32 v33, v33, v34, vcc_lo
	s_delay_alu instid0(VALU_DEP_2) | instskip(NEXT) | instid1(VALU_DEP_2)
	v_cvt_f16_f32_e32 v34, v32
	v_cvt_f16_f32_e32 v35, v33
	s_delay_alu instid0(VALU_DEP_1) | instskip(SKIP_1) | instid1(VALU_DEP_1)
	v_pack_b32_f16 v99, v34, v35
	v_sub_f32_e32 v34, v74, v128
	v_mul_f32_e32 v35, 0x3fb8aa3b, v34
	v_cmp_ngt_f32_e64 s3, 0xc2ce8ed0, v34
	v_cmp_nlt_f32_e64 s4, 0x42b17218, v34
	s_delay_alu instid0(VALU_DEP_3) | instskip(SKIP_1) | instid1(VALU_DEP_1)
	v_fma_f32 v36, 0x3fb8aa3b, v34, -v35
	v_rndne_f32_e32 v37, v35
	v_dual_fmac_f32 v36, 0x32a5705f, v34 :: v_dual_sub_f32 v35, v35, v37
	s_delay_alu instid0(VALU_DEP_1) | instskip(SKIP_1) | instid1(VALU_DEP_2)
	v_add_f32_e32 v35, v35, v36
	v_cvt_i32_f32_e32 v36, v37
	v_exp_f32_e32 v35, v35
	s_waitcnt_depctr 0xfff
	v_ldexp_f32 v35, v35, v36
	s_delay_alu instid0(VALU_DEP_1) | instskip(NEXT) | instid1(VALU_DEP_1)
	v_cndmask_b32_e64 v34, 0, v35, s3
	v_cndmask_b32_e64 v135, 0x7f800000, v34, s4
	ds_bpermute_b32 v34, v251, v135
	v_cndmask_b32_e64 v32, v32, v135, s1
	v_cndmask_b32_e64 v33, v33, v135, s2
	s_waitcnt lgkmcnt(0)
	s_delay_alu instid0(VALU_DEP_2) | instskip(NEXT) | instid1(VALU_DEP_2)
	;; [unrolled: 29-line block ×4, first 2 shown]
	v_cndmask_b32_e64 v32, v32, v34, s0
	v_cndmask_b32_e32 v33, v33, v34, vcc_lo
	s_delay_alu instid0(VALU_DEP_2) | instskip(NEXT) | instid1(VALU_DEP_2)
	v_cvt_f16_f32_e32 v34, v32
	v_cvt_f16_f32_e32 v35, v33
	s_delay_alu instid0(VALU_DEP_1) | instskip(SKIP_2) | instid1(VALU_DEP_2)
	v_pack_b32_f16 v102, v34, v35
	v_sub_f32_e32 v34, v73, v128
	v_add_nc_u32_e32 v73, 0x3c00, v252
	v_mul_f32_e32 v35, 0x3fb8aa3b, v34
	v_cmp_ngt_f32_e64 s3, 0xc2ce8ed0, v34
	v_cmp_nlt_f32_e64 s4, 0x42b17218, v34
	s_delay_alu instid0(VALU_DEP_3) | instskip(SKIP_1) | instid1(VALU_DEP_1)
	v_fma_f32 v36, 0x3fb8aa3b, v34, -v35
	v_rndne_f32_e32 v37, v35
	v_dual_fmac_f32 v36, 0x32a5705f, v34 :: v_dual_sub_f32 v35, v35, v37
	s_delay_alu instid0(VALU_DEP_1) | instskip(SKIP_1) | instid1(VALU_DEP_2)
	v_add_f32_e32 v35, v35, v36
	v_cvt_i32_f32_e32 v36, v37
	v_exp_f32_e32 v35, v35
	s_waitcnt_depctr 0xfff
	v_ldexp_f32 v35, v35, v36
	v_add_nc_u32_e32 v36, 0x3a00, v252
	s_delay_alu instid0(VALU_DEP_2) | instskip(NEXT) | instid1(VALU_DEP_1)
	v_cndmask_b32_e64 v34, 0, v35, s3
	v_cndmask_b32_e64 v138, 0x7f800000, v34, s4
	ds_bpermute_b32 v34, v251, v138
	v_cndmask_b32_e64 v32, v32, v138, s1
	v_cndmask_b32_e64 v33, v33, v138, s2
	s_waitcnt lgkmcnt(0)
	s_delay_alu instid0(VALU_DEP_2) | instskip(NEXT) | instid1(VALU_DEP_2)
	v_cndmask_b32_e64 v32, v32, v34, s0
	v_dual_cndmask_b32 v33, v33, v34 :: v_dual_add_nc_u32 v34, 0x3600, v252
	s_delay_alu instid0(VALU_DEP_2) | instskip(NEXT) | instid1(VALU_DEP_2)
	v_cvt_f16_f32_e32 v32, v32
	v_cvt_f16_f32_e32 v33, v33
	s_delay_alu instid0(VALU_DEP_1)
	v_pack_b32_f16 v103, v32, v33
	v_add_nc_u32_e32 v32, 0x3200, v252
	ds_load_2addr_b32 v[40:41], v32 offset0:112 offset1:132
	ds_load_2addr_b32 v[42:43], v66 offset0:52 offset1:72
	;; [unrolled: 1-line block ×3, first 2 shown]
	scratch_load_b32 v39, off, off offset:668 ; 4-byte Folded Reload
	s_waitcnt vmcnt(0)
	ds_load_b32 v67, v39 offset:1088
	ds_load_2addr_b32 v[48:49], v34 offset0:60 offset1:148
	ds_load_2addr_b32 v[46:47], v69 offset0:68 offset1:88
	ds_load_2addr_b32 v[50:51], v69 offset0:136 offset1:156
	ds_load_b32 v68, v39 offset:2176
	ds_load_2addr_b32 v[54:55], v36 offset0:76 offset1:164
	ds_load_2addr_b32 v[52:53], v73 offset0:84 offset1:104
	ds_load_2addr_b32 v[56:57], v73 offset0:152 offset1:172
	;; [unrolled: 4-line block ×3, first 2 shown]
	s_waitcnt lgkmcnt(14)
	v_perm_b32 v32, v41, v64, 0x5040100
	s_waitcnt lgkmcnt(12)
	v_perm_b32 v33, v45, v43, 0x5040100
	v_perm_b32 v104, v42, v40, 0x5040100
	s_waitcnt lgkmcnt(10)
	v_perm_b32 v34, v49, v67, 0x5040100
	s_waitcnt lgkmcnt(8)
	;; [unrolled: 2-line block ×6, first 2 shown]
	v_perm_b32 v39, v59, v61, 0x5040100
	v_perm_b32 v105, v48, v44, 0x5040100
	;; [unrolled: 1-line block ×4, first 2 shown]
	s_delay_alu instid0(VALU_DEP_4)
	v_wmma_f16_16x16x16_f16 v[24:31], v[32:39], v[96:103], v[24:31]
	v_perm_b32 v32, v41, v64, 0x7060302
	v_perm_b32 v34, v49, v67, 0x7060302
	;; [unrolled: 1-line block ×8, first 2 shown]
	s_delay_alu instid0(VALU_DEP_1)
	v_wmma_f16_16x16x16_f16 v[24:31], v[32:39], v[96:103], v[24:31] op_sel:[0,0,1]
	ds_load_2addr_b32 v[34:35], v65 offset0:208 offset1:224
	ds_load_2addr_b32 v[36:37], v66 offset0:20 offset1:36
	ds_load_2addr_b32 v[38:39], v66 offset0:88 offset1:104
	ds_load_2addr_b32 v[63:64], v66 offset0:156 offset1:172
	scratch_load_b32 v45, off, off offset:692 ; 4-byte Folded Reload
	s_waitcnt vmcnt(0)
	ds_load_b32 v41, v45 offset:1088
	ds_load_2addr_b32 v[32:33], v69 offset0:36 offset1:52
	ds_load_2addr_b32 v[67:68], v69 offset0:104 offset1:120
	ds_load_2addr_b32 v[69:70], v69 offset0:172 offset1:188
	ds_load_b32 v43, v45 offset:2176
	ds_load_2addr_b32 v[65:66], v73 offset0:52 offset1:68
	ds_load_2addr_b32 v[71:72], v73 offset0:120 offset1:136
	ds_load_2addr_b32 v[73:74], v73 offset0:188 offset1:204
	;; [unrolled: 4-line block ×3, first 2 shown]
	s_waitcnt lgkmcnt(14)
	v_perm_b32 v88, v36, v34, 0x5040100
	s_waitcnt lgkmcnt(12)
	v_perm_b32 v89, v63, v38, 0x5040100
	;; [unrolled: 2-line block ×8, first 2 shown]
	s_delay_alu instid0(VALU_DEP_1)
	v_wmma_f16_16x16x16_f16 v[16:23], v[88:95], v[96:103], v[16:23]
	v_perm_b32 v88, v36, v34, 0x7060302
	scratch_load_b32 v36, off, off offset:716 ; 4-byte Folded Reload
	v_perm_b32 v90, v32, v41, 0x7060302
	v_perm_b32 v94, v75, v45, 0x7060302
	;; [unrolled: 1-line block ×7, first 2 shown]
	scratch_load_b32 v43, off, off offset:732 ; 4-byte Folded Reload
	v_perm_b32 v65, v48, v44, 0x7060302
	v_perm_b32 v67, v54, v50, 0x7060302
	;; [unrolled: 1-line block ×3, first 2 shown]
	v_wmma_f16_16x16x16_f16 v[16:23], v[88:95], v[96:103], v[16:23] op_sel:[0,0,1]
	v_perm_b32 v88, v37, v35, 0x5040100
	v_perm_b32 v89, v64, v39, 0x5040100
	ds_load_b32 v45, v252 offset:17328
	v_perm_b32 v91, v70, v68, 0x5040100
	v_perm_b32 v93, v74, v72, 0x5040100
	;; [unrolled: 1-line block ×3, first 2 shown]
	s_waitcnt lgkmcnt(0)
	v_perm_b32 v111, v45, v58, 0x5040100
	v_perm_b32 v71, v45, v58, 0x7060302
	s_waitcnt vmcnt(1)
	ds_load_b32 v32, v36 offset:1088
	ds_load_b32 v34, v36 offset:2176
	;; [unrolled: 1-line block ×3, first 2 shown]
	s_waitcnt lgkmcnt(2)
	v_perm_b32 v90, v33, v32, 0x5040100
	s_waitcnt lgkmcnt(1)
	v_perm_b32 v92, v66, v34, 0x5040100
	;; [unrolled: 2-line block ×3, first 2 shown]
	s_delay_alu instid0(VALU_DEP_1)
	v_wmma_f16_16x16x16_f16 v[8:15], v[88:95], v[96:103], v[8:15]
	v_perm_b32 v90, v33, v32, 0x7060302
	v_add_f32_e32 v32, v81, v82
	v_perm_b32 v88, v37, v35, 0x7060302
	v_perm_b32 v89, v64, v39, 0x7060302
	;; [unrolled: 1-line block ×4, first 2 shown]
	v_add_f32_e32 v32, v83, v32
	v_perm_b32 v95, v80, v78, 0x7060302
	v_perm_b32 v64, v42, v40, 0x7060302
	;; [unrolled: 1-line block ×4, first 2 shown]
	v_add_f32_e32 v32, v84, v32
	s_delay_alu instid0(VALU_DEP_2) | instskip(NEXT) | instid1(VALU_DEP_2)
	v_wmma_f16_16x16x16_f16 v[8:15], v[88:95], v[96:103], v[8:15] op_sel:[0,0,1]
	v_add_f32_e32 v32, v85, v32
	s_delay_alu instid0(VALU_DEP_1) | instskip(NEXT) | instid1(VALU_DEP_1)
	v_add_f32_e32 v32, v86, v32
	v_add_f32_e32 v32, v87, v32
	s_delay_alu instid0(VALU_DEP_1) | instskip(NEXT) | instid1(VALU_DEP_1)
	v_add_f32_e32 v32, v113, v32
	;; [unrolled: 3-line block ×13, first 2 shown]
	v_add_f32_e32 v32, v137, v32
	s_delay_alu instid0(VALU_DEP_1)
	v_add_f32_e32 v129, v138, v32
	scratch_load_b32 v32, off, off offset:128 ; 4-byte Folded Reload
	s_waitcnt vmcnt(1)
	ds_load_b32 v38, v43 offset:1088
	ds_load_b32 v41, v43 offset:2176
	;; [unrolled: 1-line block ×3, first 2 shown]
	s_waitcnt lgkmcnt(2)
	v_perm_b32 v106, v46, v38, 0x5040100
	s_waitcnt lgkmcnt(1)
	v_perm_b32 v108, v52, v41, 0x5040100
	s_waitcnt lgkmcnt(0)
	v_perm_b32 v110, v60, v43, 0x5040100
	v_perm_b32 v66, v46, v38, 0x7060302
	v_perm_b32 v68, v52, v41, 0x7060302
	;; [unrolled: 1-line block ×3, first 2 shown]
	s_delay_alu instid0(VALU_DEP_4) | instskip(NEXT) | instid1(VALU_DEP_1)
	v_wmma_f16_16x16x16_f16 v[0:7], v[104:111], v[96:103], v[0:7]
	v_wmma_f16_16x16x16_f16 v[0:7], v[64:71], v[96:103], v[0:7] op_sel:[0,0,1]
	s_waitcnt vmcnt(0)
	v_fmac_f32_e32 v129, v32, v112
	scratch_load_b32 v32, off, off offset:612 ; 4-byte Folded Reload
	s_waitcnt vmcnt(0)
	s_barrier
	buffer_gl0_inv
	v_cmp_lt_i32_e32 vcc_lo, s14, v32
	s_cbranch_vccz .LBB25_1072
; %bb.1071:                             ;   in Loop: Header=BB25_942 Depth=1
	s_clause 0x1
	scratch_store_b32 off, v129, off offset:128
	scratch_store_b32 off, v128, off offset:160
	s_branch .LBB25_942
.LBB25_1072:
	s_clause 0x6
	scratch_load_b64 v[32:33], off, off offset:572
	scratch_load_b64 v[50:51], off, off offset:812
	scratch_load_b32 v68, off, off offset:820
	scratch_load_b64 v[34:35], off, off offset:548
	scratch_load_b64 v[38:39], off, off offset:532
	;; [unrolled: 1-line block ×4, first 2 shown]
	s_lshl_b32 s8, s14, 6
	v_dual_mov_b32 v130, v232 :: v_dual_mov_b32 v135, v237
	s_ashr_i32 s9, s8, 31
	v_dual_mov_b32 v146, v224 :: v_dual_mov_b32 v151, v229
	s_lshl_b64 s[0:1], s[8:9], 1
	v_dual_mov_b32 v138, v216 :: v_dual_mov_b32 v143, v221
	s_add_u32 s0, s25, s0
	s_addc_u32 s1, s26, s1
	v_dual_mov_b32 v132, v234 :: v_dual_mov_b32 v137, v239
	v_dual_mov_b32 v134, v236 :: v_dual_mov_b32 v147, v225
	;; [unrolled: 1-line block ×7, first 2 shown]
	v_mov_b32_e32 v142, v220
	v_mov_b32_e32 v144, v222
                                        ; implicit-def: $vgpr253
	scratch_load_b64 v[44:45], off, off offset:588 ; 8-byte Folded Reload
	v_mov_b32_e32 v131, v233
	v_mov_b32_e32 v133, v235
	s_waitcnt vmcnt(7)
	v_lshlrev_b64 v[32:33], 1, v[32:33]
	s_waitcnt vmcnt(6)
	v_lshlrev_b64 v[249:250], 2, v[50:51]
	s_waitcnt vmcnt(5)
	v_add_co_u32 v42, s0, s0, v68
	s_delay_alu instid0(VALU_DEP_1) | instskip(SKIP_2) | instid1(VALU_DEP_3)
	v_add_co_ci_u32_e64 v43, null, s1, 0, s0
	s_waitcnt vmcnt(4)
	v_lshlrev_b64 v[34:35], 1, v[34:35]
	v_add_co_u32 v32, vcc_lo, v42, v32
	s_waitcnt vmcnt(1)
	v_lshlrev_b64 v[36:37], 1, v[36:37]
	v_add_co_ci_u32_e32 v33, vcc_lo, v43, v33, vcc_lo
	s_delay_alu instid0(VALU_DEP_4) | instskip(SKIP_4) | instid1(VALU_DEP_4)
	v_add_co_u32 v34, vcc_lo, v42, v34
	v_lshlrev_b64 v[38:39], 1, v[38:39]
	v_add_co_ci_u32_e32 v35, vcc_lo, v43, v35, vcc_lo
	v_add_co_u32 v36, vcc_lo, v42, v36
	v_add_co_ci_u32_e32 v37, vcc_lo, v43, v37, vcc_lo
	v_add_co_u32 v38, vcc_lo, v42, v38
	v_add_co_ci_u32_e32 v39, vcc_lo, v43, v39, vcc_lo
	scratch_load_b64 v[42:43], off, off offset:556 ; 8-byte Folded Reload
	s_mul_i32 s0, s12, s9
	s_mul_hi_u32 s1, s12, s8
	v_lshlrev_b64 v[40:41], 2, v[40:41]
	s_add_i32 s0, s1, s0
	s_mul_i32 s1, s7, s8
	s_delay_alu instid0(SALU_CYCLE_1) | instskip(SKIP_4) | instid1(SALU_CYCLE_1)
	s_add_i32 s1, s0, s1
	s_mul_i32 s0, s12, s8
	s_waitcnt vmcnt(1)
	v_lshlrev_b64 v[44:45], 2, v[44:45]
	s_lshl_b64 s[0:1], s[0:1], 2
	s_add_u32 s0, s15, s0
	s_addc_u32 s1, s24, s1
	v_add_co_u32 v40, vcc_lo, s0, v40
	v_add_co_ci_u32_e32 v41, vcc_lo, s1, v41, vcc_lo
	s_waitcnt vmcnt(0)
	v_lshlrev_b64 v[42:43], 2, v[42:43]
	s_delay_alu instid0(VALU_DEP_1) | instskip(NEXT) | instid1(VALU_DEP_2)
	v_add_co_u32 v42, vcc_lo, s0, v42
	v_add_co_ci_u32_e32 v43, vcc_lo, s1, v43, vcc_lo
	v_add_co_u32 v40, vcc_lo, v40, v249
	v_add_co_ci_u32_e32 v41, vcc_lo, v41, v250, vcc_lo
	s_delay_alu instid0(VALU_DEP_4) | instskip(NEXT) | instid1(VALU_DEP_4)
	v_add_co_u32 v42, vcc_lo, v42, v249
	v_add_co_ci_u32_e32 v43, vcc_lo, v43, v250, vcc_lo
	s_clause 0x3
	global_load_b32 v64, v[32:33], off
	global_load_b32 v65, v[34:35], off
	;; [unrolled: 1-line block ×4, first 2 shown]
	s_clause 0x1
	global_load_b128 v[32:35], v[40:41], off
	global_load_b128 v[36:39], v[42:43], off
	scratch_load_b64 v[40:41], off, off offset:540 ; 8-byte Folded Reload
	v_add_co_u32 v42, vcc_lo, s0, v44
	v_add_co_ci_u32_e32 v43, vcc_lo, s1, v45, vcc_lo
	s_delay_alu instid0(VALU_DEP_2) | instskip(NEXT) | instid1(VALU_DEP_2)
	v_add_co_u32 v42, vcc_lo, v42, v249
	v_add_co_ci_u32_e32 v43, vcc_lo, v43, v250, vcc_lo
	s_waitcnt vmcnt(0)
	v_lshlrev_b64 v[40:41], 2, v[40:41]
	s_delay_alu instid0(VALU_DEP_1) | instskip(NEXT) | instid1(VALU_DEP_2)
	v_add_co_u32 v44, vcc_lo, s0, v40
	v_add_co_ci_u32_e32 v45, vcc_lo, s1, v41, vcc_lo
	scratch_load_b64 v[40:41], off, off offset:564 ; 8-byte Folded Reload
	v_add_co_u32 v44, vcc_lo, v44, v249
	v_add_co_ci_u32_e32 v45, vcc_lo, v45, v250, vcc_lo
	s_waitcnt vmcnt(0)
	v_lshlrev_b64 v[40:41], 2, v[40:41]
	s_delay_alu instid0(VALU_DEP_1) | instskip(NEXT) | instid1(VALU_DEP_2)
	v_add_co_u32 v46, vcc_lo, s0, v40
	v_add_co_ci_u32_e32 v47, vcc_lo, s1, v41, vcc_lo
	scratch_load_b64 v[40:41], off, off offset:580 ; 8-byte Folded Reload
	;; [unrolled: 8-line block ×3, first 2 shown]
	v_add_co_u32 v52, vcc_lo, v46, v249
	v_add_co_ci_u32_e32 v53, vcc_lo, v47, v250, vcc_lo
	scratch_load_b64 v[46:47], off, off offset:604 ; 8-byte Folded Reload
	s_waitcnt vmcnt(1)
	v_lshlrev_b64 v[40:41], 2, v[40:41]
	s_waitcnt vmcnt(0)
	v_lshlrev_b64 v[46:47], 2, v[46:47]
	s_delay_alu instid0(VALU_DEP_2) | instskip(NEXT) | instid1(VALU_DEP_3)
	v_add_co_u32 v40, vcc_lo, s0, v40
	v_add_co_ci_u32_e32 v41, vcc_lo, s1, v41, vcc_lo
	s_delay_alu instid0(VALU_DEP_3) | instskip(NEXT) | instid1(VALU_DEP_4)
	v_add_co_u32 v46, vcc_lo, s0, v46
	v_add_co_ci_u32_e32 v47, vcc_lo, s1, v47, vcc_lo
	s_delay_alu instid0(VALU_DEP_4) | instskip(NEXT) | instid1(VALU_DEP_4)
	v_add_co_u32 v56, vcc_lo, v40, v249
	v_add_co_ci_u32_e32 v57, vcc_lo, v41, v250, vcc_lo
	s_delay_alu instid0(VALU_DEP_4)
	v_add_co_u32 v60, vcc_lo, v46, v249
	s_mov_b32 s0, 0
	v_add_co_ci_u32_e32 v61, vcc_lo, v47, v250, vcc_lo
	s_mov_b32 s1, s0
	s_mov_b32 s2, s0
	;; [unrolled: 1-line block ×7, first 2 shown]
	v_lshlrev_b32_e32 v58, 2, v50
	s_clause 0x3
	global_load_b128 v[40:43], v[42:43], off
	global_load_b128 v[44:47], v[44:45], off
	;; [unrolled: 1-line block ×4, first 2 shown]
	scratch_load_b32 v59, off, off offset:1052 ; 4-byte Folded Reload
	v_add_nc_u32_e32 v248, 0, v68
	s_waitcnt vmcnt(0)
	v_add3_u32 v252, 0, v59, v58
	scratch_load_b32 v59, off, off offset:1060 ; 4-byte Folded Reload
	s_waitcnt vmcnt(0)
	v_add3_u32 v251, 0, v59, v58
	scratch_load_b32 v59, off, off offset:1068 ; 4-byte Folded Reload
	s_waitcnt vmcnt(0)
	v_add3_u32 v73, 0, v59, v58
	scratch_load_b32 v59, off, off offset:1076 ; 4-byte Folded Reload
	s_waitcnt vmcnt(0)
	v_add3_u32 v72, 0, v59, v58
	scratch_load_b32 v59, off, off offset:1084 ; 4-byte Folded Reload
	s_waitcnt vmcnt(0)
	v_add3_u32 v157, 0, v59, v58
	scratch_load_b32 v59, off, off offset:1092 ; 4-byte Folded Reload
	s_waitcnt vmcnt(0)
	v_add3_u32 v155, 0, v59, v58
	scratch_load_b32 v59, off, off offset:1100 ; 4-byte Folded Reload
	s_waitcnt vmcnt(0)
	v_add3_u32 v156, 0, v59, v58
	scratch_load_b32 v59, off, off offset:1108 ; 4-byte Folded Reload
	s_waitcnt vmcnt(0)
	v_add3_u32 v154, 0, v59, v58
	s_clause 0x1
	global_load_b128 v[56:59], v[56:57], off
	global_load_b128 v[60:63], v[60:61], off
	s_clause 0x3
	scratch_load_b32 v68, off, off offset:920
	scratch_load_b32 v69, off, off offset:952
	;; [unrolled: 1-line block ×4, first 2 shown]
	s_waitcnt vmcnt(3)
	v_add_nc_u32_e32 v68, v248, v68
	s_waitcnt vmcnt(2)
	v_add_nc_u32_e32 v69, v248, v69
	;; [unrolled: 2-line block ×4, first 2 shown]
	ds_store_b32 v68, v64 offset:17408
	ds_store_b32 v69, v65 offset:17408
	;; [unrolled: 1-line block ×4, first 2 shown]
	ds_store_b128 v252, v[32:35]
	ds_store_b128 v251, v[36:39]
	s_clause 0x1
	scratch_store_b32 off, v73, off offset:192
	scratch_store_b32 off, v72, off offset:160
	ds_store_b128 v73, v[40:43]
	ds_store_b128 v72, v[44:47]
	;; [unrolled: 1-line block ×6, first 2 shown]
	s_waitcnt lgkmcnt(0)
	s_waitcnt_vscnt null, 0x0
	s_barrier
	buffer_gl0_inv
	ds_load_b128 v[32:35], v254
	ds_load_b128 v[36:39], v254 offset:16
	ds_load_b128 v[40:43], v254 offset:32
	;; [unrolled: 1-line block ×7, first 2 shown]
	s_clause 0x1
	scratch_store_b128 off, v[240:243], off offset:96
	scratch_store_b128 off, v[244:247], off offset:112
	v_dual_mov_b32 v63, s7 :: v_dual_mov_b32 v62, s6
	v_dual_mov_b32 v61, s5 :: v_dual_mov_b32 v60, s4
	;; [unrolled: 1-line block ×4, first 2 shown]
	s_waitcnt lgkmcnt(6)
	s_delay_alu instid0(VALU_DEP_1)
	v_wmma_f32_16x16x16_f16 v[104:111], v[32:39], v[240:247], v[56:63]
	ds_load_b128 v[32:35], v254 offset:128
	ds_load_b128 v[36:39], v254 offset:144
	s_waitcnt lgkmcnt(6)
	v_wmma_f32_16x16x16_f16 v[104:111], v[40:47], v[232:239], v[104:111]
	ds_load_b128 v[40:43], v254 offset:160
	ds_load_b128 v[44:47], v254 offset:176
	s_waitcnt lgkmcnt(6)
	v_wmma_f32_16x16x16_f16 v[104:111], v[48:55], v[224:231], v[104:111]
	ds_load_b128 v[48:51], v254 offset:192
	ds_load_b128 v[52:55], v254 offset:208
	;; [unrolled: 1-line block ×4, first 2 shown]
	s_waitcnt lgkmcnt(8)
	v_wmma_f32_16x16x16_f16 v[104:111], v[64:71], v[216:223], v[104:111]
	s_clause 0x1
	scratch_load_b128 v[64:67], off, off offset:32
	scratch_load_b128 v[68:71], off, off offset:48
	s_clause 0x1
	scratch_store_b128 off, v[200:203], off offset:128
	scratch_store_b128 off, v[204:207], off offset:144
	ds_load_b128 v[80:83], v254 offset:4352
	ds_load_b128 v[84:87], v254 offset:4368
	s_clause 0x1
	scratch_store_b128 off, v[192:195], off offset:64
	scratch_store_b128 off, v[196:199], off offset:80
	s_waitcnt vmcnt(0) lgkmcnt(8)
	v_wmma_f32_16x16x16_f16 v[104:111], v[32:39], v[64:71], v[104:111]
	ds_load_b128 v[72:75], v254 offset:4384
	ds_load_b128 v[76:79], v254 offset:4400
	;; [unrolled: 1-line block ×4, first 2 shown]
	s_clause 0x1
	scratch_load_b128 v[32:35], off, off
	scratch_load_b128 v[36:39], off, off offset:16
	s_waitcnt lgkmcnt(10)
	v_wmma_f32_16x16x16_f16 v[104:111], v[40:47], v[200:207], v[104:111]
	s_waitcnt lgkmcnt(8)
	s_delay_alu instid0(VALU_DEP_1) | instskip(SKIP_1) | instid1(VALU_DEP_1)
	v_wmma_f32_16x16x16_f16 v[104:111], v[48:55], v[192:199], v[104:111]
	s_waitcnt vmcnt(0) lgkmcnt(6)
	v_wmma_f32_16x16x16_f16 v[104:111], v[56:63], v[32:39], v[104:111]
	ds_load_b128 v[56:59], v254 offset:4448
	ds_load_b128 v[60:63], v254 offset:4464
	;; [unrolled: 1-line block ×34, first 2 shown]
	s_waitcnt lgkmcnt(0)
	s_clause 0x1
	scratch_store_b128 off, v[88:91], off offset:320
	scratch_store_b128 off, v[92:95], off offset:336
	ds_load_b128 v[88:91], v254 offset:13184
	ds_load_b128 v[92:95], v254 offset:13200
	s_waitcnt lgkmcnt(0)
	s_clause 0x1
	scratch_store_b128 off, v[88:91], off offset:352
	scratch_store_b128 off, v[92:95], off offset:368
	ds_load_b128 v[88:91], v254 offset:13216
	ds_load_b128 v[92:95], v254 offset:13232
	;; [unrolled: 6-line block ×4, first 2 shown]
	v_cmp_ngt_f32_e64 s9, 0x3f200000, |v104|
	s_waitcnt lgkmcnt(0)
	s_clause 0x1
	scratch_store_b128 off, v[88:91], off offset:224
	scratch_store_b128 off, v[92:95], off offset:240
	s_waitcnt_vscnt null, 0x0
	s_barrier
	buffer_gl0_inv
	s_and_saveexec_b32 s12, s9
	s_delay_alu instid0(SALU_CYCLE_1)
	s_xor_b32 s9, exec_lo, s12
	s_cbranch_execz .LBB25_1074
; %bb.1073:
	v_add_f32_e64 v88, |v104|, |v104|
	s_delay_alu instid0(VALU_DEP_1) | instskip(SKIP_1) | instid1(VALU_DEP_2)
	v_mul_f32_e32 v89, 0x3fb8aa3b, v88
	v_cmp_ngt_f32_e32 vcc_lo, 0xc2ce8ed0, v88
	v_rndne_f32_e32 v90, v89
	v_fma_f32 v91, 0x3fb8aa3b, v88, -v89
	s_delay_alu instid0(VALU_DEP_2) | instskip(NEXT) | instid1(VALU_DEP_2)
	v_sub_f32_e32 v89, v89, v90
	v_fmamk_f32 v91, v88, 0x32a5705f, v91
	v_cvt_i32_f32_e32 v90, v90
	s_delay_alu instid0(VALU_DEP_2) | instskip(NEXT) | instid1(VALU_DEP_1)
	v_add_f32_e32 v89, v89, v91
	v_exp_f32_e32 v89, v89
	s_waitcnt_depctr 0xfff
	v_ldexp_f32 v89, v89, v90
	s_delay_alu instid0(VALU_DEP_1) | instskip(SKIP_1) | instid1(VALU_DEP_2)
	v_cndmask_b32_e32 v89, 0, v89, vcc_lo
	v_cmp_nlt_f32_e32 vcc_lo, 0x42b17218, v88
	v_cndmask_b32_e32 v88, 0x7f800000, v89, vcc_lo
	s_delay_alu instid0(VALU_DEP_1) | instskip(NEXT) | instid1(VALU_DEP_1)
	v_add_f32_e32 v88, 1.0, v88
	v_rcp_f32_e32 v88, v88
	s_waitcnt_depctr 0xfff
	v_fma_f32 v253, v88, -2.0, 1.0
.LBB25_1074:
	s_or_saveexec_b32 s9, s9
	v_readlane_b32 s15, v255, 8
	s_xor_b32 exec_lo, exec_lo, s9
; %bb.1075:
	v_mul_f32_e32 v88, v104, v104
	s_mov_b32 s12, 0xbbbac73d
	s_delay_alu instid0(VALU_DEP_1) | instid1(SALU_CYCLE_1)
	v_fmaak_f32 v89, s12, v88, 0x3ca908c9
	s_delay_alu instid0(VALU_DEP_1) | instskip(NEXT) | instid1(VALU_DEP_1)
	v_fmaak_f32 v89, v88, v89, 0xbd5c1c4e
	v_fmaak_f32 v89, v88, v89, 0x3e088382
	s_delay_alu instid0(VALU_DEP_1) | instskip(NEXT) | instid1(VALU_DEP_1)
	v_fmaak_f32 v89, v88, v89, 0xbeaaaa99
	v_mul_f32_e64 v89, |v104|, v89
	s_delay_alu instid0(VALU_DEP_1)
	v_fma_f32 v253, v88, v89, |v104|
; %bb.1076:
	s_or_b32 exec_lo, exec_lo, s9
	v_cmp_ngt_f32_e64 s9, 0x3f200000, |v105|
                                        ; implicit-def: $vgpr254
	s_delay_alu instid0(VALU_DEP_1) | instskip(NEXT) | instid1(SALU_CYCLE_1)
	s_and_saveexec_b32 s12, s9
	s_xor_b32 s9, exec_lo, s12
	s_cbranch_execz .LBB25_1078
; %bb.1077:
	v_add_f32_e64 v88, |v105|, |v105|
	s_delay_alu instid0(VALU_DEP_1) | instskip(SKIP_1) | instid1(VALU_DEP_2)
	v_mul_f32_e32 v89, 0x3fb8aa3b, v88
	v_cmp_ngt_f32_e32 vcc_lo, 0xc2ce8ed0, v88
	v_rndne_f32_e32 v90, v89
	v_fma_f32 v91, 0x3fb8aa3b, v88, -v89
	s_delay_alu instid0(VALU_DEP_2) | instskip(NEXT) | instid1(VALU_DEP_2)
	v_sub_f32_e32 v89, v89, v90
	v_fmamk_f32 v91, v88, 0x32a5705f, v91
	v_cvt_i32_f32_e32 v90, v90
	s_delay_alu instid0(VALU_DEP_2) | instskip(NEXT) | instid1(VALU_DEP_1)
	v_add_f32_e32 v89, v89, v91
	v_exp_f32_e32 v89, v89
	s_waitcnt_depctr 0xfff
	v_ldexp_f32 v89, v89, v90
	s_delay_alu instid0(VALU_DEP_1) | instskip(SKIP_1) | instid1(VALU_DEP_2)
	v_cndmask_b32_e32 v89, 0, v89, vcc_lo
	v_cmp_nlt_f32_e32 vcc_lo, 0x42b17218, v88
	v_cndmask_b32_e32 v88, 0x7f800000, v89, vcc_lo
	s_delay_alu instid0(VALU_DEP_1) | instskip(NEXT) | instid1(VALU_DEP_1)
	v_add_f32_e32 v88, 1.0, v88
	v_rcp_f32_e32 v88, v88
	s_waitcnt_depctr 0xfff
	v_fma_f32 v254, v88, -2.0, 1.0
.LBB25_1078:
	s_and_not1_saveexec_b32 s9, s9
; %bb.1079:
	v_mul_f32_e32 v88, v105, v105
	s_mov_b32 s12, 0xbbbac73d
	s_delay_alu instid0(VALU_DEP_1) | instid1(SALU_CYCLE_1)
	v_fmaak_f32 v89, s12, v88, 0x3ca908c9
	s_delay_alu instid0(VALU_DEP_1) | instskip(NEXT) | instid1(VALU_DEP_1)
	v_fmaak_f32 v89, v88, v89, 0xbd5c1c4e
	v_fmaak_f32 v89, v88, v89, 0x3e088382
	s_delay_alu instid0(VALU_DEP_1) | instskip(NEXT) | instid1(VALU_DEP_1)
	v_fmaak_f32 v89, v88, v89, 0xbeaaaa99
	v_mul_f32_e64 v89, |v105|, v89
	s_delay_alu instid0(VALU_DEP_1)
	v_fma_f32 v254, v88, v89, |v105|
; %bb.1080:
	s_or_b32 exec_lo, exec_lo, s9
	v_cmp_ngt_f32_e64 s9, 0x3f200000, |v106|
                                        ; implicit-def: $vgpr158
	s_delay_alu instid0(VALU_DEP_1) | instskip(NEXT) | instid1(SALU_CYCLE_1)
	s_and_saveexec_b32 s12, s9
	s_xor_b32 s9, exec_lo, s12
	s_cbranch_execz .LBB25_1082
; %bb.1081:
	v_add_f32_e64 v88, |v106|, |v106|
	s_delay_alu instid0(VALU_DEP_1) | instskip(SKIP_1) | instid1(VALU_DEP_2)
	v_mul_f32_e32 v89, 0x3fb8aa3b, v88
	v_cmp_ngt_f32_e32 vcc_lo, 0xc2ce8ed0, v88
	v_rndne_f32_e32 v90, v89
	v_fma_f32 v91, 0x3fb8aa3b, v88, -v89
	s_delay_alu instid0(VALU_DEP_2) | instskip(NEXT) | instid1(VALU_DEP_2)
	v_sub_f32_e32 v89, v89, v90
	v_fmamk_f32 v91, v88, 0x32a5705f, v91
	v_cvt_i32_f32_e32 v90, v90
	s_delay_alu instid0(VALU_DEP_2) | instskip(NEXT) | instid1(VALU_DEP_1)
	v_add_f32_e32 v89, v89, v91
	v_exp_f32_e32 v89, v89
	s_waitcnt_depctr 0xfff
	v_ldexp_f32 v89, v89, v90
	s_delay_alu instid0(VALU_DEP_1) | instskip(SKIP_1) | instid1(VALU_DEP_2)
	v_cndmask_b32_e32 v89, 0, v89, vcc_lo
	v_cmp_nlt_f32_e32 vcc_lo, 0x42b17218, v88
	v_cndmask_b32_e32 v88, 0x7f800000, v89, vcc_lo
	s_delay_alu instid0(VALU_DEP_1) | instskip(NEXT) | instid1(VALU_DEP_1)
	v_add_f32_e32 v88, 1.0, v88
	v_rcp_f32_e32 v88, v88
	s_waitcnt_depctr 0xfff
	v_fma_f32 v158, v88, -2.0, 1.0
.LBB25_1082:
	s_and_not1_saveexec_b32 s9, s9
; %bb.1083:
	v_mul_f32_e32 v88, v106, v106
	s_mov_b32 s12, 0xbbbac73d
	s_delay_alu instid0(VALU_DEP_1) | instid1(SALU_CYCLE_1)
	v_fmaak_f32 v89, s12, v88, 0x3ca908c9
	s_delay_alu instid0(VALU_DEP_1) | instskip(NEXT) | instid1(VALU_DEP_1)
	v_fmaak_f32 v89, v88, v89, 0xbd5c1c4e
	v_fmaak_f32 v89, v88, v89, 0x3e088382
	s_delay_alu instid0(VALU_DEP_1) | instskip(NEXT) | instid1(VALU_DEP_1)
	v_fmaak_f32 v89, v88, v89, 0xbeaaaa99
	v_mul_f32_e64 v89, |v106|, v89
	s_delay_alu instid0(VALU_DEP_1)
	v_fma_f32 v158, v88, v89, |v106|
; %bb.1084:
	s_or_b32 exec_lo, exec_lo, s9
	v_cmp_ngt_f32_e64 s9, 0x3f200000, |v107|
                                        ; implicit-def: $vgpr159
	s_delay_alu instid0(VALU_DEP_1) | instskip(NEXT) | instid1(SALU_CYCLE_1)
	s_and_saveexec_b32 s12, s9
	s_xor_b32 s9, exec_lo, s12
	s_cbranch_execz .LBB25_1086
; %bb.1085:
	v_add_f32_e64 v89, |v107|, |v107|
	s_delay_alu instid0(VALU_DEP_1) | instskip(SKIP_1) | instid1(VALU_DEP_2)
	v_mul_f32_e32 v90, 0x3fb8aa3b, v89
	v_cmp_ngt_f32_e32 vcc_lo, 0xc2ce8ed0, v89
	v_rndne_f32_e32 v91, v90
	v_fma_f32 v92, 0x3fb8aa3b, v89, -v90
	s_delay_alu instid0(VALU_DEP_2) | instskip(NEXT) | instid1(VALU_DEP_2)
	v_sub_f32_e32 v90, v90, v91
	v_fmamk_f32 v92, v89, 0x32a5705f, v92
	v_cvt_i32_f32_e32 v91, v91
	s_delay_alu instid0(VALU_DEP_2) | instskip(NEXT) | instid1(VALU_DEP_1)
	v_add_f32_e32 v90, v90, v92
	v_exp_f32_e32 v90, v90
	s_waitcnt_depctr 0xfff
	v_ldexp_f32 v90, v90, v91
	s_delay_alu instid0(VALU_DEP_1) | instskip(SKIP_1) | instid1(VALU_DEP_2)
	v_cndmask_b32_e32 v90, 0, v90, vcc_lo
	v_cmp_nlt_f32_e32 vcc_lo, 0x42b17218, v89
	v_cndmask_b32_e32 v89, 0x7f800000, v90, vcc_lo
	s_delay_alu instid0(VALU_DEP_1) | instskip(NEXT) | instid1(VALU_DEP_1)
	v_add_f32_e32 v89, 1.0, v89
	v_rcp_f32_e32 v89, v89
	s_waitcnt_depctr 0xfff
	v_fma_f32 v159, v89, -2.0, 1.0
.LBB25_1086:
	s_or_saveexec_b32 s9, s9
	v_dual_mov_b32 v127, s7 :: v_dual_mov_b32 v126, s6
	v_dual_mov_b32 v125, s5 :: v_dual_mov_b32 v124, s4
	;; [unrolled: 1-line block ×4, first 2 shown]
	s_xor_b32 exec_lo, exec_lo, s9
; %bb.1087:
	v_mul_f32_e32 v89, v107, v107
	s_mov_b32 s12, 0xbbbac73d
	s_delay_alu instid0(VALU_DEP_1) | instid1(SALU_CYCLE_1)
	v_fmaak_f32 v90, s12, v89, 0x3ca908c9
	s_delay_alu instid0(VALU_DEP_1) | instskip(NEXT) | instid1(VALU_DEP_1)
	v_fmaak_f32 v90, v89, v90, 0xbd5c1c4e
	v_fmaak_f32 v90, v89, v90, 0x3e088382
	s_delay_alu instid0(VALU_DEP_1) | instskip(NEXT) | instid1(VALU_DEP_1)
	v_fmaak_f32 v90, v89, v90, 0xbeaaaa99
	v_mul_f32_e64 v90, |v107|, v90
	s_delay_alu instid0(VALU_DEP_1)
	v_fma_f32 v159, v89, v90, |v107|
; %bb.1088:
	s_or_b32 exec_lo, exec_lo, s9
	s_clause 0x1
	scratch_load_b128 v[88:91], off, off offset:96
	scratch_load_b128 v[92:95], off, off offset:112
	v_cmp_ngt_f32_e64 s9, 0x3f200000, |v108|
	s_waitcnt vmcnt(0)
	v_wmma_f32_16x16x16_f16 v[112:119], v[80:87], v[88:95], v[120:127]
                                        ; implicit-def: $vgpr80
	s_delay_alu instid0(VALU_DEP_2) | instskip(NEXT) | instid1(SALU_CYCLE_1)
	s_and_saveexec_b32 s12, s9
	s_xor_b32 s9, exec_lo, s12
	s_cbranch_execz .LBB25_1090
; %bb.1089:
	v_add_f32_e64 v80, |v108|, |v108|
	s_delay_alu instid0(VALU_DEP_1) | instskip(SKIP_1) | instid1(VALU_DEP_2)
	v_mul_f32_e32 v81, 0x3fb8aa3b, v80
	v_cmp_ngt_f32_e32 vcc_lo, 0xc2ce8ed0, v80
	v_rndne_f32_e32 v82, v81
	v_fma_f32 v83, 0x3fb8aa3b, v80, -v81
	s_delay_alu instid0(VALU_DEP_2) | instskip(NEXT) | instid1(VALU_DEP_2)
	v_sub_f32_e32 v81, v81, v82
	v_fmamk_f32 v83, v80, 0x32a5705f, v83
	v_cvt_i32_f32_e32 v82, v82
	s_delay_alu instid0(VALU_DEP_2) | instskip(NEXT) | instid1(VALU_DEP_1)
	v_add_f32_e32 v81, v81, v83
	v_exp_f32_e32 v81, v81
	s_waitcnt_depctr 0xfff
	v_ldexp_f32 v81, v81, v82
	s_delay_alu instid0(VALU_DEP_1) | instskip(SKIP_1) | instid1(VALU_DEP_2)
	v_cndmask_b32_e32 v81, 0, v81, vcc_lo
	v_cmp_nlt_f32_e32 vcc_lo, 0x42b17218, v80
	v_cndmask_b32_e32 v80, 0x7f800000, v81, vcc_lo
	s_delay_alu instid0(VALU_DEP_1) | instskip(NEXT) | instid1(VALU_DEP_1)
	v_add_f32_e32 v80, 1.0, v80
	v_rcp_f32_e32 v80, v80
	s_waitcnt_depctr 0xfff
	v_fma_f32 v80, v80, -2.0, 1.0
.LBB25_1090:
	s_or_saveexec_b32 s9, s9
	v_wmma_f32_16x16x16_f16 v[112:119], v[72:79], v[130:137], v[112:119]
	s_xor_b32 exec_lo, exec_lo, s9
; %bb.1091:
	v_mul_f32_e32 v72, v108, v108
	s_mov_b32 s12, 0xbbbac73d
	s_delay_alu instid0(VALU_DEP_1) | instid1(SALU_CYCLE_1)
	v_fmaak_f32 v73, s12, v72, 0x3ca908c9
	s_delay_alu instid0(VALU_DEP_1) | instskip(NEXT) | instid1(VALU_DEP_1)
	v_fmaak_f32 v73, v72, v73, 0xbd5c1c4e
	v_fmaak_f32 v73, v72, v73, 0x3e088382
	s_delay_alu instid0(VALU_DEP_1) | instskip(NEXT) | instid1(VALU_DEP_1)
	v_fmaak_f32 v73, v72, v73, 0xbeaaaa99
	v_mul_f32_e64 v73, |v108|, v73
	s_delay_alu instid0(VALU_DEP_1)
	v_fma_f32 v80, v72, v73, |v108|
; %bb.1092:
	s_or_b32 exec_lo, exec_lo, s9
	v_wmma_f32_16x16x16_f16 v[112:119], v[64:71], v[146:153], v[112:119]
	v_cmp_ngt_f32_e64 s9, 0x3f200000, |v109|
                                        ; implicit-def: $vgpr64
	s_delay_alu instid0(VALU_DEP_1) | instskip(NEXT) | instid1(SALU_CYCLE_1)
	s_and_saveexec_b32 s12, s9
	s_xor_b32 s9, exec_lo, s12
	s_cbranch_execz .LBB25_1094
; %bb.1093:
	v_add_f32_e64 v64, |v109|, |v109|
	s_delay_alu instid0(VALU_DEP_1) | instskip(SKIP_1) | instid1(VALU_DEP_2)
	v_mul_f32_e32 v65, 0x3fb8aa3b, v64
	v_cmp_ngt_f32_e32 vcc_lo, 0xc2ce8ed0, v64
	v_rndne_f32_e32 v66, v65
	v_fma_f32 v67, 0x3fb8aa3b, v64, -v65
	s_delay_alu instid0(VALU_DEP_2) | instskip(NEXT) | instid1(VALU_DEP_2)
	v_sub_f32_e32 v65, v65, v66
	v_fmamk_f32 v67, v64, 0x32a5705f, v67
	v_cvt_i32_f32_e32 v66, v66
	s_delay_alu instid0(VALU_DEP_2) | instskip(NEXT) | instid1(VALU_DEP_1)
	v_add_f32_e32 v65, v65, v67
	v_exp_f32_e32 v65, v65
	s_waitcnt_depctr 0xfff
	v_ldexp_f32 v65, v65, v66
	s_delay_alu instid0(VALU_DEP_1) | instskip(SKIP_1) | instid1(VALU_DEP_2)
	v_cndmask_b32_e32 v65, 0, v65, vcc_lo
	v_cmp_nlt_f32_e32 vcc_lo, 0x42b17218, v64
	v_cndmask_b32_e32 v64, 0x7f800000, v65, vcc_lo
	s_delay_alu instid0(VALU_DEP_1) | instskip(NEXT) | instid1(VALU_DEP_1)
	v_add_f32_e32 v64, 1.0, v64
	v_rcp_f32_e32 v64, v64
	s_waitcnt_depctr 0xfff
	v_fma_f32 v64, v64, -2.0, 1.0
.LBB25_1094:
	s_or_saveexec_b32 s9, s9
	v_wmma_f32_16x16x16_f16 v[112:119], v[56:63], v[138:145], v[112:119]
	s_xor_b32 exec_lo, exec_lo, s9
; %bb.1095:
	v_mul_f32_e32 v56, v109, v109
	s_mov_b32 s12, 0xbbbac73d
	s_delay_alu instid0(VALU_DEP_1) | instid1(SALU_CYCLE_1)
	v_fmaak_f32 v57, s12, v56, 0x3ca908c9
	s_delay_alu instid0(VALU_DEP_1) | instskip(NEXT) | instid1(VALU_DEP_1)
	v_fmaak_f32 v57, v56, v57, 0xbd5c1c4e
	v_fmaak_f32 v57, v56, v57, 0x3e088382
	s_delay_alu instid0(VALU_DEP_1) | instskip(NEXT) | instid1(VALU_DEP_1)
	v_fmaak_f32 v57, v56, v57, 0xbeaaaa99
	v_mul_f32_e64 v57, |v109|, v57
	s_delay_alu instid0(VALU_DEP_1)
	v_fma_f32 v64, v56, v57, |v109|
; %bb.1096:
	s_or_b32 exec_lo, exec_lo, s9
	s_clause 0x1
	scratch_load_b128 v[56:59], off, off offset:32
	scratch_load_b128 v[60:63], off, off offset:48
	v_cmp_ngt_f32_e64 s9, 0x3f200000, |v110|
	s_waitcnt vmcnt(0)
	v_wmma_f32_16x16x16_f16 v[112:119], v[48:55], v[56:63], v[112:119]
                                        ; implicit-def: $vgpr48
	s_delay_alu instid0(VALU_DEP_2) | instskip(NEXT) | instid1(SALU_CYCLE_1)
	s_and_saveexec_b32 s12, s9
	s_xor_b32 s9, exec_lo, s12
	s_cbranch_execz .LBB25_1098
; %bb.1097:
	v_add_f32_e64 v48, |v110|, |v110|
	s_delay_alu instid0(VALU_DEP_1) | instskip(SKIP_1) | instid1(VALU_DEP_2)
	v_mul_f32_e32 v49, 0x3fb8aa3b, v48
	v_cmp_ngt_f32_e32 vcc_lo, 0xc2ce8ed0, v48
	v_rndne_f32_e32 v50, v49
	v_fma_f32 v51, 0x3fb8aa3b, v48, -v49
	s_delay_alu instid0(VALU_DEP_2) | instskip(NEXT) | instid1(VALU_DEP_2)
	v_sub_f32_e32 v49, v49, v50
	v_fmamk_f32 v51, v48, 0x32a5705f, v51
	v_cvt_i32_f32_e32 v50, v50
	s_delay_alu instid0(VALU_DEP_2) | instskip(NEXT) | instid1(VALU_DEP_1)
	v_add_f32_e32 v49, v49, v51
	v_exp_f32_e32 v49, v49
	s_waitcnt_depctr 0xfff
	v_ldexp_f32 v49, v49, v50
	s_delay_alu instid0(VALU_DEP_1) | instskip(SKIP_1) | instid1(VALU_DEP_2)
	v_cndmask_b32_e32 v49, 0, v49, vcc_lo
	v_cmp_nlt_f32_e32 vcc_lo, 0x42b17218, v48
	v_cndmask_b32_e32 v48, 0x7f800000, v49, vcc_lo
	s_delay_alu instid0(VALU_DEP_1) | instskip(NEXT) | instid1(VALU_DEP_1)
	v_add_f32_e32 v48, 1.0, v48
	v_rcp_f32_e32 v48, v48
	s_waitcnt_depctr 0xfff
	v_fma_f32 v48, v48, -2.0, 1.0
.LBB25_1098:
	s_or_saveexec_b32 s9, s9
	s_clause 0x1
	scratch_load_b128 v[49:52], off, off offset:128
	scratch_load_b128 v[53:56], off, off offset:144
	s_waitcnt vmcnt(0)
	v_wmma_f32_16x16x16_f16 v[112:119], v[40:47], v[49:56], v[112:119]
	s_xor_b32 exec_lo, exec_lo, s9
; %bb.1099:
	v_mul_f32_e32 v40, v110, v110
	s_mov_b32 s12, 0xbbbac73d
	s_delay_alu instid0(VALU_DEP_1) | instid1(SALU_CYCLE_1)
	v_fmaak_f32 v41, s12, v40, 0x3ca908c9
	s_delay_alu instid0(VALU_DEP_1) | instskip(NEXT) | instid1(VALU_DEP_1)
	v_fmaak_f32 v41, v40, v41, 0xbd5c1c4e
	v_fmaak_f32 v41, v40, v41, 0x3e088382
	s_delay_alu instid0(VALU_DEP_1) | instskip(NEXT) | instid1(VALU_DEP_1)
	v_fmaak_f32 v41, v40, v41, 0xbeaaaa99
	v_mul_f32_e64 v41, |v110|, v41
	s_delay_alu instid0(VALU_DEP_1)
	v_fma_f32 v48, v40, v41, |v110|
; %bb.1100:
	s_or_b32 exec_lo, exec_lo, s9
	s_clause 0x1
	scratch_load_b128 v[40:43], off, off offset:64
	scratch_load_b128 v[44:47], off, off offset:80
	v_cmp_ngt_f32_e64 s9, 0x3f200000, |v111|
	s_waitcnt vmcnt(0)
	v_wmma_f32_16x16x16_f16 v[112:119], v[32:39], v[40:47], v[112:119]
                                        ; implicit-def: $vgpr41
	s_delay_alu instid0(VALU_DEP_2) | instskip(NEXT) | instid1(SALU_CYCLE_1)
	s_and_saveexec_b32 s12, s9
	s_xor_b32 s9, exec_lo, s12
	s_cbranch_execz .LBB25_1102
; %bb.1101:
	v_add_f32_e64 v32, |v111|, |v111|
	s_delay_alu instid0(VALU_DEP_1) | instskip(SKIP_1) | instid1(VALU_DEP_2)
	v_mul_f32_e32 v33, 0x3fb8aa3b, v32
	v_cmp_ngt_f32_e32 vcc_lo, 0xc2ce8ed0, v32
	v_rndne_f32_e32 v34, v33
	v_fma_f32 v35, 0x3fb8aa3b, v32, -v33
	s_delay_alu instid0(VALU_DEP_2) | instskip(NEXT) | instid1(VALU_DEP_2)
	v_sub_f32_e32 v33, v33, v34
	v_fmamk_f32 v35, v32, 0x32a5705f, v35
	v_cvt_i32_f32_e32 v34, v34
	s_delay_alu instid0(VALU_DEP_2) | instskip(NEXT) | instid1(VALU_DEP_1)
	v_add_f32_e32 v33, v33, v35
	v_exp_f32_e32 v33, v33
	s_waitcnt_depctr 0xfff
	v_ldexp_f32 v33, v33, v34
	s_delay_alu instid0(VALU_DEP_1) | instskip(SKIP_1) | instid1(VALU_DEP_2)
	v_cndmask_b32_e32 v33, 0, v33, vcc_lo
	v_cmp_nlt_f32_e32 vcc_lo, 0x42b17218, v32
	v_cndmask_b32_e32 v32, 0x7f800000, v33, vcc_lo
	s_delay_alu instid0(VALU_DEP_1) | instskip(NEXT) | instid1(VALU_DEP_1)
	v_add_f32_e32 v32, 1.0, v32
	v_rcp_f32_e32 v32, v32
	s_waitcnt_depctr 0xfff
	v_fma_f32 v41, v32, -2.0, 1.0
.LBB25_1102:
	s_or_saveexec_b32 s9, s9
	s_clause 0x1
	scratch_load_b128 v[32:35], off, off
	scratch_load_b128 v[36:39], off, off offset:16
	s_waitcnt vmcnt(0)
	v_wmma_f32_16x16x16_f16 v[112:119], v[184:191], v[32:39], v[112:119]
	s_xor_b32 exec_lo, exec_lo, s9
; %bb.1103:
	v_mul_f32_e32 v32, v111, v111
	s_mov_b32 s12, 0xbbbac73d
	s_delay_alu instid0(VALU_DEP_1) | instid1(SALU_CYCLE_1)
	v_fmaak_f32 v33, s12, v32, 0x3ca908c9
	s_delay_alu instid0(VALU_DEP_1) | instskip(NEXT) | instid1(VALU_DEP_1)
	v_fmaak_f32 v33, v32, v33, 0xbd5c1c4e
	v_fmaak_f32 v33, v32, v33, 0x3e088382
	s_delay_alu instid0(VALU_DEP_1) | instskip(NEXT) | instid1(VALU_DEP_1)
	v_fmaak_f32 v33, v32, v33, 0xbeaaaa99
	v_mul_f32_e64 v33, |v111|, v33
	s_delay_alu instid0(VALU_DEP_1)
	v_fma_f32 v41, v32, v33, |v111|
; %bb.1104:
	s_or_b32 exec_lo, exec_lo, s9
	v_cmp_ngt_f32_e64 s9, 0x3f200000, |v112|
                                        ; implicit-def: $vgpr42
	s_delay_alu instid0(VALU_DEP_1) | instskip(NEXT) | instid1(SALU_CYCLE_1)
	s_and_saveexec_b32 s12, s9
	s_xor_b32 s9, exec_lo, s12
	s_cbranch_execz .LBB25_1106
; %bb.1105:
	v_add_f32_e64 v32, |v112|, |v112|
	s_delay_alu instid0(VALU_DEP_1) | instskip(SKIP_1) | instid1(VALU_DEP_2)
	v_mul_f32_e32 v33, 0x3fb8aa3b, v32
	v_cmp_ngt_f32_e32 vcc_lo, 0xc2ce8ed0, v32
	v_rndne_f32_e32 v34, v33
	v_fma_f32 v35, 0x3fb8aa3b, v32, -v33
	s_delay_alu instid0(VALU_DEP_2) | instskip(NEXT) | instid1(VALU_DEP_2)
	v_sub_f32_e32 v33, v33, v34
	v_fmamk_f32 v35, v32, 0x32a5705f, v35
	v_cvt_i32_f32_e32 v34, v34
	s_delay_alu instid0(VALU_DEP_2) | instskip(NEXT) | instid1(VALU_DEP_1)
	v_add_f32_e32 v33, v33, v35
	v_exp_f32_e32 v33, v33
	s_waitcnt_depctr 0xfff
	v_ldexp_f32 v33, v33, v34
	s_delay_alu instid0(VALU_DEP_1) | instskip(SKIP_1) | instid1(VALU_DEP_2)
	v_cndmask_b32_e32 v33, 0, v33, vcc_lo
	v_cmp_nlt_f32_e32 vcc_lo, 0x42b17218, v32
	v_cndmask_b32_e32 v32, 0x7f800000, v33, vcc_lo
	s_delay_alu instid0(VALU_DEP_1) | instskip(NEXT) | instid1(VALU_DEP_1)
	v_add_f32_e32 v32, 1.0, v32
	v_rcp_f32_e32 v32, v32
	s_waitcnt_depctr 0xfff
	v_fma_f32 v42, v32, -2.0, 1.0
.LBB25_1106:
	s_and_not1_saveexec_b32 s9, s9
; %bb.1107:
	v_mul_f32_e32 v32, v112, v112
	s_mov_b32 s12, 0xbbbac73d
	s_delay_alu instid0(VALU_DEP_1) | instid1(SALU_CYCLE_1)
	v_fmaak_f32 v33, s12, v32, 0x3ca908c9
	s_delay_alu instid0(VALU_DEP_1) | instskip(NEXT) | instid1(VALU_DEP_1)
	v_fmaak_f32 v33, v32, v33, 0xbd5c1c4e
	v_fmaak_f32 v33, v32, v33, 0x3e088382
	s_delay_alu instid0(VALU_DEP_1) | instskip(NEXT) | instid1(VALU_DEP_1)
	v_fmaak_f32 v33, v32, v33, 0xbeaaaa99
	v_mul_f32_e64 v33, |v112|, v33
	s_delay_alu instid0(VALU_DEP_1)
	v_fma_f32 v42, v32, v33, |v112|
; %bb.1108:
	s_or_b32 exec_lo, exec_lo, s9
	v_cmp_ngt_f32_e64 s9, 0x3f200000, |v113|
                                        ; implicit-def: $vgpr43
	s_delay_alu instid0(VALU_DEP_1) | instskip(NEXT) | instid1(SALU_CYCLE_1)
	s_and_saveexec_b32 s12, s9
	s_xor_b32 s9, exec_lo, s12
	s_cbranch_execz .LBB25_1110
; %bb.1109:
	v_add_f32_e64 v32, |v113|, |v113|
	s_delay_alu instid0(VALU_DEP_1) | instskip(SKIP_1) | instid1(VALU_DEP_2)
	v_mul_f32_e32 v33, 0x3fb8aa3b, v32
	v_cmp_ngt_f32_e32 vcc_lo, 0xc2ce8ed0, v32
	v_rndne_f32_e32 v34, v33
	v_fma_f32 v35, 0x3fb8aa3b, v32, -v33
	s_delay_alu instid0(VALU_DEP_2) | instskip(NEXT) | instid1(VALU_DEP_2)
	v_sub_f32_e32 v33, v33, v34
	v_fmamk_f32 v35, v32, 0x32a5705f, v35
	v_cvt_i32_f32_e32 v34, v34
	s_delay_alu instid0(VALU_DEP_2) | instskip(NEXT) | instid1(VALU_DEP_1)
	v_add_f32_e32 v33, v33, v35
	v_exp_f32_e32 v33, v33
	s_waitcnt_depctr 0xfff
	v_ldexp_f32 v33, v33, v34
	s_delay_alu instid0(VALU_DEP_1) | instskip(SKIP_1) | instid1(VALU_DEP_2)
	v_cndmask_b32_e32 v33, 0, v33, vcc_lo
	v_cmp_nlt_f32_e32 vcc_lo, 0x42b17218, v32
	v_cndmask_b32_e32 v32, 0x7f800000, v33, vcc_lo
	s_delay_alu instid0(VALU_DEP_1) | instskip(NEXT) | instid1(VALU_DEP_1)
	v_add_f32_e32 v32, 1.0, v32
	v_rcp_f32_e32 v32, v32
	s_waitcnt_depctr 0xfff
	v_fma_f32 v43, v32, -2.0, 1.0
.LBB25_1110:
	s_and_not1_saveexec_b32 s9, s9
; %bb.1111:
	v_mul_f32_e32 v32, v113, v113
	s_mov_b32 s12, 0xbbbac73d
	s_delay_alu instid0(VALU_DEP_1) | instid1(SALU_CYCLE_1)
	v_fmaak_f32 v33, s12, v32, 0x3ca908c9
	s_delay_alu instid0(VALU_DEP_1) | instskip(NEXT) | instid1(VALU_DEP_1)
	v_fmaak_f32 v33, v32, v33, 0xbd5c1c4e
	v_fmaak_f32 v33, v32, v33, 0x3e088382
	s_delay_alu instid0(VALU_DEP_1) | instskip(NEXT) | instid1(VALU_DEP_1)
	v_fmaak_f32 v33, v32, v33, 0xbeaaaa99
	v_mul_f32_e64 v33, |v113|, v33
	s_delay_alu instid0(VALU_DEP_1)
	v_fma_f32 v43, v32, v33, |v113|
; %bb.1112:
	s_or_b32 exec_lo, exec_lo, s9
	v_cmp_ngt_f32_e64 s9, 0x3f200000, |v114|
                                        ; implicit-def: $vgpr44
	s_delay_alu instid0(VALU_DEP_1) | instskip(NEXT) | instid1(SALU_CYCLE_1)
	s_and_saveexec_b32 s12, s9
	s_xor_b32 s9, exec_lo, s12
	s_cbranch_execz .LBB25_1114
; %bb.1113:
	v_add_f32_e64 v32, |v114|, |v114|
	s_delay_alu instid0(VALU_DEP_1) | instskip(SKIP_1) | instid1(VALU_DEP_2)
	v_mul_f32_e32 v33, 0x3fb8aa3b, v32
	v_cmp_ngt_f32_e32 vcc_lo, 0xc2ce8ed0, v32
	v_rndne_f32_e32 v34, v33
	v_fma_f32 v35, 0x3fb8aa3b, v32, -v33
	s_delay_alu instid0(VALU_DEP_2) | instskip(NEXT) | instid1(VALU_DEP_2)
	v_sub_f32_e32 v33, v33, v34
	v_fmamk_f32 v35, v32, 0x32a5705f, v35
	v_cvt_i32_f32_e32 v34, v34
	s_delay_alu instid0(VALU_DEP_2) | instskip(NEXT) | instid1(VALU_DEP_1)
	v_add_f32_e32 v33, v33, v35
	v_exp_f32_e32 v33, v33
	s_waitcnt_depctr 0xfff
	v_ldexp_f32 v33, v33, v34
	s_delay_alu instid0(VALU_DEP_1) | instskip(SKIP_1) | instid1(VALU_DEP_2)
	v_cndmask_b32_e32 v33, 0, v33, vcc_lo
	v_cmp_nlt_f32_e32 vcc_lo, 0x42b17218, v32
	v_cndmask_b32_e32 v32, 0x7f800000, v33, vcc_lo
	s_delay_alu instid0(VALU_DEP_1) | instskip(NEXT) | instid1(VALU_DEP_1)
	v_add_f32_e32 v32, 1.0, v32
	v_rcp_f32_e32 v32, v32
	s_waitcnt_depctr 0xfff
	v_fma_f32 v44, v32, -2.0, 1.0
.LBB25_1114:
	s_and_not1_saveexec_b32 s9, s9
; %bb.1115:
	v_mul_f32_e32 v32, v114, v114
	s_mov_b32 s12, 0xbbbac73d
	s_delay_alu instid0(VALU_DEP_1) | instid1(SALU_CYCLE_1)
	v_fmaak_f32 v33, s12, v32, 0x3ca908c9
	s_delay_alu instid0(VALU_DEP_1) | instskip(NEXT) | instid1(VALU_DEP_1)
	v_fmaak_f32 v33, v32, v33, 0xbd5c1c4e
	v_fmaak_f32 v33, v32, v33, 0x3e088382
	s_delay_alu instid0(VALU_DEP_1) | instskip(NEXT) | instid1(VALU_DEP_1)
	v_fmaak_f32 v33, v32, v33, 0xbeaaaa99
	v_mul_f32_e64 v33, |v114|, v33
	s_delay_alu instid0(VALU_DEP_1)
	v_fma_f32 v44, v32, v33, |v114|
; %bb.1116:
	s_or_b32 exec_lo, exec_lo, s9
	v_cmp_ngt_f32_e64 s9, 0x3f200000, |v115|
                                        ; implicit-def: $vgpr45
	s_delay_alu instid0(VALU_DEP_1) | instskip(NEXT) | instid1(SALU_CYCLE_1)
	s_and_saveexec_b32 s12, s9
	s_xor_b32 s9, exec_lo, s12
	s_cbranch_execz .LBB25_1118
; %bb.1117:
	v_add_f32_e64 v32, |v115|, |v115|
	s_delay_alu instid0(VALU_DEP_1) | instskip(SKIP_1) | instid1(VALU_DEP_2)
	v_mul_f32_e32 v33, 0x3fb8aa3b, v32
	v_cmp_ngt_f32_e32 vcc_lo, 0xc2ce8ed0, v32
	v_rndne_f32_e32 v34, v33
	v_fma_f32 v35, 0x3fb8aa3b, v32, -v33
	s_delay_alu instid0(VALU_DEP_2) | instskip(NEXT) | instid1(VALU_DEP_2)
	v_sub_f32_e32 v33, v33, v34
	v_fmamk_f32 v35, v32, 0x32a5705f, v35
	v_cvt_i32_f32_e32 v34, v34
	s_delay_alu instid0(VALU_DEP_2) | instskip(NEXT) | instid1(VALU_DEP_1)
	v_add_f32_e32 v33, v33, v35
	v_exp_f32_e32 v33, v33
	s_waitcnt_depctr 0xfff
	v_ldexp_f32 v33, v33, v34
	s_delay_alu instid0(VALU_DEP_1) | instskip(SKIP_1) | instid1(VALU_DEP_2)
	v_cndmask_b32_e32 v33, 0, v33, vcc_lo
	v_cmp_nlt_f32_e32 vcc_lo, 0x42b17218, v32
	v_cndmask_b32_e32 v32, 0x7f800000, v33, vcc_lo
	s_delay_alu instid0(VALU_DEP_1) | instskip(NEXT) | instid1(VALU_DEP_1)
	v_add_f32_e32 v32, 1.0, v32
	v_rcp_f32_e32 v32, v32
	s_waitcnt_depctr 0xfff
	v_fma_f32 v45, v32, -2.0, 1.0
.LBB25_1118:
	s_or_saveexec_b32 s9, s9
	v_dual_mov_b32 v39, s7 :: v_dual_mov_b32 v38, s6
	v_dual_mov_b32 v37, s5 :: v_dual_mov_b32 v36, s4
	;; [unrolled: 1-line block ×4, first 2 shown]
	s_xor_b32 exec_lo, exec_lo, s9
; %bb.1119:
	v_mul_f32_e32 v40, v115, v115
	s_mov_b32 s12, 0xbbbac73d
	s_delay_alu instid0(VALU_DEP_1) | instid1(SALU_CYCLE_1)
	v_fmaak_f32 v45, s12, v40, 0x3ca908c9
	s_delay_alu instid0(VALU_DEP_1) | instskip(NEXT) | instid1(VALU_DEP_1)
	v_fmaak_f32 v45, v40, v45, 0xbd5c1c4e
	v_fmaak_f32 v45, v40, v45, 0x3e088382
	s_delay_alu instid0(VALU_DEP_1) | instskip(NEXT) | instid1(VALU_DEP_1)
	v_fmaak_f32 v45, v40, v45, 0xbeaaaa99
	v_mul_f32_e64 v45, |v115|, v45
	s_delay_alu instid0(VALU_DEP_1)
	v_fma_f32 v45, v40, v45, |v115|
; %bb.1120:
	s_or_b32 exec_lo, exec_lo, s9
	s_clause 0x1
	scratch_load_b128 v[49:52], off, off offset:96
	scratch_load_b128 v[53:56], off, off offset:112
	v_cmp_ngt_f32_e64 s9, 0x3f200000, |v116|
	s_waitcnt vmcnt(0)
	v_wmma_f32_16x16x16_f16 v[184:191], v[240:247], v[49:56], v[32:39]
	v_dual_mov_b32 v247, v56 :: v_dual_mov_b32 v246, v55
	v_dual_mov_b32 v245, v54 :: v_dual_mov_b32 v244, v53
	;; [unrolled: 1-line block ×4, first 2 shown]
                                        ; implicit-def: $vgpr32
	s_and_saveexec_b32 s12, s9
	s_delay_alu instid0(SALU_CYCLE_1)
	s_xor_b32 s9, exec_lo, s12
	s_cbranch_execz .LBB25_1122
; %bb.1121:
	v_add_f32_e64 v32, |v116|, |v116|
	s_delay_alu instid0(VALU_DEP_1) | instskip(SKIP_1) | instid1(VALU_DEP_2)
	v_mul_f32_e32 v33, 0x3fb8aa3b, v32
	v_cmp_ngt_f32_e32 vcc_lo, 0xc2ce8ed0, v32
	v_rndne_f32_e32 v34, v33
	v_fma_f32 v35, 0x3fb8aa3b, v32, -v33
	s_delay_alu instid0(VALU_DEP_2) | instskip(NEXT) | instid1(VALU_DEP_2)
	v_sub_f32_e32 v33, v33, v34
	v_fmamk_f32 v35, v32, 0x32a5705f, v35
	v_cvt_i32_f32_e32 v34, v34
	s_delay_alu instid0(VALU_DEP_2) | instskip(NEXT) | instid1(VALU_DEP_1)
	v_add_f32_e32 v33, v33, v35
	v_exp_f32_e32 v33, v33
	s_waitcnt_depctr 0xfff
	v_ldexp_f32 v33, v33, v34
	s_delay_alu instid0(VALU_DEP_1) | instskip(SKIP_1) | instid1(VALU_DEP_2)
	v_cndmask_b32_e32 v33, 0, v33, vcc_lo
	v_cmp_nlt_f32_e32 vcc_lo, 0x42b17218, v32
	v_cndmask_b32_e32 v32, 0x7f800000, v33, vcc_lo
	s_delay_alu instid0(VALU_DEP_1) | instskip(NEXT) | instid1(VALU_DEP_1)
	v_add_f32_e32 v32, 1.0, v32
	v_rcp_f32_e32 v32, v32
	s_waitcnt_depctr 0xfff
	v_fma_f32 v32, v32, -2.0, 1.0
.LBB25_1122:
	s_or_saveexec_b32 s9, s9
	v_wmma_f32_16x16x16_f16 v[184:191], v[232:239], v[130:137], v[184:191]
	v_dual_mov_b32 v239, v137 :: v_dual_mov_b32 v238, v136
	v_dual_mov_b32 v237, v135 :: v_dual_mov_b32 v236, v134
	v_dual_mov_b32 v235, v133 :: v_dual_mov_b32 v234, v132
	v_dual_mov_b32 v233, v131 :: v_dual_mov_b32 v232, v130
	s_xor_b32 exec_lo, exec_lo, s9
; %bb.1123:
	v_mul_f32_e32 v32, v116, v116
	s_mov_b32 s12, 0xbbbac73d
	s_delay_alu instid0(VALU_DEP_1) | instid1(SALU_CYCLE_1)
	v_fmaak_f32 v33, s12, v32, 0x3ca908c9
	s_delay_alu instid0(VALU_DEP_1) | instskip(NEXT) | instid1(VALU_DEP_1)
	v_fmaak_f32 v33, v32, v33, 0xbd5c1c4e
	v_fmaak_f32 v33, v32, v33, 0x3e088382
	s_delay_alu instid0(VALU_DEP_1) | instskip(NEXT) | instid1(VALU_DEP_1)
	v_fmaak_f32 v33, v32, v33, 0xbeaaaa99
	v_mul_f32_e64 v33, |v116|, v33
	s_delay_alu instid0(VALU_DEP_1)
	v_fma_f32 v32, v32, v33, |v116|
; %bb.1124:
	s_or_b32 exec_lo, exec_lo, s9
	v_wmma_f32_16x16x16_f16 v[184:191], v[224:231], v[146:153], v[184:191]
	v_cmp_ngt_f32_e64 s9, 0x3f200000, |v117|
                                        ; implicit-def: $vgpr33
	s_delay_alu instid0(VALU_DEP_1) | instskip(NEXT) | instid1(SALU_CYCLE_1)
	s_and_saveexec_b32 s12, s9
	s_xor_b32 s9, exec_lo, s12
	s_cbranch_execz .LBB25_1126
; %bb.1125:
	v_add_f32_e64 v33, |v117|, |v117|
	s_delay_alu instid0(VALU_DEP_1) | instskip(SKIP_1) | instid1(VALU_DEP_2)
	v_mul_f32_e32 v34, 0x3fb8aa3b, v33
	v_cmp_ngt_f32_e32 vcc_lo, 0xc2ce8ed0, v33
	v_rndne_f32_e32 v35, v34
	v_fma_f32 v36, 0x3fb8aa3b, v33, -v34
	s_delay_alu instid0(VALU_DEP_2) | instskip(NEXT) | instid1(VALU_DEP_2)
	v_sub_f32_e32 v34, v34, v35
	v_fmamk_f32 v36, v33, 0x32a5705f, v36
	v_cvt_i32_f32_e32 v35, v35
	s_delay_alu instid0(VALU_DEP_2) | instskip(NEXT) | instid1(VALU_DEP_1)
	v_add_f32_e32 v34, v34, v36
	v_exp_f32_e32 v34, v34
	s_waitcnt_depctr 0xfff
	v_ldexp_f32 v34, v34, v35
	s_delay_alu instid0(VALU_DEP_1) | instskip(SKIP_1) | instid1(VALU_DEP_2)
	v_cndmask_b32_e32 v34, 0, v34, vcc_lo
	v_cmp_nlt_f32_e32 vcc_lo, 0x42b17218, v33
	v_cndmask_b32_e32 v33, 0x7f800000, v34, vcc_lo
	s_delay_alu instid0(VALU_DEP_1) | instskip(NEXT) | instid1(VALU_DEP_1)
	v_add_f32_e32 v33, 1.0, v33
	v_rcp_f32_e32 v33, v33
	s_waitcnt_depctr 0xfff
	v_fma_f32 v33, v33, -2.0, 1.0
.LBB25_1126:
	s_or_saveexec_b32 s9, s9
	v_wmma_f32_16x16x16_f16 v[184:191], v[216:223], v[138:145], v[184:191]
	s_xor_b32 exec_lo, exec_lo, s9
; %bb.1127:
	v_mul_f32_e32 v33, v117, v117
	s_mov_b32 s12, 0xbbbac73d
	s_delay_alu instid0(VALU_DEP_1) | instid1(SALU_CYCLE_1)
	v_fmaak_f32 v34, s12, v33, 0x3ca908c9
	s_delay_alu instid0(VALU_DEP_1) | instskip(NEXT) | instid1(VALU_DEP_1)
	v_fmaak_f32 v34, v33, v34, 0xbd5c1c4e
	v_fmaak_f32 v34, v33, v34, 0x3e088382
	s_delay_alu instid0(VALU_DEP_1) | instskip(NEXT) | instid1(VALU_DEP_1)
	v_fmaak_f32 v34, v33, v34, 0xbeaaaa99
	v_mul_f32_e64 v34, |v117|, v34
	s_delay_alu instid0(VALU_DEP_1)
	v_fma_f32 v33, v33, v34, |v117|
; %bb.1128:
	s_or_b32 exec_lo, exec_lo, s9
	s_clause 0x1
	scratch_load_b128 v[49:52], off, off offset:32
	scratch_load_b128 v[53:56], off, off offset:48
	v_cmp_ngt_f32_e64 s9, 0x3f200000, |v118|
                                        ; implicit-def: $vgpr34
	s_waitcnt vmcnt(0)
	v_wmma_f32_16x16x16_f16 v[184:191], v[208:215], v[49:56], v[184:191]
	s_delay_alu instid0(VALU_DEP_2) | instskip(NEXT) | instid1(SALU_CYCLE_1)
	s_and_saveexec_b32 s12, s9
	s_xor_b32 s9, exec_lo, s12
	s_cbranch_execz .LBB25_1130
; %bb.1129:
	v_add_f32_e64 v34, |v118|, |v118|
	s_delay_alu instid0(VALU_DEP_1) | instskip(SKIP_1) | instid1(VALU_DEP_2)
	v_mul_f32_e32 v35, 0x3fb8aa3b, v34
	v_cmp_ngt_f32_e32 vcc_lo, 0xc2ce8ed0, v34
	v_rndne_f32_e32 v36, v35
	v_fma_f32 v37, 0x3fb8aa3b, v34, -v35
	s_delay_alu instid0(VALU_DEP_2) | instskip(NEXT) | instid1(VALU_DEP_2)
	v_sub_f32_e32 v35, v35, v36
	v_fmamk_f32 v37, v34, 0x32a5705f, v37
	v_cvt_i32_f32_e32 v36, v36
	s_delay_alu instid0(VALU_DEP_2) | instskip(NEXT) | instid1(VALU_DEP_1)
	v_add_f32_e32 v35, v35, v37
	v_exp_f32_e32 v35, v35
	s_waitcnt_depctr 0xfff
	v_ldexp_f32 v35, v35, v36
	s_delay_alu instid0(VALU_DEP_1) | instskip(SKIP_1) | instid1(VALU_DEP_2)
	v_cndmask_b32_e32 v35, 0, v35, vcc_lo
	v_cmp_nlt_f32_e32 vcc_lo, 0x42b17218, v34
	v_cndmask_b32_e32 v34, 0x7f800000, v35, vcc_lo
	s_delay_alu instid0(VALU_DEP_1) | instskip(NEXT) | instid1(VALU_DEP_1)
	v_add_f32_e32 v34, 1.0, v34
	v_rcp_f32_e32 v34, v34
	s_waitcnt_depctr 0xfff
	v_fma_f32 v34, v34, -2.0, 1.0
.LBB25_1130:
	s_or_saveexec_b32 s9, s9
	s_clause 0x1
	scratch_load_b128 v[130:133], off, off offset:128
	scratch_load_b128 v[134:137], off, off offset:144
	s_waitcnt vmcnt(0)
	v_dual_mov_b32 v120, v130 :: v_dual_mov_b32 v121, v131
	v_wmma_f32_16x16x16_f16 v[184:191], v[200:207], v[130:137], v[184:191]
	v_dual_mov_b32 v122, v132 :: v_dual_mov_b32 v123, v133
	v_dual_mov_b32 v124, v134 :: v_dual_mov_b32 v125, v135
	;; [unrolled: 1-line block ×3, first 2 shown]
	s_xor_b32 exec_lo, exec_lo, s9
; %bb.1131:
	v_mul_f32_e32 v34, v118, v118
	s_mov_b32 s12, 0xbbbac73d
	s_delay_alu instid0(VALU_DEP_1) | instid1(SALU_CYCLE_1)
	v_fmaak_f32 v35, s12, v34, 0x3ca908c9
	s_delay_alu instid0(VALU_DEP_1) | instskip(NEXT) | instid1(VALU_DEP_1)
	v_fmaak_f32 v35, v34, v35, 0xbd5c1c4e
	v_fmaak_f32 v35, v34, v35, 0x3e088382
	s_delay_alu instid0(VALU_DEP_1) | instskip(NEXT) | instid1(VALU_DEP_1)
	v_fmaak_f32 v35, v34, v35, 0xbeaaaa99
	v_mul_f32_e64 v35, |v118|, v35
	s_delay_alu instid0(VALU_DEP_1)
	v_fma_f32 v34, v34, v35, |v118|
; %bb.1132:
	s_or_b32 exec_lo, exec_lo, s9
	s_clause 0x1
	scratch_load_b128 v[130:133], off, off offset:64
	scratch_load_b128 v[134:137], off, off offset:80
	v_cmp_ngt_f32_e64 s9, 0x3f200000, |v119|
                                        ; implicit-def: $vgpr35
	s_waitcnt vmcnt(0)
	v_dual_mov_b32 v65, v130 :: v_dual_mov_b32 v66, v131
	v_wmma_f32_16x16x16_f16 v[184:191], v[192:199], v[130:137], v[184:191]
	v_dual_mov_b32 v67, v132 :: v_dual_mov_b32 v68, v133
	v_dual_mov_b32 v69, v134 :: v_dual_mov_b32 v70, v135
	;; [unrolled: 1-line block ×3, first 2 shown]
	s_and_saveexec_b32 s12, s9
	s_delay_alu instid0(SALU_CYCLE_1)
	s_xor_b32 s9, exec_lo, s12
	s_cbranch_execz .LBB25_1134
; %bb.1133:
	v_add_f32_e64 v35, |v119|, |v119|
	s_delay_alu instid0(VALU_DEP_1) | instskip(SKIP_1) | instid1(VALU_DEP_2)
	v_mul_f32_e32 v36, 0x3fb8aa3b, v35
	v_cmp_ngt_f32_e32 vcc_lo, 0xc2ce8ed0, v35
	v_rndne_f32_e32 v37, v36
	v_fma_f32 v38, 0x3fb8aa3b, v35, -v36
	s_delay_alu instid0(VALU_DEP_2) | instskip(NEXT) | instid1(VALU_DEP_2)
	v_sub_f32_e32 v36, v36, v37
	v_fmamk_f32 v38, v35, 0x32a5705f, v38
	v_cvt_i32_f32_e32 v37, v37
	s_delay_alu instid0(VALU_DEP_2) | instskip(NEXT) | instid1(VALU_DEP_1)
	v_add_f32_e32 v36, v36, v38
	v_exp_f32_e32 v36, v36
	s_waitcnt_depctr 0xfff
	v_ldexp_f32 v36, v36, v37
	s_delay_alu instid0(VALU_DEP_1) | instskip(SKIP_1) | instid1(VALU_DEP_2)
	v_cndmask_b32_e32 v36, 0, v36, vcc_lo
	v_cmp_nlt_f32_e32 vcc_lo, 0x42b17218, v35
	v_cndmask_b32_e32 v35, 0x7f800000, v36, vcc_lo
	s_delay_alu instid0(VALU_DEP_1) | instskip(NEXT) | instid1(VALU_DEP_1)
	v_add_f32_e32 v35, 1.0, v35
	v_rcp_f32_e32 v35, v35
	s_waitcnt_depctr 0xfff
	v_fma_f32 v35, v35, -2.0, 1.0
.LBB25_1134:
	s_or_saveexec_b32 s9, s9
	s_clause 0x1
	scratch_load_b128 v[49:52], off, off
	scratch_load_b128 v[53:56], off, off offset:16
	s_waitcnt vmcnt(0)
	v_wmma_f32_16x16x16_f16 v[184:191], v[96:103], v[49:56], v[184:191]
	s_xor_b32 exec_lo, exec_lo, s9
; %bb.1135:
	v_mul_f32_e32 v35, v119, v119
	s_mov_b32 s12, 0xbbbac73d
	s_delay_alu instid0(VALU_DEP_1) | instid1(SALU_CYCLE_1)
	v_fmaak_f32 v36, s12, v35, 0x3ca908c9
	s_delay_alu instid0(VALU_DEP_1) | instskip(NEXT) | instid1(VALU_DEP_1)
	v_fmaak_f32 v36, v35, v36, 0xbd5c1c4e
	v_fmaak_f32 v36, v35, v36, 0x3e088382
	s_delay_alu instid0(VALU_DEP_1) | instskip(NEXT) | instid1(VALU_DEP_1)
	v_fmaak_f32 v36, v35, v36, 0xbeaaaa99
	v_mul_f32_e64 v36, |v119|, v36
	s_delay_alu instid0(VALU_DEP_1)
	v_fma_f32 v35, v35, v36, |v119|
; %bb.1136:
	s_or_b32 exec_lo, exec_lo, s9
	v_cmp_ngt_f32_e64 s9, 0x3f200000, |v184|
                                        ; implicit-def: $vgpr36
	s_delay_alu instid0(VALU_DEP_1) | instskip(NEXT) | instid1(SALU_CYCLE_1)
	s_and_saveexec_b32 s12, s9
	s_xor_b32 s9, exec_lo, s12
	s_cbranch_execz .LBB25_1138
; %bb.1137:
	v_add_f32_e64 v36, |v184|, |v184|
	s_delay_alu instid0(VALU_DEP_1) | instskip(SKIP_1) | instid1(VALU_DEP_2)
	v_mul_f32_e32 v37, 0x3fb8aa3b, v36
	v_cmp_ngt_f32_e32 vcc_lo, 0xc2ce8ed0, v36
	v_rndne_f32_e32 v38, v37
	v_fma_f32 v39, 0x3fb8aa3b, v36, -v37
	s_delay_alu instid0(VALU_DEP_2) | instskip(NEXT) | instid1(VALU_DEP_2)
	v_sub_f32_e32 v37, v37, v38
	v_fmamk_f32 v39, v36, 0x32a5705f, v39
	v_cvt_i32_f32_e32 v38, v38
	s_delay_alu instid0(VALU_DEP_2) | instskip(NEXT) | instid1(VALU_DEP_1)
	v_add_f32_e32 v37, v37, v39
	v_exp_f32_e32 v37, v37
	s_waitcnt_depctr 0xfff
	v_ldexp_f32 v37, v37, v38
	s_delay_alu instid0(VALU_DEP_1) | instskip(SKIP_1) | instid1(VALU_DEP_2)
	v_cndmask_b32_e32 v37, 0, v37, vcc_lo
	v_cmp_nlt_f32_e32 vcc_lo, 0x42b17218, v36
	v_cndmask_b32_e32 v36, 0x7f800000, v37, vcc_lo
	s_delay_alu instid0(VALU_DEP_1) | instskip(NEXT) | instid1(VALU_DEP_1)
	v_add_f32_e32 v36, 1.0, v36
	v_rcp_f32_e32 v36, v36
	s_waitcnt_depctr 0xfff
	v_fma_f32 v36, v36, -2.0, 1.0
.LBB25_1138:
	s_and_not1_saveexec_b32 s9, s9
; %bb.1139:
	v_mul_f32_e32 v36, v184, v184
	s_mov_b32 s12, 0xbbbac73d
	s_delay_alu instid0(VALU_DEP_1) | instid1(SALU_CYCLE_1)
	v_fmaak_f32 v37, s12, v36, 0x3ca908c9
	s_delay_alu instid0(VALU_DEP_1) | instskip(NEXT) | instid1(VALU_DEP_1)
	v_fmaak_f32 v37, v36, v37, 0xbd5c1c4e
	v_fmaak_f32 v37, v36, v37, 0x3e088382
	s_delay_alu instid0(VALU_DEP_1) | instskip(NEXT) | instid1(VALU_DEP_1)
	v_fmaak_f32 v37, v36, v37, 0xbeaaaa99
	v_mul_f32_e64 v37, |v184|, v37
	s_delay_alu instid0(VALU_DEP_1)
	v_fma_f32 v36, v36, v37, |v184|
; %bb.1140:
	s_or_b32 exec_lo, exec_lo, s9
	v_cmp_ngt_f32_e64 s9, 0x3f200000, |v185|
                                        ; implicit-def: $vgpr37
	s_delay_alu instid0(VALU_DEP_1) | instskip(NEXT) | instid1(SALU_CYCLE_1)
	s_and_saveexec_b32 s12, s9
	s_xor_b32 s9, exec_lo, s12
	s_cbranch_execz .LBB25_1142
; %bb.1141:
	v_add_f32_e64 v37, |v185|, |v185|
	s_delay_alu instid0(VALU_DEP_1) | instskip(SKIP_1) | instid1(VALU_DEP_2)
	v_mul_f32_e32 v38, 0x3fb8aa3b, v37
	v_cmp_ngt_f32_e32 vcc_lo, 0xc2ce8ed0, v37
	v_rndne_f32_e32 v39, v38
	v_fma_f32 v40, 0x3fb8aa3b, v37, -v38
	s_delay_alu instid0(VALU_DEP_2) | instskip(NEXT) | instid1(VALU_DEP_2)
	v_sub_f32_e32 v38, v38, v39
	v_fmamk_f32 v40, v37, 0x32a5705f, v40
	v_cvt_i32_f32_e32 v39, v39
	s_delay_alu instid0(VALU_DEP_2) | instskip(NEXT) | instid1(VALU_DEP_1)
	v_add_f32_e32 v38, v38, v40
	v_exp_f32_e32 v38, v38
	s_waitcnt_depctr 0xfff
	v_ldexp_f32 v38, v38, v39
	s_delay_alu instid0(VALU_DEP_1) | instskip(SKIP_1) | instid1(VALU_DEP_2)
	v_cndmask_b32_e32 v38, 0, v38, vcc_lo
	v_cmp_nlt_f32_e32 vcc_lo, 0x42b17218, v37
	v_cndmask_b32_e32 v37, 0x7f800000, v38, vcc_lo
	s_delay_alu instid0(VALU_DEP_1) | instskip(NEXT) | instid1(VALU_DEP_1)
	v_add_f32_e32 v37, 1.0, v37
	v_rcp_f32_e32 v37, v37
	s_waitcnt_depctr 0xfff
	v_fma_f32 v37, v37, -2.0, 1.0
.LBB25_1142:
	s_and_not1_saveexec_b32 s9, s9
; %bb.1143:
	v_mul_f32_e32 v37, v185, v185
	s_mov_b32 s12, 0xbbbac73d
	s_delay_alu instid0(VALU_DEP_1) | instid1(SALU_CYCLE_1)
	v_fmaak_f32 v38, s12, v37, 0x3ca908c9
	s_delay_alu instid0(VALU_DEP_1) | instskip(NEXT) | instid1(VALU_DEP_1)
	v_fmaak_f32 v38, v37, v38, 0xbd5c1c4e
	v_fmaak_f32 v38, v37, v38, 0x3e088382
	s_delay_alu instid0(VALU_DEP_1) | instskip(NEXT) | instid1(VALU_DEP_1)
	v_fmaak_f32 v38, v37, v38, 0xbeaaaa99
	v_mul_f32_e64 v38, |v185|, v38
	s_delay_alu instid0(VALU_DEP_1)
	v_fma_f32 v37, v37, v38, |v185|
; %bb.1144:
	s_or_b32 exec_lo, exec_lo, s9
	v_cmp_ngt_f32_e64 s9, 0x3f200000, |v186|
                                        ; implicit-def: $vgpr38
	s_delay_alu instid0(VALU_DEP_1) | instskip(NEXT) | instid1(SALU_CYCLE_1)
	s_and_saveexec_b32 s12, s9
	s_xor_b32 s9, exec_lo, s12
	s_cbranch_execz .LBB25_1146
; %bb.1145:
	v_add_f32_e64 v38, |v186|, |v186|
	s_delay_alu instid0(VALU_DEP_1) | instskip(SKIP_1) | instid1(VALU_DEP_2)
	v_mul_f32_e32 v39, 0x3fb8aa3b, v38
	v_cmp_ngt_f32_e32 vcc_lo, 0xc2ce8ed0, v38
	v_rndne_f32_e32 v40, v39
	v_fma_f32 v46, 0x3fb8aa3b, v38, -v39
	s_delay_alu instid0(VALU_DEP_1) | instskip(SKIP_1) | instid1(VALU_DEP_2)
	v_dual_sub_f32 v39, v39, v40 :: v_dual_fmamk_f32 v46, v38, 0x32a5705f, v46
	v_cvt_i32_f32_e32 v40, v40
	v_add_f32_e32 v39, v39, v46
	s_delay_alu instid0(VALU_DEP_1) | instskip(SKIP_2) | instid1(VALU_DEP_1)
	v_exp_f32_e32 v39, v39
	s_waitcnt_depctr 0xfff
	v_ldexp_f32 v39, v39, v40
	v_cndmask_b32_e32 v39, 0, v39, vcc_lo
	v_cmp_nlt_f32_e32 vcc_lo, 0x42b17218, v38
	s_delay_alu instid0(VALU_DEP_2) | instskip(NEXT) | instid1(VALU_DEP_1)
	v_cndmask_b32_e32 v38, 0x7f800000, v39, vcc_lo
	v_add_f32_e32 v38, 1.0, v38
	s_delay_alu instid0(VALU_DEP_1)
	v_rcp_f32_e32 v38, v38
	s_waitcnt_depctr 0xfff
	v_fma_f32 v38, v38, -2.0, 1.0
.LBB25_1146:
	s_and_not1_saveexec_b32 s9, s9
; %bb.1147:
	v_mul_f32_e32 v38, v186, v186
	s_mov_b32 s12, 0xbbbac73d
	s_delay_alu instid0(VALU_DEP_1) | instid1(SALU_CYCLE_1)
	v_fmaak_f32 v39, s12, v38, 0x3ca908c9
	s_delay_alu instid0(VALU_DEP_1) | instskip(NEXT) | instid1(VALU_DEP_1)
	v_fmaak_f32 v39, v38, v39, 0xbd5c1c4e
	v_fmaak_f32 v39, v38, v39, 0x3e088382
	s_delay_alu instid0(VALU_DEP_1) | instskip(NEXT) | instid1(VALU_DEP_1)
	v_fmaak_f32 v39, v38, v39, 0xbeaaaa99
	v_mul_f32_e64 v39, |v186|, v39
	s_delay_alu instid0(VALU_DEP_1)
	v_fma_f32 v38, v38, v39, |v186|
; %bb.1148:
	s_or_b32 exec_lo, exec_lo, s9
	v_cmp_ngt_f32_e64 s9, 0x3f200000, |v187|
                                        ; implicit-def: $vgpr39
	s_delay_alu instid0(VALU_DEP_1) | instskip(NEXT) | instid1(SALU_CYCLE_1)
	s_and_saveexec_b32 s12, s9
	s_xor_b32 s9, exec_lo, s12
	s_cbranch_execz .LBB25_1150
; %bb.1149:
	v_add_f32_e64 v39, |v187|, |v187|
	s_delay_alu instid0(VALU_DEP_1) | instskip(SKIP_1) | instid1(VALU_DEP_2)
	v_mul_f32_e32 v40, 0x3fb8aa3b, v39
	v_cmp_ngt_f32_e32 vcc_lo, 0xc2ce8ed0, v39
	v_rndne_f32_e32 v46, v40
	v_fma_f32 v47, 0x3fb8aa3b, v39, -v40
	s_delay_alu instid0(VALU_DEP_1) | instskip(SKIP_1) | instid1(VALU_DEP_2)
	v_dual_sub_f32 v40, v40, v46 :: v_dual_fmamk_f32 v47, v39, 0x32a5705f, v47
	v_cvt_i32_f32_e32 v46, v46
	v_add_f32_e32 v40, v40, v47
	s_delay_alu instid0(VALU_DEP_1) | instskip(SKIP_2) | instid1(VALU_DEP_1)
	v_exp_f32_e32 v40, v40
	s_waitcnt_depctr 0xfff
	v_ldexp_f32 v40, v40, v46
	v_cndmask_b32_e32 v40, 0, v40, vcc_lo
	v_cmp_nlt_f32_e32 vcc_lo, 0x42b17218, v39
	s_delay_alu instid0(VALU_DEP_2) | instskip(NEXT) | instid1(VALU_DEP_1)
	v_cndmask_b32_e32 v39, 0x7f800000, v40, vcc_lo
	v_add_f32_e32 v39, 1.0, v39
	s_delay_alu instid0(VALU_DEP_1)
	v_rcp_f32_e32 v39, v39
	s_waitcnt_depctr 0xfff
	v_fma_f32 v39, v39, -2.0, 1.0
.LBB25_1150:
	s_or_saveexec_b32 s9, s9
	v_dual_mov_b32 v103, s7 :: v_dual_mov_b32 v102, s6
	v_dual_mov_b32 v101, s5 :: v_dual_mov_b32 v100, s4
	;; [unrolled: 1-line block ×4, first 2 shown]
	s_xor_b32 exec_lo, exec_lo, s9
; %bb.1151:
	v_mul_f32_e32 v39, v187, v187
	s_mov_b32 s0, 0xbbbac73d
	s_delay_alu instid0(VALU_DEP_1) | instid1(SALU_CYCLE_1)
	v_fmaak_f32 v40, s0, v39, 0x3ca908c9
	s_delay_alu instid0(VALU_DEP_1) | instskip(NEXT) | instid1(VALU_DEP_1)
	v_fmaak_f32 v40, v39, v40, 0xbd5c1c4e
	v_fmaak_f32 v40, v39, v40, 0x3e088382
	s_delay_alu instid0(VALU_DEP_1) | instskip(NEXT) | instid1(VALU_DEP_1)
	v_fmaak_f32 v40, v39, v40, 0xbeaaaa99
	v_mul_f32_e64 v40, |v187|, v40
	s_delay_alu instid0(VALU_DEP_1)
	v_fma_f32 v39, v39, v40, |v187|
; %bb.1152:
	s_or_b32 exec_lo, exec_lo, s9
	v_wmma_f32_16x16x16_f16 v[96:103], v[176:183], v[240:247], v[96:103]
	v_cmp_ngt_f32_e64 s0, 0x3f200000, |v188|
                                        ; implicit-def: $vgpr46
	s_delay_alu instid0(VALU_DEP_1) | instskip(NEXT) | instid1(SALU_CYCLE_1)
	s_and_saveexec_b32 s1, s0
	s_xor_b32 s0, exec_lo, s1
	s_cbranch_execz .LBB25_1154
; %bb.1153:
	v_add_f32_e64 v40, |v188|, |v188|
	s_delay_alu instid0(VALU_DEP_1) | instskip(SKIP_1) | instid1(VALU_DEP_2)
	v_mul_f32_e32 v46, 0x3fb8aa3b, v40
	v_cmp_ngt_f32_e32 vcc_lo, 0xc2ce8ed0, v40
	v_rndne_f32_e32 v47, v46
	v_fma_f32 v49, 0x3fb8aa3b, v40, -v46
	s_delay_alu instid0(VALU_DEP_1) | instskip(SKIP_1) | instid1(VALU_DEP_2)
	v_dual_sub_f32 v46, v46, v47 :: v_dual_fmamk_f32 v49, v40, 0x32a5705f, v49
	v_cvt_i32_f32_e32 v47, v47
	v_add_f32_e32 v46, v46, v49
	s_delay_alu instid0(VALU_DEP_1) | instskip(SKIP_2) | instid1(VALU_DEP_1)
	v_exp_f32_e32 v46, v46
	s_waitcnt_depctr 0xfff
	v_ldexp_f32 v46, v46, v47
	v_cndmask_b32_e32 v46, 0, v46, vcc_lo
	v_cmp_nlt_f32_e32 vcc_lo, 0x42b17218, v40
	s_delay_alu instid0(VALU_DEP_2) | instskip(NEXT) | instid1(VALU_DEP_1)
	v_cndmask_b32_e32 v40, 0x7f800000, v46, vcc_lo
	v_add_f32_e32 v40, 1.0, v40
	s_delay_alu instid0(VALU_DEP_1)
	v_rcp_f32_e32 v40, v40
	s_waitcnt_depctr 0xfff
	v_fma_f32 v46, v40, -2.0, 1.0
.LBB25_1154:
	s_or_saveexec_b32 s0, s0
	v_wmma_f32_16x16x16_f16 v[96:103], v[168:175], v[232:239], v[96:103]
	s_xor_b32 exec_lo, exec_lo, s0
; %bb.1155:
	v_mul_f32_e32 v40, v188, v188
	s_mov_b32 s1, 0xbbbac73d
	s_delay_alu instid0(VALU_DEP_1) | instid1(SALU_CYCLE_1)
	v_fmaak_f32 v46, s1, v40, 0x3ca908c9
	s_delay_alu instid0(VALU_DEP_1) | instskip(NEXT) | instid1(VALU_DEP_1)
	v_fmaak_f32 v46, v40, v46, 0xbd5c1c4e
	v_fmaak_f32 v46, v40, v46, 0x3e088382
	s_delay_alu instid0(VALU_DEP_1) | instskip(NEXT) | instid1(VALU_DEP_1)
	v_fmaak_f32 v46, v40, v46, 0xbeaaaa99
	v_mul_f32_e64 v46, |v188|, v46
	s_delay_alu instid0(VALU_DEP_1)
	v_fma_f32 v46, v40, v46, |v188|
; %bb.1156:
	s_or_b32 exec_lo, exec_lo, s0
	v_wmma_f32_16x16x16_f16 v[96:103], v[160:167], v[146:153], v[96:103]
	v_cmp_ngt_f32_e64 s0, 0x3f200000, |v189|
                                        ; implicit-def: $vgpr47
	s_delay_alu instid0(VALU_DEP_1) | instskip(NEXT) | instid1(SALU_CYCLE_1)
	s_and_saveexec_b32 s1, s0
	s_xor_b32 s0, exec_lo, s1
	s_cbranch_execz .LBB25_1158
; %bb.1157:
	v_add_f32_e64 v40, |v189|, |v189|
	s_delay_alu instid0(VALU_DEP_1) | instskip(SKIP_1) | instid1(VALU_DEP_2)
	v_mul_f32_e32 v47, 0x3fb8aa3b, v40
	v_cmp_ngt_f32_e32 vcc_lo, 0xc2ce8ed0, v40
	v_rndne_f32_e32 v49, v47
	v_fma_f32 v50, 0x3fb8aa3b, v40, -v47
	s_delay_alu instid0(VALU_DEP_1) | instskip(SKIP_1) | instid1(VALU_DEP_2)
	v_dual_sub_f32 v47, v47, v49 :: v_dual_fmamk_f32 v50, v40, 0x32a5705f, v50
	v_cvt_i32_f32_e32 v49, v49
	v_add_f32_e32 v47, v47, v50
	s_delay_alu instid0(VALU_DEP_1) | instskip(SKIP_2) | instid1(VALU_DEP_1)
	v_exp_f32_e32 v47, v47
	s_waitcnt_depctr 0xfff
	v_ldexp_f32 v47, v47, v49
	v_cndmask_b32_e32 v47, 0, v47, vcc_lo
	v_cmp_nlt_f32_e32 vcc_lo, 0x42b17218, v40
	s_delay_alu instid0(VALU_DEP_2) | instskip(NEXT) | instid1(VALU_DEP_1)
	v_cndmask_b32_e32 v40, 0x7f800000, v47, vcc_lo
	v_add_f32_e32 v40, 1.0, v40
	s_delay_alu instid0(VALU_DEP_1)
	v_rcp_f32_e32 v40, v40
	s_waitcnt_depctr 0xfff
	v_fma_f32 v47, v40, -2.0, 1.0
.LBB25_1158:
	s_or_saveexec_b32 s0, s0
	s_clause 0x1
	scratch_load_b128 v[49:52], off, off offset:320
	scratch_load_b128 v[53:56], off, off offset:336
	s_waitcnt vmcnt(0)
	v_wmma_f32_16x16x16_f16 v[96:103], v[49:56], v[138:145], v[96:103]
	s_xor_b32 exec_lo, exec_lo, s0
; %bb.1159:
	v_mul_f32_e32 v40, v189, v189
	s_mov_b32 s1, 0xbbbac73d
	s_delay_alu instid0(VALU_DEP_1) | instid1(SALU_CYCLE_1)
	v_fmaak_f32 v47, s1, v40, 0x3ca908c9
	s_delay_alu instid0(VALU_DEP_1) | instskip(NEXT) | instid1(VALU_DEP_1)
	v_fmaak_f32 v47, v40, v47, 0xbd5c1c4e
	v_fmaak_f32 v47, v40, v47, 0x3e088382
	s_delay_alu instid0(VALU_DEP_1) | instskip(NEXT) | instid1(VALU_DEP_1)
	v_fmaak_f32 v47, v40, v47, 0xbeaaaa99
	v_mul_f32_e64 v47, |v189|, v47
	s_delay_alu instid0(VALU_DEP_1)
	v_fma_f32 v47, v40, v47, |v189|
; %bb.1160:
	s_or_b32 exec_lo, exec_lo, s0
	s_clause 0x3
	scratch_load_b128 v[49:52], off, off offset:32
	scratch_load_b128 v[53:56], off, off offset:48
	;; [unrolled: 1-line block ×4, first 2 shown]
	v_cmp_ngt_f32_e64 s0, 0x3f200000, |v190|
	s_waitcnt vmcnt(0)
	v_wmma_f32_16x16x16_f16 v[96:103], v[81:88], v[49:56], v[96:103]
                                        ; implicit-def: $vgpr49
	s_delay_alu instid0(VALU_DEP_2) | instskip(NEXT) | instid1(SALU_CYCLE_1)
	s_and_saveexec_b32 s1, s0
	s_xor_b32 s0, exec_lo, s1
	s_cbranch_execz .LBB25_1162
; %bb.1161:
	v_add_f32_e64 v40, |v190|, |v190|
	s_delay_alu instid0(VALU_DEP_1) | instskip(SKIP_1) | instid1(VALU_DEP_2)
	v_mul_f32_e32 v49, 0x3fb8aa3b, v40
	v_cmp_ngt_f32_e32 vcc_lo, 0xc2ce8ed0, v40
	v_rndne_f32_e32 v50, v49
	v_fma_f32 v51, 0x3fb8aa3b, v40, -v49
	s_delay_alu instid0(VALU_DEP_2) | instskip(NEXT) | instid1(VALU_DEP_2)
	v_sub_f32_e32 v49, v49, v50
	v_fmamk_f32 v51, v40, 0x32a5705f, v51
	v_cvt_i32_f32_e32 v50, v50
	s_delay_alu instid0(VALU_DEP_2) | instskip(NEXT) | instid1(VALU_DEP_1)
	v_add_f32_e32 v49, v49, v51
	v_exp_f32_e32 v49, v49
	s_waitcnt_depctr 0xfff
	v_ldexp_f32 v49, v49, v50
	s_delay_alu instid0(VALU_DEP_1) | instskip(SKIP_1) | instid1(VALU_DEP_2)
	v_cndmask_b32_e32 v49, 0, v49, vcc_lo
	v_cmp_nlt_f32_e32 vcc_lo, 0x42b17218, v40
	v_cndmask_b32_e32 v40, 0x7f800000, v49, vcc_lo
	s_delay_alu instid0(VALU_DEP_1) | instskip(NEXT) | instid1(VALU_DEP_1)
	v_add_f32_e32 v40, 1.0, v40
	v_rcp_f32_e32 v40, v40
	s_waitcnt_depctr 0xfff
	v_fma_f32 v49, v40, -2.0, 1.0
.LBB25_1162:
	s_or_saveexec_b32 s0, s0
	s_clause 0x1
	scratch_load_b128 v[50:53], off, off offset:288
	scratch_load_b128 v[54:57], off, off offset:304
	s_waitcnt vmcnt(0)
	v_wmma_f32_16x16x16_f16 v[96:103], v[50:57], v[120:127], v[96:103]
	s_xor_b32 exec_lo, exec_lo, s0
; %bb.1163:
	v_mul_f32_e32 v40, v190, v190
	s_mov_b32 s1, 0xbbbac73d
	s_delay_alu instid0(VALU_DEP_1) | instid1(SALU_CYCLE_1)
	v_fmaak_f32 v49, s1, v40, 0x3ca908c9
	s_delay_alu instid0(VALU_DEP_1) | instskip(NEXT) | instid1(VALU_DEP_1)
	v_fmaak_f32 v49, v40, v49, 0xbd5c1c4e
	v_fmaak_f32 v49, v40, v49, 0x3e088382
	s_delay_alu instid0(VALU_DEP_1) | instskip(NEXT) | instid1(VALU_DEP_1)
	v_fmaak_f32 v49, v40, v49, 0xbeaaaa99
	v_mul_f32_e64 v49, |v190|, v49
	s_delay_alu instid0(VALU_DEP_1)
	v_fma_f32 v49, v40, v49, |v190|
; %bb.1164:
	s_or_b32 exec_lo, exec_lo, s0
	s_clause 0x1
	scratch_load_b128 v[50:53], off, off offset:256
	scratch_load_b128 v[54:57], off, off offset:272
	v_cmp_ngt_f32_e64 s0, 0x3f200000, |v191|
	s_waitcnt vmcnt(0)
	v_wmma_f32_16x16x16_f16 v[96:103], v[50:57], v[65:72], v[96:103]
                                        ; implicit-def: $vgpr52
	s_delay_alu instid0(VALU_DEP_2) | instskip(NEXT) | instid1(SALU_CYCLE_1)
	s_and_saveexec_b32 s1, s0
	s_xor_b32 s0, exec_lo, s1
	s_cbranch_execz .LBB25_1166
; %bb.1165:
	v_add_f32_e64 v40, |v191|, |v191|
	s_delay_alu instid0(VALU_DEP_1) | instskip(SKIP_1) | instid1(VALU_DEP_2)
	v_mul_f32_e32 v50, 0x3fb8aa3b, v40
	v_cmp_ngt_f32_e32 vcc_lo, 0xc2ce8ed0, v40
	v_rndne_f32_e32 v51, v50
	v_fma_f32 v52, 0x3fb8aa3b, v40, -v50
	s_delay_alu instid0(VALU_DEP_2) | instskip(NEXT) | instid1(VALU_DEP_2)
	v_sub_f32_e32 v50, v50, v51
	v_fmamk_f32 v52, v40, 0x32a5705f, v52
	v_cvt_i32_f32_e32 v51, v51
	s_delay_alu instid0(VALU_DEP_2) | instskip(NEXT) | instid1(VALU_DEP_1)
	v_add_f32_e32 v50, v50, v52
	v_exp_f32_e32 v50, v50
	s_waitcnt_depctr 0xfff
	v_ldexp_f32 v50, v50, v51
	s_delay_alu instid0(VALU_DEP_1) | instskip(SKIP_1) | instid1(VALU_DEP_2)
	v_cndmask_b32_e32 v50, 0, v50, vcc_lo
	v_cmp_nlt_f32_e32 vcc_lo, 0x42b17218, v40
	v_cndmask_b32_e32 v40, 0x7f800000, v50, vcc_lo
	s_delay_alu instid0(VALU_DEP_1) | instskip(NEXT) | instid1(VALU_DEP_1)
	v_add_f32_e32 v40, 1.0, v40
	v_rcp_f32_e32 v40, v40
	s_waitcnt_depctr 0xfff
	v_fma_f32 v52, v40, -2.0, 1.0
.LBB25_1166:
	s_or_saveexec_b32 s0, s0
	s_clause 0x3
	scratch_load_b128 v[53:56], off, off
	scratch_load_b128 v[57:60], off, off offset:16
	scratch_load_b128 v[65:68], off, off offset:224
	;; [unrolled: 1-line block ×3, first 2 shown]
	s_waitcnt vmcnt(0)
	v_wmma_f32_16x16x16_f16 v[96:103], v[65:72], v[53:60], v[96:103]
	s_xor_b32 exec_lo, exec_lo, s0
; %bb.1167:
	v_mul_f32_e32 v40, v191, v191
	s_mov_b32 s1, 0xbbbac73d
	s_delay_alu instid0(VALU_DEP_1) | instid1(SALU_CYCLE_1)
	v_fmaak_f32 v50, s1, v40, 0x3ca908c9
	s_delay_alu instid0(VALU_DEP_1) | instskip(NEXT) | instid1(VALU_DEP_1)
	v_fmaak_f32 v50, v40, v50, 0xbd5c1c4e
	v_fmaak_f32 v50, v40, v50, 0x3e088382
	s_delay_alu instid0(VALU_DEP_1) | instskip(NEXT) | instid1(VALU_DEP_1)
	v_fmaak_f32 v50, v40, v50, 0xbeaaaa99
	v_mul_f32_e64 v50, |v191|, v50
	s_delay_alu instid0(VALU_DEP_1)
	v_fma_f32 v52, v40, v50, |v191|
; %bb.1168:
	s_or_b32 exec_lo, exec_lo, s0
	v_cmp_ngt_f32_e64 s0, 0x3f200000, |v96|
                                        ; implicit-def: $vgpr50
	s_delay_alu instid0(VALU_DEP_1) | instskip(NEXT) | instid1(SALU_CYCLE_1)
	s_and_saveexec_b32 s1, s0
	s_xor_b32 s0, exec_lo, s1
	s_cbranch_execz .LBB25_1170
; %bb.1169:
	v_add_f32_e64 v40, |v96|, |v96|
	s_delay_alu instid0(VALU_DEP_1) | instskip(SKIP_1) | instid1(VALU_DEP_2)
	v_mul_f32_e32 v50, 0x3fb8aa3b, v40
	v_cmp_ngt_f32_e32 vcc_lo, 0xc2ce8ed0, v40
	v_rndne_f32_e32 v51, v50
	v_fma_f32 v53, 0x3fb8aa3b, v40, -v50
	s_delay_alu instid0(VALU_DEP_1) | instskip(SKIP_1) | instid1(VALU_DEP_2)
	v_dual_sub_f32 v50, v50, v51 :: v_dual_fmamk_f32 v53, v40, 0x32a5705f, v53
	v_cvt_i32_f32_e32 v51, v51
	v_add_f32_e32 v50, v50, v53
	s_delay_alu instid0(VALU_DEP_1) | instskip(SKIP_2) | instid1(VALU_DEP_1)
	v_exp_f32_e32 v50, v50
	s_waitcnt_depctr 0xfff
	v_ldexp_f32 v50, v50, v51
	v_cndmask_b32_e32 v50, 0, v50, vcc_lo
	v_cmp_nlt_f32_e32 vcc_lo, 0x42b17218, v40
	s_delay_alu instid0(VALU_DEP_2) | instskip(NEXT) | instid1(VALU_DEP_1)
	v_cndmask_b32_e32 v40, 0x7f800000, v50, vcc_lo
	v_add_f32_e32 v40, 1.0, v40
	s_delay_alu instid0(VALU_DEP_1)
	v_rcp_f32_e32 v40, v40
	s_waitcnt_depctr 0xfff
	v_fma_f32 v50, v40, -2.0, 1.0
.LBB25_1170:
	s_and_not1_saveexec_b32 s0, s0
; %bb.1171:
	v_mul_f32_e32 v40, v96, v96
	s_mov_b32 s1, 0xbbbac73d
	s_delay_alu instid0(VALU_DEP_1) | instid1(SALU_CYCLE_1)
	v_fmaak_f32 v50, s1, v40, 0x3ca908c9
	s_delay_alu instid0(VALU_DEP_1) | instskip(NEXT) | instid1(VALU_DEP_1)
	v_fmaak_f32 v50, v40, v50, 0xbd5c1c4e
	v_fmaak_f32 v50, v40, v50, 0x3e088382
	s_delay_alu instid0(VALU_DEP_1) | instskip(NEXT) | instid1(VALU_DEP_1)
	v_fmaak_f32 v50, v40, v50, 0xbeaaaa99
	v_mul_f32_e64 v50, |v96|, v50
	s_delay_alu instid0(VALU_DEP_1)
	v_fma_f32 v50, v40, v50, |v96|
; %bb.1172:
	s_or_b32 exec_lo, exec_lo, s0
	v_cmp_ngt_f32_e64 s0, 0x3f200000, |v97|
                                        ; implicit-def: $vgpr51
	s_delay_alu instid0(VALU_DEP_1) | instskip(NEXT) | instid1(SALU_CYCLE_1)
	s_and_saveexec_b32 s1, s0
	s_xor_b32 s0, exec_lo, s1
	s_cbranch_execz .LBB25_1174
; %bb.1173:
	v_add_f32_e64 v40, |v97|, |v97|
	s_delay_alu instid0(VALU_DEP_1) | instskip(SKIP_1) | instid1(VALU_DEP_2)
	v_mul_f32_e32 v51, 0x3fb8aa3b, v40
	v_cmp_ngt_f32_e32 vcc_lo, 0xc2ce8ed0, v40
	v_rndne_f32_e32 v53, v51
	v_fma_f32 v54, 0x3fb8aa3b, v40, -v51
	s_delay_alu instid0(VALU_DEP_1) | instskip(SKIP_1) | instid1(VALU_DEP_2)
	v_dual_sub_f32 v51, v51, v53 :: v_dual_fmamk_f32 v54, v40, 0x32a5705f, v54
	v_cvt_i32_f32_e32 v53, v53
	v_add_f32_e32 v51, v51, v54
	s_delay_alu instid0(VALU_DEP_1) | instskip(SKIP_2) | instid1(VALU_DEP_1)
	v_exp_f32_e32 v51, v51
	s_waitcnt_depctr 0xfff
	v_ldexp_f32 v51, v51, v53
	v_cndmask_b32_e32 v51, 0, v51, vcc_lo
	v_cmp_nlt_f32_e32 vcc_lo, 0x42b17218, v40
	s_delay_alu instid0(VALU_DEP_2) | instskip(NEXT) | instid1(VALU_DEP_1)
	v_cndmask_b32_e32 v40, 0x7f800000, v51, vcc_lo
	v_add_f32_e32 v40, 1.0, v40
	s_delay_alu instid0(VALU_DEP_1)
	v_rcp_f32_e32 v40, v40
	s_waitcnt_depctr 0xfff
	v_fma_f32 v51, v40, -2.0, 1.0
.LBB25_1174:
	s_and_not1_saveexec_b32 s0, s0
; %bb.1175:
	v_mul_f32_e32 v40, v97, v97
	s_mov_b32 s1, 0xbbbac73d
	s_delay_alu instid0(VALU_DEP_1) | instid1(SALU_CYCLE_1)
	v_fmaak_f32 v51, s1, v40, 0x3ca908c9
	s_delay_alu instid0(VALU_DEP_1) | instskip(NEXT) | instid1(VALU_DEP_1)
	v_fmaak_f32 v51, v40, v51, 0xbd5c1c4e
	v_fmaak_f32 v51, v40, v51, 0x3e088382
	s_delay_alu instid0(VALU_DEP_1) | instskip(NEXT) | instid1(VALU_DEP_1)
	v_fmaak_f32 v51, v40, v51, 0xbeaaaa99
	v_mul_f32_e64 v51, |v97|, v51
	s_delay_alu instid0(VALU_DEP_1)
	v_fma_f32 v51, v40, v51, |v97|
; %bb.1176:
	s_or_b32 exec_lo, exec_lo, s0
	v_cmp_ngt_f32_e64 s0, 0x3f200000, |v98|
                                        ; implicit-def: $vgpr53
	s_delay_alu instid0(VALU_DEP_1) | instskip(NEXT) | instid1(SALU_CYCLE_1)
	s_and_saveexec_b32 s1, s0
	s_xor_b32 s0, exec_lo, s1
	s_cbranch_execz .LBB25_1178
; %bb.1177:
	v_add_f32_e64 v40, |v98|, |v98|
	s_delay_alu instid0(VALU_DEP_1) | instskip(SKIP_1) | instid1(VALU_DEP_2)
	v_mul_f32_e32 v53, 0x3fb8aa3b, v40
	v_cmp_ngt_f32_e32 vcc_lo, 0xc2ce8ed0, v40
	v_rndne_f32_e32 v54, v53
	v_fma_f32 v55, 0x3fb8aa3b, v40, -v53
	s_delay_alu instid0(VALU_DEP_2) | instskip(NEXT) | instid1(VALU_DEP_2)
	v_sub_f32_e32 v53, v53, v54
	v_fmamk_f32 v55, v40, 0x32a5705f, v55
	v_cvt_i32_f32_e32 v54, v54
	s_delay_alu instid0(VALU_DEP_2) | instskip(NEXT) | instid1(VALU_DEP_1)
	v_add_f32_e32 v53, v53, v55
	v_exp_f32_e32 v53, v53
	s_waitcnt_depctr 0xfff
	v_ldexp_f32 v53, v53, v54
	s_delay_alu instid0(VALU_DEP_1) | instskip(SKIP_1) | instid1(VALU_DEP_2)
	v_cndmask_b32_e32 v53, 0, v53, vcc_lo
	v_cmp_nlt_f32_e32 vcc_lo, 0x42b17218, v40
	v_cndmask_b32_e32 v40, 0x7f800000, v53, vcc_lo
	s_delay_alu instid0(VALU_DEP_1) | instskip(NEXT) | instid1(VALU_DEP_1)
	v_add_f32_e32 v40, 1.0, v40
	v_rcp_f32_e32 v40, v40
	s_waitcnt_depctr 0xfff
	v_fma_f32 v53, v40, -2.0, 1.0
.LBB25_1178:
	s_and_not1_saveexec_b32 s0, s0
; %bb.1179:
	v_mul_f32_e32 v40, v98, v98
	s_mov_b32 s1, 0xbbbac73d
	s_delay_alu instid0(VALU_DEP_1) | instid1(SALU_CYCLE_1)
	v_fmaak_f32 v53, s1, v40, 0x3ca908c9
	s_delay_alu instid0(VALU_DEP_1) | instskip(NEXT) | instid1(VALU_DEP_1)
	v_fmaak_f32 v53, v40, v53, 0xbd5c1c4e
	v_fmaak_f32 v53, v40, v53, 0x3e088382
	s_delay_alu instid0(VALU_DEP_1) | instskip(NEXT) | instid1(VALU_DEP_1)
	v_fmaak_f32 v53, v40, v53, 0xbeaaaa99
	v_mul_f32_e64 v53, |v98|, v53
	s_delay_alu instid0(VALU_DEP_1)
	v_fma_f32 v53, v40, v53, |v98|
; %bb.1180:
	s_or_b32 exec_lo, exec_lo, s0
	v_cmp_ngt_f32_e64 s0, 0x3f200000, |v99|
                                        ; implicit-def: $vgpr54
	s_delay_alu instid0(VALU_DEP_1) | instskip(NEXT) | instid1(SALU_CYCLE_1)
	s_and_saveexec_b32 s1, s0
	s_xor_b32 s0, exec_lo, s1
	s_cbranch_execz .LBB25_1182
; %bb.1181:
	v_add_f32_e64 v40, |v99|, |v99|
	s_delay_alu instid0(VALU_DEP_1) | instskip(SKIP_1) | instid1(VALU_DEP_2)
	v_mul_f32_e32 v54, 0x3fb8aa3b, v40
	v_cmp_ngt_f32_e32 vcc_lo, 0xc2ce8ed0, v40
	v_rndne_f32_e32 v55, v54
	v_fma_f32 v56, 0x3fb8aa3b, v40, -v54
	s_delay_alu instid0(VALU_DEP_2) | instskip(NEXT) | instid1(VALU_DEP_2)
	v_sub_f32_e32 v54, v54, v55
	v_fmamk_f32 v56, v40, 0x32a5705f, v56
	v_cvt_i32_f32_e32 v55, v55
	s_delay_alu instid0(VALU_DEP_2) | instskip(NEXT) | instid1(VALU_DEP_1)
	v_add_f32_e32 v54, v54, v56
	v_exp_f32_e32 v54, v54
	s_waitcnt_depctr 0xfff
	v_ldexp_f32 v54, v54, v55
	s_delay_alu instid0(VALU_DEP_1) | instskip(SKIP_1) | instid1(VALU_DEP_2)
	v_cndmask_b32_e32 v54, 0, v54, vcc_lo
	v_cmp_nlt_f32_e32 vcc_lo, 0x42b17218, v40
	v_cndmask_b32_e32 v40, 0x7f800000, v54, vcc_lo
	s_delay_alu instid0(VALU_DEP_1) | instskip(NEXT) | instid1(VALU_DEP_1)
	v_add_f32_e32 v40, 1.0, v40
	v_rcp_f32_e32 v40, v40
	s_waitcnt_depctr 0xfff
	v_fma_f32 v54, v40, -2.0, 1.0
.LBB25_1182:
	s_and_not1_saveexec_b32 s0, s0
; %bb.1183:
	v_mul_f32_e32 v40, v99, v99
	s_mov_b32 s1, 0xbbbac73d
	s_delay_alu instid0(VALU_DEP_1) | instid1(SALU_CYCLE_1)
	v_fmaak_f32 v54, s1, v40, 0x3ca908c9
	s_delay_alu instid0(VALU_DEP_1) | instskip(NEXT) | instid1(VALU_DEP_1)
	v_fmaak_f32 v54, v40, v54, 0xbd5c1c4e
	v_fmaak_f32 v54, v40, v54, 0x3e088382
	s_delay_alu instid0(VALU_DEP_1) | instskip(NEXT) | instid1(VALU_DEP_1)
	v_fmaak_f32 v54, v40, v54, 0xbeaaaa99
	v_mul_f32_e64 v54, |v99|, v54
	s_delay_alu instid0(VALU_DEP_1)
	v_fma_f32 v54, v40, v54, |v99|
; %bb.1184:
	s_or_b32 exec_lo, exec_lo, s0
	v_cmp_ngt_f32_e64 s0, 0x3f200000, |v100|
                                        ; implicit-def: $vgpr55
	s_delay_alu instid0(VALU_DEP_1) | instskip(NEXT) | instid1(SALU_CYCLE_1)
	s_and_saveexec_b32 s1, s0
	s_xor_b32 s0, exec_lo, s1
	s_cbranch_execz .LBB25_1186
; %bb.1185:
	v_add_f32_e64 v40, |v100|, |v100|
	s_delay_alu instid0(VALU_DEP_1) | instskip(SKIP_1) | instid1(VALU_DEP_2)
	v_mul_f32_e32 v55, 0x3fb8aa3b, v40
	v_cmp_ngt_f32_e32 vcc_lo, 0xc2ce8ed0, v40
	v_rndne_f32_e32 v56, v55
	v_fma_f32 v57, 0x3fb8aa3b, v40, -v55
	s_delay_alu instid0(VALU_DEP_2) | instskip(NEXT) | instid1(VALU_DEP_2)
	v_sub_f32_e32 v55, v55, v56
	v_fmamk_f32 v57, v40, 0x32a5705f, v57
	v_cvt_i32_f32_e32 v56, v56
	s_delay_alu instid0(VALU_DEP_2) | instskip(NEXT) | instid1(VALU_DEP_1)
	v_add_f32_e32 v55, v55, v57
	v_exp_f32_e32 v55, v55
	s_waitcnt_depctr 0xfff
	v_ldexp_f32 v55, v55, v56
	s_delay_alu instid0(VALU_DEP_1) | instskip(SKIP_1) | instid1(VALU_DEP_2)
	v_cndmask_b32_e32 v55, 0, v55, vcc_lo
	v_cmp_nlt_f32_e32 vcc_lo, 0x42b17218, v40
	v_cndmask_b32_e32 v40, 0x7f800000, v55, vcc_lo
	s_delay_alu instid0(VALU_DEP_1) | instskip(NEXT) | instid1(VALU_DEP_1)
	v_add_f32_e32 v40, 1.0, v40
	v_rcp_f32_e32 v40, v40
	s_waitcnt_depctr 0xfff
	v_fma_f32 v55, v40, -2.0, 1.0
.LBB25_1186:
	s_and_not1_saveexec_b32 s0, s0
; %bb.1187:
	v_mul_f32_e32 v40, v100, v100
	s_mov_b32 s1, 0xbbbac73d
	s_delay_alu instid0(VALU_DEP_1) | instid1(SALU_CYCLE_1)
	v_fmaak_f32 v55, s1, v40, 0x3ca908c9
	s_delay_alu instid0(VALU_DEP_1) | instskip(NEXT) | instid1(VALU_DEP_1)
	v_fmaak_f32 v55, v40, v55, 0xbd5c1c4e
	v_fmaak_f32 v55, v40, v55, 0x3e088382
	s_delay_alu instid0(VALU_DEP_1) | instskip(NEXT) | instid1(VALU_DEP_1)
	v_fmaak_f32 v55, v40, v55, 0xbeaaaa99
	v_mul_f32_e64 v55, |v100|, v55
	s_delay_alu instid0(VALU_DEP_1)
	v_fma_f32 v55, v40, v55, |v100|
; %bb.1188:
	s_or_b32 exec_lo, exec_lo, s0
	v_cmp_ngt_f32_e64 s0, 0x3f200000, |v101|
                                        ; implicit-def: $vgpr56
	s_delay_alu instid0(VALU_DEP_1) | instskip(NEXT) | instid1(SALU_CYCLE_1)
	s_and_saveexec_b32 s1, s0
	s_xor_b32 s0, exec_lo, s1
	s_cbranch_execz .LBB25_1190
; %bb.1189:
	v_add_f32_e64 v40, |v101|, |v101|
	s_delay_alu instid0(VALU_DEP_1) | instskip(SKIP_1) | instid1(VALU_DEP_2)
	v_mul_f32_e32 v56, 0x3fb8aa3b, v40
	v_cmp_ngt_f32_e32 vcc_lo, 0xc2ce8ed0, v40
	v_rndne_f32_e32 v57, v56
	v_fma_f32 v58, 0x3fb8aa3b, v40, -v56
	s_delay_alu instid0(VALU_DEP_2) | instskip(NEXT) | instid1(VALU_DEP_2)
	v_sub_f32_e32 v56, v56, v57
	v_fmamk_f32 v58, v40, 0x32a5705f, v58
	v_cvt_i32_f32_e32 v57, v57
	s_delay_alu instid0(VALU_DEP_2) | instskip(NEXT) | instid1(VALU_DEP_1)
	v_add_f32_e32 v56, v56, v58
	v_exp_f32_e32 v56, v56
	s_waitcnt_depctr 0xfff
	v_ldexp_f32 v56, v56, v57
	s_delay_alu instid0(VALU_DEP_1) | instskip(SKIP_1) | instid1(VALU_DEP_2)
	v_cndmask_b32_e32 v56, 0, v56, vcc_lo
	v_cmp_nlt_f32_e32 vcc_lo, 0x42b17218, v40
	v_cndmask_b32_e32 v40, 0x7f800000, v56, vcc_lo
	s_delay_alu instid0(VALU_DEP_1) | instskip(NEXT) | instid1(VALU_DEP_1)
	v_add_f32_e32 v40, 1.0, v40
	v_rcp_f32_e32 v40, v40
	s_waitcnt_depctr 0xfff
	v_fma_f32 v56, v40, -2.0, 1.0
.LBB25_1190:
	s_and_not1_saveexec_b32 s0, s0
; %bb.1191:
	v_mul_f32_e32 v40, v101, v101
	s_mov_b32 s1, 0xbbbac73d
	s_delay_alu instid0(VALU_DEP_1) | instid1(SALU_CYCLE_1)
	v_fmaak_f32 v56, s1, v40, 0x3ca908c9
	s_delay_alu instid0(VALU_DEP_1) | instskip(NEXT) | instid1(VALU_DEP_1)
	v_fmaak_f32 v56, v40, v56, 0xbd5c1c4e
	v_fmaak_f32 v56, v40, v56, 0x3e088382
	s_delay_alu instid0(VALU_DEP_1) | instskip(NEXT) | instid1(VALU_DEP_1)
	v_fmaak_f32 v56, v40, v56, 0xbeaaaa99
	v_mul_f32_e64 v56, |v101|, v56
	s_delay_alu instid0(VALU_DEP_1)
	v_fma_f32 v56, v40, v56, |v101|
; %bb.1192:
	s_or_b32 exec_lo, exec_lo, s0
	v_cmp_ngt_f32_e64 s0, 0x3f200000, |v102|
                                        ; implicit-def: $vgpr57
	s_delay_alu instid0(VALU_DEP_1) | instskip(NEXT) | instid1(SALU_CYCLE_1)
	s_and_saveexec_b32 s1, s0
	s_xor_b32 s0, exec_lo, s1
	s_cbranch_execz .LBB25_1194
; %bb.1193:
	v_add_f32_e64 v40, |v102|, |v102|
	s_delay_alu instid0(VALU_DEP_1) | instskip(SKIP_1) | instid1(VALU_DEP_2)
	v_mul_f32_e32 v57, 0x3fb8aa3b, v40
	v_cmp_ngt_f32_e32 vcc_lo, 0xc2ce8ed0, v40
	v_rndne_f32_e32 v58, v57
	v_fma_f32 v59, 0x3fb8aa3b, v40, -v57
	s_delay_alu instid0(VALU_DEP_2) | instskip(NEXT) | instid1(VALU_DEP_2)
	v_sub_f32_e32 v57, v57, v58
	v_fmamk_f32 v59, v40, 0x32a5705f, v59
	v_cvt_i32_f32_e32 v58, v58
	s_delay_alu instid0(VALU_DEP_2) | instskip(NEXT) | instid1(VALU_DEP_1)
	v_add_f32_e32 v57, v57, v59
	v_exp_f32_e32 v57, v57
	s_waitcnt_depctr 0xfff
	v_ldexp_f32 v57, v57, v58
	s_delay_alu instid0(VALU_DEP_1) | instskip(SKIP_1) | instid1(VALU_DEP_2)
	v_cndmask_b32_e32 v57, 0, v57, vcc_lo
	v_cmp_nlt_f32_e32 vcc_lo, 0x42b17218, v40
	v_cndmask_b32_e32 v40, 0x7f800000, v57, vcc_lo
	s_delay_alu instid0(VALU_DEP_1) | instskip(NEXT) | instid1(VALU_DEP_1)
	v_add_f32_e32 v40, 1.0, v40
	v_rcp_f32_e32 v40, v40
	s_waitcnt_depctr 0xfff
	v_fma_f32 v57, v40, -2.0, 1.0
.LBB25_1194:
	s_and_not1_saveexec_b32 s0, s0
; %bb.1195:
	v_mul_f32_e32 v40, v102, v102
	s_mov_b32 s1, 0xbbbac73d
	s_delay_alu instid0(VALU_DEP_1) | instid1(SALU_CYCLE_1)
	v_fmaak_f32 v57, s1, v40, 0x3ca908c9
	s_delay_alu instid0(VALU_DEP_1) | instskip(NEXT) | instid1(VALU_DEP_1)
	v_fmaak_f32 v57, v40, v57, 0xbd5c1c4e
	v_fmaak_f32 v57, v40, v57, 0x3e088382
	s_delay_alu instid0(VALU_DEP_1) | instskip(NEXT) | instid1(VALU_DEP_1)
	v_fmaak_f32 v57, v40, v57, 0xbeaaaa99
	v_mul_f32_e64 v57, |v102|, v57
	s_delay_alu instid0(VALU_DEP_1)
	v_fma_f32 v57, v40, v57, |v102|
; %bb.1196:
	s_or_b32 exec_lo, exec_lo, s0
	v_cmp_ngt_f32_e64 s0, 0x3f200000, |v103|
                                        ; implicit-def: $vgpr40
	s_delay_alu instid0(VALU_DEP_1) | instskip(NEXT) | instid1(SALU_CYCLE_1)
	s_and_saveexec_b32 s1, s0
	s_xor_b32 s0, exec_lo, s1
	s_cbranch_execz .LBB25_1198
; %bb.1197:
	v_add_f32_e64 v40, |v103|, |v103|
	s_delay_alu instid0(VALU_DEP_1) | instskip(SKIP_1) | instid1(VALU_DEP_2)
	v_mul_f32_e32 v58, 0x3fb8aa3b, v40
	v_cmp_ngt_f32_e32 vcc_lo, 0xc2ce8ed0, v40
	v_rndne_f32_e32 v59, v58
	v_fma_f32 v60, 0x3fb8aa3b, v40, -v58
	s_delay_alu instid0(VALU_DEP_2) | instskip(NEXT) | instid1(VALU_DEP_2)
	v_sub_f32_e32 v58, v58, v59
	v_fmamk_f32 v60, v40, 0x32a5705f, v60
	v_cvt_i32_f32_e32 v59, v59
	s_delay_alu instid0(VALU_DEP_2) | instskip(NEXT) | instid1(VALU_DEP_1)
	v_add_f32_e32 v58, v58, v60
	v_exp_f32_e32 v58, v58
	s_waitcnt_depctr 0xfff
	v_ldexp_f32 v58, v58, v59
	s_delay_alu instid0(VALU_DEP_1) | instskip(SKIP_1) | instid1(VALU_DEP_2)
	v_cndmask_b32_e32 v58, 0, v58, vcc_lo
	v_cmp_nlt_f32_e32 vcc_lo, 0x42b17218, v40
	v_cndmask_b32_e32 v40, 0x7f800000, v58, vcc_lo
	s_delay_alu instid0(VALU_DEP_1) | instskip(NEXT) | instid1(VALU_DEP_1)
	v_add_f32_e32 v40, 1.0, v40
	v_rcp_f32_e32 v40, v40
	s_waitcnt_depctr 0xfff
	v_fma_f32 v40, v40, -2.0, 1.0
.LBB25_1198:
	s_and_not1_saveexec_b32 s0, s0
; %bb.1199:
	v_mul_f32_e32 v40, v103, v103
	s_mov_b32 s1, 0xbbbac73d
	s_delay_alu instid0(VALU_DEP_1) | instid1(SALU_CYCLE_1)
	v_fmaak_f32 v58, s1, v40, 0x3ca908c9
	s_delay_alu instid0(VALU_DEP_1) | instskip(NEXT) | instid1(VALU_DEP_1)
	v_fmaak_f32 v58, v40, v58, 0xbd5c1c4e
	v_fmaak_f32 v58, v40, v58, 0x3e088382
	s_delay_alu instid0(VALU_DEP_1) | instskip(NEXT) | instid1(VALU_DEP_1)
	v_fmaak_f32 v58, v40, v58, 0xbeaaaa99
	v_mul_f32_e64 v58, |v103|, v58
	s_delay_alu instid0(VALU_DEP_1)
	v_fma_f32 v40, v40, v58, |v103|
; %bb.1200:
	s_or_b32 exec_lo, exec_lo, s0
	s_clause 0x2
	scratch_load_b32 v148, off, off offset:1048
	scratch_load_b32 v149, off, off offset:1640
	;; [unrolled: 1-line block ×3, first 2 shown]
	v_bfi_b32 v66, 0x7fffffff, v49, v190
	v_bfi_b32 v49, 0x7fffffff, v32, v116
	;; [unrolled: 1-line block ×28, first 2 shown]
	s_mul_hi_i32 s1, s8, s10
	s_mul_i32 s0, s8, s10
	s_delay_alu instid0(SALU_CYCLE_1) | instskip(NEXT) | instid1(SALU_CYCLE_1)
	s_lshl_b64 s[0:1], s[0:1], 2
	s_add_u32 s11, s11, s0
	s_addc_u32 s12, s13, s1
	s_waitcnt vmcnt(1)
	v_and_or_b32 v32, v148, 12, v149
	s_waitcnt vmcnt(0)
	v_lshlrev_b32_e32 v33, 1, v93
	s_delay_alu instid0(VALU_DEP_2) | instskip(NEXT) | instid1(VALU_DEP_1)
	v_lshrrev_b32_e32 v32, 2, v32
	v_mul_u32_u24_e32 v32, 0x90, v32
	s_delay_alu instid0(VALU_DEP_1)
	v_add3_u32 v41, 0, v32, v33
	v_bfi_b32 v33, 0x7fffffff, v254, v105
	ds_load_u16 v32, v41 offset:17408
	ds_load_u16 v52, v41 offset:17412
	ds_load_u16 v64, v41 offset:17416
	ds_load_u16 v69, v41 offset:17420
	ds_load_u16 v70, v41 offset:17424
	ds_load_u16 v71, v41 offset:17428
	ds_load_u16 v72, v41 offset:17432
	ds_load_u16 v50, v41 offset:17436
	ds_load_u16 v51, v41 offset:17440
	ds_load_u16 v54, v41 offset:17444
	ds_load_u16 v76, v41 offset:17448
	ds_load_u16 v77, v41 offset:17452
	ds_load_u16 v78, v41 offset:17456
	s_waitcnt lgkmcnt(5)
	v_fma_mix_f32 v39, v39, s33, v50 op_sel_hi:[0,0,1]
	v_fma_mix_f32 v32, v34, s33, v32 op_sel_hi:[0,0,1]
	;; [unrolled: 1-line block ×4, first 2 shown]
	ds_load_u16 v64, v41 offset:17460
	v_fma_mix_f32 v35, v36, s33, v69 op_sel_hi:[0,0,1]
	v_dual_add_f32 v52, 0x40051340, v32 :: v_dual_add_f32 v53, 0x40051340, v33
	v_fma_mix_f32 v36, v37, s33, v70 op_sel_hi:[0,0,1]
	v_fma_mix_f32 v37, v38, s33, v71 op_sel_hi:[0,0,1]
	;; [unrolled: 1-line block ×3, first 2 shown]
	v_add_f32_e32 v69, 0x40051340, v35
	v_max3_f32 v48, v128, v52, v53
	v_add_f32_e32 v50, 0x40051340, v36
	v_add_f32_e32 v52, 0x40051340, v34
	ds_load_u16 v70, v41 offset:17464
	ds_load_u16 v71, v41 offset:17468
	s_waitcnt lgkmcnt(7)
	v_fma_mix_f32 v53, v42, s33, v51 op_sel_hi:[0,0,1]
	s_waitcnt lgkmcnt(6)
	v_fma_mix_f32 v51, v43, s33, v54 op_sel_hi:[0,0,1]
	v_max3_f32 v48, v48, v52, v69
	v_dual_add_f32 v52, 0x40051340, v37 :: v_dual_add_f32 v69, 0x40051340, v38
	ds_load_u16 v43, v41 offset:17472
	ds_load_u16 v54, v41 offset:17476
	v_bfi_b32 v42, 0x7fffffff, v55, v100
	v_add_f32_e32 v72, 0x40051340, v39
	v_max3_f32 v55, v48, v50, v52
	s_waitcnt lgkmcnt(4)
	v_fma_mix_f32 v48, v67, s33, v64 op_sel_hi:[0,0,1]
	ds_load_u16 v67, v41 offset:17480
	v_fma_mix_f32 v52, v44, s33, v76 op_sel_hi:[0,0,1]
	v_fma_mix_f32 v50, v47, s33, v77 op_sel_hi:[0,0,1]
	v_max3_f32 v44, v55, v69, v72
	v_dual_add_f32 v55, 0x40051340, v53 :: v_dual_add_f32 v64, 0x40051340, v51
	v_fma_mix_f32 v49, v49, s33, v78 op_sel_hi:[0,0,1]
	s_waitcnt lgkmcnt(4)
	v_fma_mix_f32 v47, v68, s33, v70 op_sel_hi:[0,0,1]
	ds_load_u16 v68, v41 offset:17484
	v_max3_f32 v44, v44, v55, v64
	v_add_f32_e32 v55, 0x40051340, v52
	s_waitcnt lgkmcnt(4)
	v_fma_mix_f32 v46, v46, s33, v71 op_sel_hi:[0,0,1]
	s_waitcnt lgkmcnt(3)
	v_fma_mix_f32 v90, v59, s33, v43 op_sel_hi:[0,0,1]
	;; [unrolled: 2-line block ×3, first 2 shown]
	ds_load_u16 v59, v41 offset:17488
	ds_load_u16 v60, v41 offset:17492
	v_dual_add_f32 v54, 0x40051340, v48 :: v_dual_add_f32 v71, 0x40051340, v46
	s_waitcnt lgkmcnt(3)
	v_fma_mix_f32 v91, v61, s33, v67 op_sel_hi:[0,0,1]
	v_add_f32_e32 v67, 0x40051340, v90
	v_add_f32_e32 v64, 0x40051340, v50
	s_delay_alu instid0(VALU_DEP_1)
	v_max3_f32 v43, v44, v55, v64
	ds_load_u16 v55, v41 offset:17496
	ds_load_u16 v64, v41 offset:17500
	;; [unrolled: 1-line block ×4, first 2 shown]
	v_add_f32_e32 v44, 0x40051340, v49
	ds_load_u16 v61, v41 offset:17512
	s_waitcnt lgkmcnt(7)
	v_fma_mix_f32 v88, v62, s33, v68 op_sel_hi:[0,0,1]
	v_max3_f32 v43, v43, v44, v54
	ds_load_u16 v54, v41 offset:17516
	v_add_f32_e32 v44, 0x40051340, v47
	s_waitcnt lgkmcnt(7)
	v_fma_mix_f32 v86, v63, s33, v59 op_sel_hi:[0,0,1]
	v_add_f32_e32 v59, 0x40051340, v88
	s_waitcnt lgkmcnt(6)
	v_fma_mix_f32 v85, v65, s33, v60 op_sel_hi:[0,0,1]
	v_max3_f32 v62, v43, v44, v71
	v_bfi_b32 v44, 0x7fffffff, v56, v101
	v_bfi_b32 v43, 0x7fffffff, v57, v102
	v_add_f32_e32 v57, 0x40051340, v91
	s_waitcnt lgkmcnt(5)
	v_fma_mix_f32 v84, v66, s33, v55 op_sel_hi:[0,0,1]
	s_waitcnt lgkmcnt(4)
	v_fma_mix_f32 v83, v58, s33, v64 op_sel_hi:[0,0,1]
	scratch_load_b32 v58, off, off offset:888 ; 4-byte Folded Reload
	v_add_f32_e32 v68, 0x40051340, v89
	s_waitcnt lgkmcnt(3)
	v_fma_mix_f32 v82, v73, s33, v69 op_sel_hi:[0,0,1]
	s_waitcnt lgkmcnt(1)
	v_fma_mix_f32 v79, v75, s33, v61 op_sel_hi:[0,0,1]
	v_fma_mix_f32 v81, v74, s33, v70 op_sel_hi:[0,0,1]
	v_max3_f32 v56, v62, v67, v68
	s_waitcnt lgkmcnt(0)
	v_fma_mix_f32 v101, v45, s33, v54 op_sel_hi:[0,0,1]
	ds_load_u16 v45, v41 offset:17520
	ds_load_u16 v60, v41 offset:17524
	;; [unrolled: 1-line block ×3, first 2 shown]
	v_max3_f32 v55, v56, v57, v59
	v_dual_add_f32 v56, 0x40051340, v86 :: v_dual_add_f32 v57, 0x40051340, v85
	ds_load_u16 v41, v41 offset:17532
	v_max3_f32 v54, v55, v56, v57
	v_dual_add_f32 v55, 0x40051340, v84 :: v_dual_add_f32 v56, 0x40051340, v83
	v_add_f32_e32 v57, 0x40051340, v82
	s_delay_alu instid0(VALU_DEP_2)
	v_max3_f32 v56, v54, v55, v56
	s_waitcnt lgkmcnt(3)
	v_fma_mix_f32 v105, v42, s33, v45 op_sel_hi:[0,0,1]
	s_waitcnt lgkmcnt(1)
	v_fma_mix_f32 v103, v43, s33, v61 op_sel_hi:[0,0,1]
	v_add_f32_e32 v62, 0x40051340, v101
	v_fma_mix_f32 v104, v44, s33, v60 op_sel_hi:[0,0,1]
	s_waitcnt lgkmcnt(0)
	v_fma_mix_f32 v102, v40, s33, v41 op_sel_hi:[0,0,1]
	v_add_f32_e32 v41, 0x40051340, v103
	v_add_f32_e32 v45, 0x40051340, v105
	s_waitcnt vmcnt(0)
	v_mul_lo_u32 v58, v58, s10
	s_delay_alu instid0(VALU_DEP_1) | instskip(NEXT) | instid1(VALU_DEP_1)
	v_ashrrev_i32_e32 v59, 31, v58
	v_lshlrev_b64 v[54:55], 2, v[58:59]
	v_dual_add_f32 v58, 0x40051340, v81 :: v_dual_add_f32 v59, 0x40051340, v79
	s_delay_alu instid0(VALU_DEP_1) | instskip(NEXT) | instid1(VALU_DEP_3)
	v_max3_f32 v58, v56, v57, v58
	v_add_co_u32 v54, vcc_lo, s11, v54
	s_delay_alu instid0(VALU_DEP_4) | instskip(NEXT) | instid1(VALU_DEP_3)
	v_add_co_ci_u32_e32 v55, vcc_lo, s12, v55, vcc_lo
	v_max3_f32 v42, v58, v59, v62
	v_mbcnt_lo_u32_b32 v59, -1, 0
	s_delay_alu instid0(VALU_DEP_4) | instskip(NEXT) | instid1(VALU_DEP_4)
	v_add_co_u32 v54, vcc_lo, v54, v249
	v_add_co_ci_u32_e32 v55, vcc_lo, v55, v250, vcc_lo
	s_delay_alu instid0(VALU_DEP_3)
	v_xor_b32_e32 v44, 16, v59
	v_add_f32_e32 v58, 0x40051340, v104
	global_load_b128 v[54:57], v[54:55], off
	v_cmp_gt_i32_e32 vcc_lo, 32, v44
	v_max3_f32 v40, v42, v45, v58
	v_dual_add_f32 v42, 0x40051340, v102 :: v_dual_cndmask_b32 v43, v59, v44
	s_delay_alu instid0(VALU_DEP_1)
	v_max3_f32 v40, v40, v41, v42
	scratch_load_b32 v42, off, off offset:856 ; 4-byte Folded Reload
	v_lshlrev_b32_e32 v87, 2, v43
	ds_bpermute_b32 v41, v87, v40
	s_waitcnt lgkmcnt(0)
	v_max_f32_e32 v41, v41, v41
	s_delay_alu instid0(VALU_DEP_1) | instskip(NEXT) | instid1(VALU_DEP_1)
	v_max_f32_e32 v80, v40, v41
	v_sub_f32_e32 v45, v128, v80
	v_sub_f32_e32 v33, v33, v80
	;; [unrolled: 1-line block ×5, first 2 shown]
	v_mul_f32_e32 v40, 0x3fb8aa3b, v45
	v_cmp_ngt_f32_e32 vcc_lo, 0xc2ce8ed0, v45
	v_cmp_nlt_f32_e64 s0, 0x42b17218, v45
	v_dual_sub_f32 v37, v37, v80 :: v_dual_mul_f32 v66, 0x3fb8aa3b, v33
	s_delay_alu instid0(VALU_DEP_4) | instskip(SKIP_3) | instid1(VALU_DEP_3)
	v_fma_f32 v41, 0x3fb8aa3b, v45, -v40
	v_rndne_f32_e32 v43, v40
	v_mul_f32_e32 v67, 0x3fb8aa3b, v34
	v_dual_sub_f32 v39, v39, v80 :: v_dual_mul_f32 v68, 0x3fb8aa3b, v35
	v_dual_fmac_f32 v41, 0x32a5705f, v45 :: v_dual_sub_f32 v40, v40, v43
	v_cvt_i32_f32_e32 v43, v43
	v_cmp_ngt_f32_e64 s5, 0xc2ce8ed0, v35
	v_cmp_nlt_f32_e64 s6, 0x42b17218, v35
	v_cmp_ngt_f32_e64 s1, 0xc2ce8ed0, v33
	v_add_f32_e32 v40, v40, v41
	v_cmp_nlt_f32_e64 s2, 0x42b17218, v33
	v_cmp_ngt_f32_e64 s9, 0xc2ce8ed0, v37
	v_sub_f32_e32 v53, v53, v80
	v_sub_f32_e32 v51, v51, v80
	v_exp_f32_e32 v41, v40
	scratch_load_b32 v40, off, off offset:852 ; 4-byte Folded Reload
	v_sub_f32_e32 v49, v49, v80
	v_sub_f32_e32 v47, v47, v80
	v_ldexp_f32 v44, v41, v43
	s_delay_alu instid0(VALU_DEP_1) | instskip(SKIP_3) | instid1(VALU_DEP_1)
	v_cndmask_b32_e32 v58, 0, v44, vcc_lo
	v_cmp_le_f32_e32 vcc_lo, 0xc1a00000, v45
	s_waitcnt vmcnt(1)
	v_mul_lo_u32 v42, v42, s10
	v_ashrrev_i32_e32 v43, 31, v42
	s_delay_alu instid0(VALU_DEP_1) | instskip(SKIP_1) | instid1(VALU_DEP_1)
	v_lshlrev_b64 v[43:44], 2, v[42:43]
	v_cndmask_b32_e64 v42, 0x7f800000, v58, s0
	v_cndmask_b32_e32 v92, 0, v42, vcc_lo
	s_delay_alu instid0(VALU_DEP_1) | instskip(NEXT) | instid1(VALU_DEP_1)
	v_cvt_f16_f32_e32 v62, v92
	v_pk_mul_f16 v24, v62, v24 op_sel_hi:[0,1]
	v_pk_mul_f16 v25, v62, v25 op_sel_hi:[0,1]
	;; [unrolled: 1-line block ×32, first 2 shown]
	s_waitcnt vmcnt(0)
	v_mul_lo_u32 v40, v40, s10
	s_delay_alu instid0(VALU_DEP_1) | instskip(NEXT) | instid1(VALU_DEP_1)
	v_ashrrev_i32_e32 v41, 31, v40
	v_lshlrev_b64 v[40:41], 2, v[40:41]
	s_delay_alu instid0(VALU_DEP_1) | instskip(NEXT) | instid1(VALU_DEP_1)
	v_add_co_u32 v40, s0, s11, v40
	v_add_co_ci_u32_e64 v41, s0, s12, v41, s0
	v_cmp_nlt_f32_e64 s0, 0x42b17218, v32
	s_delay_alu instid0(VALU_DEP_3) | instskip(NEXT) | instid1(VALU_DEP_3)
	v_add_co_u32 v40, vcc_lo, v40, v249
	v_add_co_ci_u32_e32 v41, vcc_lo, v41, v250, vcc_lo
	v_add_co_u32 v45, vcc_lo, s11, v43
	v_add_co_ci_u32_e32 v58, vcc_lo, s12, v44, vcc_lo
	global_load_b128 v[40:43], v[40:41], off
	v_add_co_u32 v44, vcc_lo, v45, v249
	v_add_co_ci_u32_e32 v45, vcc_lo, v58, v250, vcc_lo
	global_load_b128 v[58:61], v[44:45], off
	scratch_load_b32 v44, off, off offset:848 ; 4-byte Folded Reload
	s_waitcnt vmcnt(0)
	v_mul_lo_u32 v44, v44, s10
	s_delay_alu instid0(VALU_DEP_1) | instskip(NEXT) | instid1(VALU_DEP_1)
	v_ashrrev_i32_e32 v45, 31, v44
	v_lshlrev_b64 v[44:45], 2, v[44:45]
	s_delay_alu instid0(VALU_DEP_1) | instskip(NEXT) | instid1(VALU_DEP_2)
	v_add_co_u32 v44, vcc_lo, s11, v44
	v_add_co_ci_u32_e32 v45, vcc_lo, s12, v45, vcc_lo
	s_delay_alu instid0(VALU_DEP_2) | instskip(NEXT) | instid1(VALU_DEP_2)
	v_add_co_u32 v44, vcc_lo, v44, v249
	v_add_co_ci_u32_e32 v45, vcc_lo, v45, v250, vcc_lo
	v_cmp_ngt_f32_e32 vcc_lo, 0xc2ce8ed0, v32
	global_load_b128 v[62:65], v[44:45], off
	v_mul_f32_e32 v45, 0x3fb8aa3b, v32
	ds_store_b128 v252, v[54:57]
	v_mul_f32_e32 v54, 0x3fb8aa3b, v37
	v_fma_f32 v56, 0x3fb8aa3b, v33, -v66
	v_xor_b32_e32 v44, 1, v93
	v_fma_f32 v55, 0x3fb8aa3b, v32, -v45
	v_rndne_f32_e32 v57, v45
	ds_store_b128 v251, v[40:43]
	v_dual_fmac_f32 v56, 0x32a5705f, v33 :: v_dual_fmac_f32 v55, 0x32a5705f, v32
	v_fma_f32 v32, 0x3fb8aa3b, v35, -v68
	v_sub_f32_e32 v45, v45, v57
	v_fma_f32 v70, 0x3fb8aa3b, v34, -v67
	v_cmp_ngt_f32_e64 s3, 0xc2ce8ed0, v34
	v_cmp_nlt_f32_e64 s4, 0x42b17218, v34
	v_fmac_f32_e32 v32, 0x32a5705f, v35
	v_rndne_f32_e32 v35, v67
	v_sub_f32_e32 v36, v36, v80
	v_dual_sub_f32 v38, v38, v80 :: v_dual_add_f32 v45, v45, v55
	v_cvt_i32_f32_e32 v57, v57
	s_delay_alu instid0(VALU_DEP_4)
	v_dual_sub_f32 v67, v67, v35 :: v_dual_fmac_f32 v70, 0x32a5705f, v34
	v_rndne_f32_e32 v34, v66
	v_mul_f32_e32 v69, 0x3fb8aa3b, v36
	v_cmp_ngt_f32_e64 s7, 0xc2ce8ed0, v36
	v_cmp_nlt_f32_e64 s8, 0x42b17218, v36
	v_exp_f32_e32 v45, v45
	v_sub_f32_e32 v66, v66, v34
	v_fma_f32 v33, 0x3fb8aa3b, v36, -v69
	v_cvt_i32_f32_e32 v34, v34
	v_cvt_i32_f32_e32 v35, v35
	s_delay_alu instid0(VALU_DEP_4) | instskip(NEXT) | instid1(VALU_DEP_4)
	v_add_f32_e32 v56, v66, v56
	v_fmac_f32_e32 v33, 0x32a5705f, v36
	v_rndne_f32_e32 v36, v68
	v_mul_f32_e32 v55, 0x3fb8aa3b, v38
	v_rndne_f32_e32 v66, v69
	v_add_f32_e32 v67, v67, v70
	v_fma_f32 v70, 0x3fb8aa3b, v37, -v54
	v_sub_f32_e32 v68, v68, v36
	v_cvt_i32_f32_e32 v36, v36
	v_sub_f32_e32 v69, v69, v66
	v_exp_f32_e32 v56, v56
	v_ldexp_f32 v45, v45, v57
	v_add_f32_e32 v32, v68, v32
	v_rndne_f32_e32 v68, v54
	v_add_f32_e32 v33, v69, v33
	v_mul_f32_e32 v69, 0x3fb8aa3b, v39
	v_cndmask_b32_e32 v45, 0, v45, vcc_lo
	v_exp_f32_e32 v32, v32
	v_sub_f32_e32 v54, v54, v68
	v_cmp_eq_u32_e32 vcc_lo, 1, v44
	v_ldexp_f32 v34, v56, v34
	v_exp_f32_e32 v67, v67
	v_rndne_f32_e32 v57, v55
	v_exp_f32_e32 v33, v33
	v_cvt_i32_f32_e32 v66, v66
	v_cndmask_b32_e64 v34, 0, v34, s1
	v_fma_f32 v56, 0x3fb8aa3b, v39, -v69
	v_ldexp_f32 v32, v32, v36
	v_sub_f32_e32 v36, v55, v57
	v_cmp_eq_u32_e64 s1, 0, v93
	v_cndmask_b32_e64 v95, 0x7f800000, v34, s2
	v_ldexp_f32 v35, v67, v35
	v_cndmask_b32_e64 v32, 0, v32, s5
	v_ldexp_f32 v33, v33, v66
	v_cmp_eq_u32_e64 s2, 1, v93
	v_fmac_f32_e32 v56, 0x32a5705f, v39
	v_cndmask_b32_e64 v35, 0, v35, s3
	v_cndmask_b32_e64 v97, 0x7f800000, v32, s6
	ds_bpermute_b32 v32, v87, v95
	v_fmac_f32_e32 v70, 0x32a5705f, v37
	v_cndmask_b32_e64 v33, 0, v33, s7
	v_cndmask_b32_e64 v96, 0x7f800000, v35, s4
	v_cmp_nlt_f32_e64 s3, 0x42b17218, v37
	v_cvt_i32_f32_e32 v37, v57
	v_add_f32_e32 v54, v54, v70
	v_fma_f32 v70, 0x3fb8aa3b, v38, -v55
	v_cndmask_b32_e64 v98, 0x7f800000, v33, s8
	v_rndne_f32_e32 v33, v69
	v_cmp_ngt_f32_e64 s5, 0xc2ce8ed0, v38
	v_exp_f32_e32 v54, v54
	v_fmac_f32_e32 v70, 0x32a5705f, v38
	v_cndmask_b32_e64 v94, 0x7f800000, v45, s0
	v_cvt_i32_f32_e32 v45, v68
	v_cmp_eq_u32_e64 s0, 0, v44
	v_cmp_nlt_f32_e64 s6, 0x42b17218, v38
	v_add_f32_e32 v35, v36, v70
	ds_bpermute_b32 v67, v87, v94
	v_cmp_ngt_f32_e64 s4, 0xc2ce8ed0, v39
	v_sub_f32_e32 v48, v48, v80
	v_ldexp_f32 v34, v54, v45
	ds_bpermute_b32 v54, v87, v96
	v_exp_f32_e32 v35, v35
	v_cndmask_b32_e64 v34, 0, v34, s9
	s_delay_alu instid0(VALU_DEP_1)
	v_cndmask_b32_e64 v99, 0x7f800000, v34, s3
	v_cmp_nlt_f32_e64 s3, 0x42b17218, v39
	s_waitcnt_depctr 0xfff
	v_ldexp_f32 v34, v35, v37
	s_waitcnt lgkmcnt(1)
	v_cndmask_b32_e32 v44, v94, v67, vcc_lo
	v_cndmask_b32_e64 v45, v94, v67, s0
	s_delay_alu instid0(VALU_DEP_2) | instskip(SKIP_1) | instid1(VALU_DEP_2)
	v_cndmask_b32_e64 v55, v44, v95, s2
	v_cvt_f16_f32_e32 v44, v44
	v_cndmask_b32_e32 v55, v55, v32, vcc_lo
	s_delay_alu instid0(VALU_DEP_1) | instskip(SKIP_3) | instid1(VALU_DEP_2)
	v_cndmask_b32_e64 v35, v55, v96, s2
	v_sub_f32_e32 v36, v69, v33
	v_cvt_i32_f32_e32 v33, v33
	s_waitcnt lgkmcnt(0)
	v_dual_cndmask_b32 v35, v35, v54 :: v_dual_add_f32 v36, v36, v56
	v_cndmask_b32_e64 v56, v45, v95, s1
	s_delay_alu instid0(VALU_DEP_2) | instskip(NEXT) | instid1(VALU_DEP_3)
	v_cndmask_b32_e64 v38, v35, v97, s2
	v_exp_f32_e32 v36, v36
	s_delay_alu instid0(VALU_DEP_2) | instskip(SKIP_4) | instid1(VALU_DEP_2)
	v_cndmask_b32_e64 v32, v56, v32, s0
	ds_bpermute_b32 v56, v87, v97
	v_cvt_f16_f32_e32 v42, v35
	v_cndmask_b32_e64 v37, v32, v96, s1
	v_ldexp_f32 v68, v36, v33
	v_cndmask_b32_e64 v36, v37, v54, s0
	ds_bpermute_b32 v37, v87, v98
	v_cvt_f16_f32_e32 v33, v45
	v_cvt_f16_f32_e32 v45, v32
	;; [unrolled: 1-line block ×3, first 2 shown]
	v_cndmask_b32_e64 v39, v36, v97, s1
	v_cvt_f16_f32_e32 v41, v36
	v_pack_b32_f16 v32, v33, v44
	scratch_load_b32 v44, off, off offset:844 ; 4-byte Folded Reload
	v_pack_b32_f16 v33, v45, v54
	s_waitcnt lgkmcnt(1)
	v_cndmask_b32_e32 v69, v38, v56, vcc_lo
	v_cndmask_b32_e64 v70, v39, v56, s0
	ds_bpermute_b32 v38, v87, v99
	v_cndmask_b32_e64 v39, v69, v98, s2
	v_cndmask_b32_e64 v40, v70, v98, s1
	v_cvt_f16_f32_e32 v74, v69
	s_waitcnt lgkmcnt(1)
	s_delay_alu instid0(VALU_DEP_3) | instskip(NEXT) | instid1(VALU_DEP_3)
	v_cndmask_b32_e32 v35, v39, v37, vcc_lo
	v_cndmask_b32_e64 v36, v40, v37, s0
	scratch_load_b32 v37, off, off offset:832 ; 4-byte Folded Reload
	s_waitcnt vmcnt(1)
	v_mul_lo_u32 v54, v44, s10
	s_delay_alu instid0(VALU_DEP_1)
	v_ashrrev_i32_e32 v55, 31, v54
	s_waitcnt vmcnt(0)
	v_mul_lo_u32 v39, v37, s10
	v_cndmask_b32_e64 v37, 0, v34, s5
	v_pack_b32_f16 v34, v41, v42
	v_cndmask_b32_e64 v41, v35, v99, s2
	v_cndmask_b32_e64 v42, v36, v99, s1
	v_cvt_f16_f32_e32 v36, v36
	v_cndmask_b32_e64 v100, 0x7f800000, v37, s6
	v_cmp_nlt_f32_e64 s6, 0x42b17218, v51
	v_ashrrev_i32_e32 v40, 31, v39
	s_waitcnt lgkmcnt(0)
	v_cndmask_b32_e32 v37, v41, v38, vcc_lo
	scratch_load_b32 v41, off, off offset:836 ; 4-byte Folded Reload
	v_cndmask_b32_e64 v38, v42, v38, s0
	ds_bpermute_b32 v71, v87, v100
	v_lshlrev_b64 v[39:40], 2, v[39:40]
	v_cndmask_b32_e64 v45, v37, v100, s2
	v_cvt_f16_f32_e32 v37, v37
	s_delay_alu instid0(VALU_DEP_3)
	v_add_co_u32 v43, s5, s11, v39
	s_clause 0x1
	scratch_load_b32 v39, off, off offset:840
	scratch_load_b32 v42, off, off offset:192
	v_add_co_ci_u32_e64 v40, s5, s12, v40, s5
	v_add_co_u32 v43, s5, v43, v249
	s_delay_alu instid0(VALU_DEP_1)
	v_add_co_ci_u32_e64 v44, s5, v40, v250, s5
	s_waitcnt vmcnt(2)
	v_mul_lo_u32 v41, v41, s10
	s_waitcnt vmcnt(1)
	v_mul_lo_u32 v39, v39, s10
	s_waitcnt vmcnt(0)
	ds_store_b128 v42, v[58:61]
	v_ashrrev_i32_e32 v42, 31, v41
	s_delay_alu instid0(VALU_DEP_1) | instskip(SKIP_1) | instid1(VALU_DEP_2)
	v_lshlrev_b64 v[41:42], 2, v[41:42]
	v_ashrrev_i32_e32 v40, 31, v39
	v_add_co_u32 v41, s5, s11, v41
	s_delay_alu instid0(VALU_DEP_1) | instskip(NEXT) | instid1(VALU_DEP_3)
	v_add_co_ci_u32_e64 v42, s5, s12, v42, s5
	v_lshlrev_b64 v[39:40], 2, v[39:40]
	s_delay_alu instid0(VALU_DEP_3) | instskip(NEXT) | instid1(VALU_DEP_1)
	v_add_co_u32 v56, s5, v41, v249
	v_add_co_ci_u32_e64 v57, s5, v42, v250, s5
	v_lshlrev_b64 v[41:42], 2, v[54:55]
	s_delay_alu instid0(VALU_DEP_4) | instskip(NEXT) | instid1(VALU_DEP_1)
	v_add_co_u32 v39, s5, s11, v39
	v_add_co_ci_u32_e64 v40, s5, s12, v40, s5
	s_delay_alu instid0(VALU_DEP_3) | instskip(NEXT) | instid1(VALU_DEP_1)
	v_add_co_u32 v41, s5, s11, v41
	v_add_co_ci_u32_e64 v42, s5, s12, v42, s5
	s_delay_alu instid0(VALU_DEP_4) | instskip(NEXT) | instid1(VALU_DEP_1)
	v_add_co_u32 v58, s5, v39, v249
	v_add_co_ci_u32_e64 v59, s5, v40, v250, s5
	s_delay_alu instid0(VALU_DEP_4) | instskip(NEXT) | instid1(VALU_DEP_1)
	v_add_co_u32 v66, s5, v41, v249
	v_add_co_ci_u32_e64 v67, s5, v42, v250, s5
	global_load_b128 v[39:42], v[43:44], off
	s_waitcnt lgkmcnt(1)
	v_cndmask_b32_e32 v44, v45, v71, vcc_lo
	scratch_load_b32 v45, off, off offset:160 ; 4-byte Folded Reload
	v_cndmask_b32_e64 v43, v38, v100, s1
	v_cvt_f16_f32_e32 v38, v38
	v_cmp_ngt_f32_e64 s5, 0xc2ce8ed0, v51
	v_cmp_ngt_f32_e64 s11, 0xc2ce8ed0, v48
	v_cmp_nlt_f32_e64 s12, 0x42b17218, v48
	v_cndmask_b32_e64 v43, v43, v71, s0
	v_pack_b32_f16 v37, v38, v37
	s_waitcnt vmcnt(0)
	ds_store_b128 v45, v[62:65]
	s_clause 0x2
	global_load_b128 v[54:57], v[56:57], off
	global_load_b128 v[58:61], v[58:59], off
	;; [unrolled: 1-line block ×3, first 2 shown]
	ds_store_b128 v157, v[39:42]
	s_waitcnt vmcnt(2)
	ds_store_b128 v155, v[54:57]
	s_waitcnt vmcnt(1)
	ds_store_b128 v156, v[58:61]
	scratch_load_b32 v150, off, off offset:808 ; 4-byte Folded Reload
	v_cndmask_b32_e64 v45, 0, v68, s4
	v_cvt_f16_f32_e32 v54, v35
	s_waitcnt vmcnt(1)
	ds_store_b128 v154, v[62:65]
	s_waitcnt vmcnt(0) lgkmcnt(0)
	s_barrier
	v_cndmask_b32_e64 v106, 0x7f800000, v45, s3
	v_cvt_f16_f32_e32 v45, v70
	buffer_gl0_inv
	v_pack_b32_f16 v36, v36, v54
	v_cmp_ngt_f32_e64 s3, 0xc2ce8ed0, v53
	ds_bpermute_b32 v42, v87, v106
	v_cndmask_b32_e64 v39, v43, v106, s1
	v_cndmask_b32_e64 v75, v44, v106, s2
	v_cmp_nlt_f32_e64 s4, 0x42b17218, v53
	s_waitcnt lgkmcnt(0)
	s_delay_alu instid0(VALU_DEP_3) | instskip(NEXT) | instid1(VALU_DEP_3)
	v_cndmask_b32_e64 v35, v39, v42, s0
	v_cndmask_b32_e32 v39, v75, v42, vcc_lo
	v_cvt_f16_f32_e32 v42, v43
	v_cvt_f16_f32_e32 v43, v44
	s_delay_alu instid0(VALU_DEP_4) | instskip(NEXT) | instid1(VALU_DEP_4)
	v_cvt_f16_f32_e32 v44, v35
	v_cvt_f16_f32_e32 v39, v39
	v_pack_b32_f16 v35, v45, v74
	s_delay_alu instid0(VALU_DEP_4) | instskip(NEXT) | instid1(VALU_DEP_3)
	v_pack_b32_f16 v38, v42, v43
	v_pack_b32_f16 v39, v44, v39
	v_dual_sub_f32 v46, v46, v80 :: v_dual_add_nc_u32 v93, 0, v150
	s_delay_alu instid0(VALU_DEP_1)
	v_add_nc_u32_e32 v119, 0x800, v93
	v_add_nc_u32_e32 v120, 0xc00, v93
	;; [unrolled: 1-line block ×3, first 2 shown]
	ds_load_2addr_b32 v[62:63], v93 offset1:16
	ds_load_2addr_b32 v[64:65], v93 offset0:68 offset1:84
	ds_load_2addr_b32 v[66:67], v93 offset0:136 offset1:152
	;; [unrolled: 1-line block ×13, first 2 shown]
	v_add_nc_u32_e32 v124, 0x1000, v93
	v_add_nc_u32_e32 v140, 0x4000, v93
	s_waitcnt lgkmcnt(12)
	v_perm_b32 v54, v64, v62, 0x5040100
	s_waitcnt lgkmcnt(10)
	v_perm_b32 v55, v68, v66, 0x5040100
	;; [unrolled: 2-line block ×8, first 2 shown]
	s_delay_alu instid0(VALU_DEP_1)
	v_wmma_f16_16x16x16_f16 v[24:31], v[54:61], v[32:39], v[24:31]
	v_perm_b32 v57, v73, v41, 0x7060302
	v_add3_u32 v41, 0, 64, v150
	v_perm_b32 v56, v71, v70, 0x7060302
	v_perm_b32 v60, v112, v111, 0x7060302
	;; [unrolled: 1-line block ×4, first 2 shown]
	ds_load_b32 v43, v41 offset:1088
	ds_load_2addr_b32 v[70:71], v78 offset0:100 offset1:116
	ds_load_2addr_b32 v[75:76], v78 offset0:168 offset1:184
	;; [unrolled: 1-line block ×3, first 2 shown]
	ds_load_b32 v45, v41 offset:2176
	ds_load_b32 v41, v41 offset:3264
	ds_load_2addr_b32 v[113:114], v120 offset0:132 offset1:148
	ds_load_2addr_b32 v[115:116], v120 offset0:200 offset1:216
	;; [unrolled: 1-line block ×3, first 2 shown]
	v_perm_b32 v54, v64, v62, 0x7060302
	v_perm_b32 v55, v68, v66, 0x7060302
	;; [unrolled: 1-line block ×3, first 2 shown]
	s_delay_alu instid0(VALU_DEP_1)
	v_wmma_f16_16x16x16_f16 v[24:31], v[54:61], v[32:39], v[24:31] op_sel:[0,0,1]
	v_perm_b32 v54, v65, v63, 0x5040100
	v_perm_b32 v55, v69, v67, 0x5040100
	;; [unrolled: 1-line block ×3, first 2 shown]
	s_waitcnt lgkmcnt(7)
	v_perm_b32 v56, v70, v43, 0x5040100
	s_waitcnt lgkmcnt(5)
	v_perm_b32 v57, v111, v75, 0x5040100
	;; [unrolled: 2-line block ×5, first 2 shown]
	s_delay_alu instid0(VALU_DEP_1)
	v_wmma_f16_16x16x16_f16 v[16:23], v[54:61], v[32:39], v[16:23]
	v_perm_b32 v60, v113, v41, 0x7060302
	v_add3_u32 v41, 0, 0x80, v150
	v_perm_b32 v54, v65, v63, 0x7060302
	v_perm_b32 v55, v69, v67, 0x7060302
	;; [unrolled: 1-line block ×5, first 2 shown]
	ds_load_2addr_b32 v[62:63], v93 offset0:32 offset1:48
	ds_load_2addr_b32 v[64:65], v93 offset0:100 offset1:116
	;; [unrolled: 1-line block ×4, first 2 shown]
	ds_load_b32 v43, v41 offset:1088
	ds_load_b32 v45, v41 offset:2176
	ds_load_2addr_b32 v[77:78], v119 offset0:132 offset1:148
	ds_load_b32 v41, v41 offset:3264
	ds_load_2addr_b32 v[107:108], v119 offset0:200 offset1:216
	ds_load_2addr_b32 v[109:110], v120 offset0:12 offset1:28
	v_perm_b32 v57, v111, v75, 0x7060302
	v_perm_b32 v61, v117, v115, 0x7060302
	v_dual_sub_f32 v50, v50, v80 :: v_dual_add_nc_u32 v115, 0x2000, v93
	v_sub_f32_e32 v52, v52, v80
	s_delay_alu instid0(VALU_DEP_3)
	v_wmma_f16_16x16x16_f16 v[16:23], v[54:61], v[32:39], v[16:23] op_sel:[0,0,1]
	v_perm_b32 v57, v112, v76, 0x5040100
	v_perm_b32 v61, v118, v116, 0x5040100
	v_cmp_ngt_f32_e64 s9, 0xc2ce8ed0, v50
	v_cmp_nlt_f32_e64 s10, 0x42b17218, v50
	s_waitcnt lgkmcnt(8)
	v_perm_b32 v54, v64, v62, 0x5040100
	s_waitcnt lgkmcnt(6)
	v_perm_b32 v55, v68, v66, 0x5040100
	;; [unrolled: 2-line block ×5, first 2 shown]
	v_perm_b32 v60, v114, v41, 0x5040100
	s_delay_alu instid0(VALU_DEP_1)
	v_wmma_f16_16x16x16_f16 v[8:15], v[54:61], v[32:39], v[8:15]
	v_perm_b32 v60, v114, v41, 0x7060302
	v_add3_u32 v41, 0, 0xc0, v150
	v_perm_b32 v57, v112, v76, 0x7060302
	v_perm_b32 v56, v71, v43, 0x7060302
	v_perm_b32 v58, v77, v45, 0x7060302
	ds_load_b32 v43, v41 offset:1088
	ds_load_b32 v45, v41 offset:2176
	;; [unrolled: 1-line block ×3, first 2 shown]
	ds_load_2addr_b32 v[75:76], v124 offset0:44 offset1:64
	v_perm_b32 v61, v118, v116, 0x7060302
	v_perm_b32 v54, v64, v62, 0x7060302
	;; [unrolled: 1-line block ×4, first 2 shown]
	s_delay_alu instid0(VALU_DEP_1)
	v_wmma_f16_16x16x16_f16 v[8:15], v[54:61], v[32:39], v[8:15] op_sel:[0,0,1]
	v_perm_b32 v54, v65, v63, 0x5040100
	v_perm_b32 v55, v69, v67, 0x5040100
	;; [unrolled: 1-line block ×4, first 2 shown]
	s_waitcnt lgkmcnt(3)
	v_perm_b32 v56, v40, v43, 0x5040100
	s_waitcnt lgkmcnt(2)
	v_perm_b32 v58, v78, v45, 0x5040100
	;; [unrolled: 2-line block ×4, first 2 shown]
	s_delay_alu instid0(VALU_DEP_1)
	v_wmma_f16_16x16x16_f16 v[0:7], v[54:61], v[32:39], v[0:7]
	v_mul_f32_e32 v56, 0x3fb8aa3b, v53
	v_perm_b32 v54, v65, v63, 0x7060302
	v_perm_b32 v59, v110, v108, 0x7060302
	;; [unrolled: 1-line block ×4, first 2 shown]
	v_fma_f32 v58, 0x3fb8aa3b, v53, -v56
	v_rndne_f32_e32 v60, v56
	s_delay_alu instid0(VALU_DEP_2) | instskip(NEXT) | instid1(VALU_DEP_2)
	v_fmac_f32_e32 v58, 0x32a5705f, v53
	v_sub_f32_e32 v56, v56, v60
	v_cvt_i32_f32_e32 v60, v60
	s_delay_alu instid0(VALU_DEP_2) | instskip(SKIP_1) | instid1(VALU_DEP_2)
	v_add_f32_e32 v56, v56, v58
	v_mul_f32_e32 v58, 0x3fb8aa3b, v51
	v_exp_f32_e32 v56, v56
	s_delay_alu instid0(VALU_DEP_1) | instskip(SKIP_1) | instid1(VALU_DEP_1)
	v_fma_f32 v61, 0x3fb8aa3b, v51, -v58
	v_rndne_f32_e32 v62, v58
	v_dual_fmac_f32 v61, 0x32a5705f, v51 :: v_dual_sub_f32 v58, v58, v62
	s_waitcnt_depctr 0xfff
	v_ldexp_f32 v56, v56, v60
	v_mul_f32_e32 v60, 0x3fb8aa3b, v52
	v_add_f32_e32 v58, v58, v61
	s_delay_alu instid0(VALU_DEP_3) | instskip(NEXT) | instid1(VALU_DEP_3)
	v_cndmask_b32_e64 v56, 0, v56, s3
	v_fma_f32 v61, 0x3fb8aa3b, v52, -v60
	v_rndne_f32_e32 v63, v60
	s_delay_alu instid0(VALU_DEP_4) | instskip(SKIP_2) | instid1(VALU_DEP_3)
	v_exp_f32_e32 v58, v58
	v_cmp_ngt_f32_e64 s3, 0xc2ce8ed0, v49
	v_cndmask_b32_e64 v107, 0x7f800000, v56, s4
	v_dual_fmac_f32 v61, 0x32a5705f, v52 :: v_dual_sub_f32 v60, v60, v63
	v_cvt_i32_f32_e32 v51, v63
	v_cmp_nlt_f32_e64 s4, 0x42b17218, v49
	s_delay_alu instid0(VALU_DEP_3) | instskip(SKIP_1) | instid1(VALU_DEP_2)
	v_add_f32_e32 v60, v60, v61
	v_cvt_i32_f32_e32 v61, v62
	v_exp_f32_e32 v53, v60
	v_mul_f32_e32 v60, 0x3fb8aa3b, v50
	s_delay_alu instid0(VALU_DEP_2) | instskip(NEXT) | instid1(VALU_DEP_2)
	v_ldexp_f32 v58, v58, v61
	v_fma_f32 v61, 0x3fb8aa3b, v50, -v60
	v_rndne_f32_e32 v62, v60
	s_waitcnt_depctr 0xfff
	v_ldexp_f32 v51, v53, v51
	v_fmac_f32_e32 v61, 0x32a5705f, v50
	v_dual_sub_f32 v53, v60, v62 :: v_dual_mul_f32 v60, 0x3fb8aa3b, v49
	v_cmp_ngt_f32_e64 s7, 0xc2ce8ed0, v52
	v_cmp_nlt_f32_e64 s8, 0x42b17218, v52
	s_delay_alu instid0(VALU_DEP_3) | instskip(NEXT) | instid1(VALU_DEP_4)
	v_add_f32_e32 v53, v53, v61
	v_fma_f32 v61, 0x3fb8aa3b, v49, -v60
	v_rndne_f32_e32 v63, v60
	v_cndmask_b32_e64 v51, 0, v51, s7
	s_delay_alu instid0(VALU_DEP_4) | instskip(NEXT) | instid1(VALU_DEP_2)
	v_exp_f32_e32 v53, v53
	v_dual_fmac_f32 v61, 0x32a5705f, v49 :: v_dual_sub_f32 v60, v60, v63
	v_cvt_i32_f32_e32 v50, v63
	s_delay_alu instid0(VALU_DEP_3) | instskip(NEXT) | instid1(VALU_DEP_3)
	v_cndmask_b32_e64 v109, 0x7f800000, v51, s8
	v_add_f32_e32 v60, v60, v61
	v_cvt_i32_f32_e32 v61, v62
	s_delay_alu instid0(VALU_DEP_2)
	v_exp_f32_e32 v52, v60
	v_mul_f32_e32 v60, 0x3fb8aa3b, v48
	s_delay_alu instid0(TRANS32_DEP_2) | instid1(VALU_DEP_2)
	v_ldexp_f32 v53, v53, v61
	s_delay_alu instid0(VALU_DEP_2) | instskip(SKIP_1) | instid1(VALU_DEP_3)
	v_fma_f32 v61, 0x3fb8aa3b, v48, -v60
	v_rndne_f32_e32 v62, v60
	v_cndmask_b32_e64 v53, 0, v53, s9
	s_waitcnt_depctr 0xfff
	v_ldexp_f32 v50, v52, v50
	v_dual_fmac_f32 v61, 0x32a5705f, v48 :: v_dual_sub_f32 v52, v60, v62
	v_mul_f32_e32 v60, 0x3fb8aa3b, v47
	v_cndmask_b32_e64 v110, 0x7f800000, v53, s10
	s_delay_alu instid0(VALU_DEP_4)
	v_cndmask_b32_e64 v50, 0, v50, s3
	v_cmp_ngt_f32_e64 s3, 0xc2ce8ed0, v47
	v_add_f32_e32 v52, v52, v61
	v_fma_f32 v61, 0x3fb8aa3b, v47, -v60
	v_rndne_f32_e32 v63, v60
	v_cndmask_b32_e64 v111, 0x7f800000, v50, s4
	v_cmp_nlt_f32_e64 s4, 0x42b17218, v47
	v_exp_f32_e32 v52, v52
	v_fmac_f32_e32 v61, 0x32a5705f, v47
	v_sub_f32_e32 v60, v60, v63
	v_cvt_i32_f32_e32 v49, v63
	s_delay_alu instid0(VALU_DEP_2) | instskip(NEXT) | instid1(VALU_DEP_1)
	v_dual_add_f32 v60, v60, v61 :: v_dual_mul_f32 v61, 0x3fb8aa3b, v46
	v_exp_f32_e32 v56, v60
	v_cvt_i32_f32_e32 v60, v62
	ds_bpermute_b32 v62, v87, v107
	v_ldexp_f32 v52, v52, v60
	v_rndne_f32_e32 v60, v61
	v_ldexp_f32 v48, v56, v49
	v_fma_f32 v49, 0x3fb8aa3b, v46, -v61
	v_cndmask_b32_e64 v56, 0, v58, s5
	s_delay_alu instid0(VALU_DEP_4)
	v_sub_f32_e32 v58, v61, v60
	v_cndmask_b32_e64 v50, 0, v52, s11
	v_cvt_i32_f32_e32 v52, v60
	v_fmac_f32_e32 v49, 0x32a5705f, v46
	v_cndmask_b32_e64 v108, 0x7f800000, v56, s6
	v_perm_b32 v56, v40, v43, 0x7060302
	ds_bpermute_b32 v43, v87, v109
	v_cndmask_b32_e64 v112, 0x7f800000, v50, s12
	v_add_f32_e32 v49, v58, v49
	ds_bpermute_b32 v58, v87, v108
	s_waitcnt lgkmcnt(2)
	v_cndmask_b32_e32 v40, v107, v62, vcc_lo
	v_cndmask_b32_e64 v51, v107, v62, s0
	v_cmp_ngt_f32_e64 s5, 0xc2ce8ed0, v46
	v_exp_f32_e32 v49, v49
	v_cmp_nlt_f32_e64 s6, 0x42b17218, v46
	v_cndmask_b32_e64 v47, v40, v108, s2
	v_cndmask_b32_e64 v53, v51, v108, s1
	v_cvt_f16_f32_e32 v46, v51
	v_cvt_f16_f32_e32 v40, v40
	v_perm_b32 v60, v42, v41, 0x7060302
	v_perm_b32 v61, v75, v44, 0x7060302
	s_delay_alu instid0(TRANS32_DEP_1)
	v_ldexp_f32 v49, v49, v52
	ds_bpermute_b32 v52, v87, v110
	v_pack_b32_f16 v40, v46, v40
	v_cndmask_b32_e64 v46, 0, v48, s3
	s_waitcnt lgkmcnt(1)
	v_cndmask_b32_e32 v47, v47, v58, vcc_lo
	v_cndmask_b32_e64 v50, v53, v58, s0
	v_perm_b32 v58, v78, v45, 0x7060302
	v_cndmask_b32_e64 v113, 0x7f800000, v46, s4
	s_delay_alu instid0(VALU_DEP_4) | instskip(NEXT) | instid1(VALU_DEP_4)
	v_cndmask_b32_e64 v51, v47, v109, s2
	v_cndmask_b32_e64 v53, v50, v109, s1
	v_cvt_f16_f32_e32 v50, v50
	v_cvt_f16_f32_e32 v47, v47
	v_wmma_f16_16x16x16_f16 v[0:7], v[54:61], v[32:39], v[0:7] op_sel:[0,0,1]
	v_cndmask_b32_e32 v51, v51, v43, vcc_lo
	v_cndmask_b32_e64 v43, v53, v43, s0
	ds_bpermute_b32 v53, v87, v111
	v_pack_b32_f16 v41, v50, v47
	ds_bpermute_b32 v50, v87, v112
	v_cndmask_b32_e64 v42, v51, v110, s2
	v_cndmask_b32_e64 v45, v43, v110, s1
	v_cvt_f16_f32_e32 v43, v43
	v_cvt_f16_f32_e32 v47, v51
	ds_bpermute_b32 v51, v87, v113
	s_waitcnt lgkmcnt(3)
	v_cndmask_b32_e32 v48, v42, v52, vcc_lo
	v_cndmask_b32_e64 v45, v45, v52, s0
	v_add_nc_u32_e32 v32, 0x1200, v93
	v_pack_b32_f16 v42, v43, v47
	v_cndmask_b32_e64 v47, 0, v49, s5
	v_cndmask_b32_e64 v43, v48, v111, s2
	;; [unrolled: 1-line block ×3, first 2 shown]
	v_cvt_f16_f32_e32 v45, v45
	v_cvt_f16_f32_e32 v48, v48
	v_cndmask_b32_e64 v114, 0x7f800000, v47, s6
	v_add3_u32 v33, 0, 0x1100, v150
	v_add_nc_u32_e32 v36, 0x1800, v93
	s_waitcnt lgkmcnt(2)
	v_cndmask_b32_e32 v49, v43, v53, vcc_lo
	v_cndmask_b32_e64 v46, v46, v53, s0
	v_pack_b32_f16 v43, v45, v48
	v_add_nc_u32_e32 v35, 0x1400, v93
	ds_load_2addr_b32 v[56:57], v124 offset0:112 offset1:132
	v_cndmask_b32_e64 v45, v49, v112, s2
	v_cndmask_b32_e64 v48, v46, v112, s1
	v_cvt_f16_f32_e32 v34, v46
	v_cvt_f16_f32_e32 v37, v49
	ds_load_2addr_b32 v[58:59], v124 offset0:180 offset1:200
	s_waitcnt lgkmcnt(3)
	v_cndmask_b32_e32 v45, v45, v50, vcc_lo
	v_cndmask_b32_e64 v47, v48, v50, s0
	ds_bpermute_b32 v48, v87, v114
	v_cndmask_b32_e64 v44, v45, v113, s2
	v_cndmask_b32_e64 v50, v47, v113, s1
	v_cvt_f16_f32_e32 v38, v47
	v_cvt_f16_f32_e32 v39, v45
	s_waitcnt lgkmcnt(3)
	v_cndmask_b32_e32 v44, v44, v51, vcc_lo
	v_cndmask_b32_e64 v50, v50, v51, s0
	s_delay_alu instid0(VALU_DEP_3) | instskip(SKIP_1) | instid1(VALU_DEP_4)
	v_pack_b32_f16 v45, v38, v39
	v_add_nc_u32_e32 v38, 0x1c00, v93
	v_cndmask_b32_e64 v51, v44, v114, s2
	s_delay_alu instid0(VALU_DEP_4)
	v_cndmask_b32_e64 v52, v50, v114, s1
	v_cvt_f16_f32_e32 v46, v50
	v_cvt_f16_f32_e32 v47, v44
	v_pack_b32_f16 v44, v34, v37
	s_waitcnt lgkmcnt(2)
	v_perm_b32 v116, v57, v76, 0x5040100
	v_add3_u32 v39, 0, 0x1140, v150
	s_waitcnt lgkmcnt(0)
	v_cndmask_b32_e32 v51, v51, v48, vcc_lo
	v_cndmask_b32_e64 v48, v52, v48, s0
	ds_load_2addr_b32 v[60:61], v32 offset0:120 offset1:140
	ds_load_b32 v32, v33 offset:1088
	ds_load_2addr_b32 v[62:63], v35 offset0:60 offset1:148
	ds_load_2addr_b32 v[52:53], v35 offset0:196 offset1:216
	;; [unrolled: 1-line block ×3, first 2 shown]
	v_pack_b32_f16 v46, v46, v47
	ds_load_b32 v34, v33 offset:2176
	ds_load_2addr_b32 v[66:67], v36 offset0:76 offset1:164
	v_cvt_f16_f32_e32 v49, v51
	v_cvt_f16_f32_e32 v48, v48
	ds_load_2addr_b32 v[50:51], v36 offset0:212 offset1:232
	ds_load_2addr_b32 v[68:69], v38 offset0:24 offset1:44
	ds_load_b32 v33, v33 offset:3264
	ds_load_2addr_b32 v[70:71], v38 offset0:92 offset1:180
	v_add_nc_u32_e32 v37, 0x1a00, v93
	v_pack_b32_f16 v47, v48, v49
	ds_load_2addr_b32 v[54:55], v38 offset0:228 offset1:248
	ds_load_2addr_b32 v[48:49], v115 offset0:40 offset1:60
	s_waitcnt lgkmcnt(12)
	v_perm_b32 v117, v61, v59, 0x5040100
	s_waitcnt lgkmcnt(10)
	v_perm_b32 v118, v63, v32, 0x5040100
	;; [unrolled: 2-line block ×7, first 2 shown]
	s_delay_alu instid0(VALU_DEP_1)
	v_wmma_f16_16x16x16_f16 v[24:31], v[116:123], v[40:47], v[24:31]
	v_perm_b32 v116, v57, v76, 0x7060302
	v_perm_b32 v118, v63, v32, 0x7060302
	;; [unrolled: 1-line block ×8, first 2 shown]
	ds_load_2addr_b32 v[71:72], v124 offset0:80 offset1:96
	ds_load_2addr_b32 v[73:74], v124 offset0:148 offset1:164
	;; [unrolled: 1-line block ×4, first 2 shown]
	v_wmma_f16_16x16x16_f16 v[24:31], v[116:123], v[40:47], v[24:31] op_sel:[0,0,1]
	ds_load_b32 v49, v39 offset:1088
	ds_load_2addr_b32 v[116:117], v35 offset0:164 offset1:180
	ds_load_2addr_b32 v[118:119], v35 offset0:232 offset1:248
	ds_load_2addr_b32 v[120:121], v36 offset0:44 offset1:60
	ds_load_b32 v51, v39 offset:2176
	ds_load_2addr_b32 v[122:123], v36 offset0:180 offset1:196
	ds_load_2addr_b32 v[124:125], v37 offset0:120 offset1:136
	ds_load_2addr_b32 v[126:127], v38 offset0:60 offset1:76
	;; [unrolled: 4-line block ×3, first 2 shown]
	s_waitcnt lgkmcnt(14)
	v_perm_b32 v32, v73, v71, 0x5040100
	s_waitcnt lgkmcnt(12)
	v_perm_b32 v33, v77, v75, 0x5040100
	;; [unrolled: 2-line block ×8, first 2 shown]
	s_delay_alu instid0(VALU_DEP_1)
	v_wmma_f16_16x16x16_f16 v[16:23], v[32:39], v[40:47], v[16:23]
	v_perm_b32 v34, v116, v49, 0x7060302
	v_perm_b32 v36, v122, v51, 0x7060302
	;; [unrolled: 1-line block ×8, first 2 shown]
	v_add_nc_u32_e32 v73, 0x2400, v93
	s_delay_alu instid0(VALU_DEP_2)
	v_wmma_f16_16x16x16_f16 v[16:23], v[32:39], v[40:47], v[16:23] op_sel:[0,0,1]
	v_add3_u32 v32, 0, 0x1180, v150
	ds_load_b32 v49, v32 offset:1088
	ds_load_b32 v51, v32 offset:2176
	;; [unrolled: 1-line block ×3, first 2 shown]
	v_perm_b32 v32, v74, v72, 0x5040100
	v_perm_b32 v33, v78, v76, 0x5040100
	;; [unrolled: 1-line block ×5, first 2 shown]
	s_waitcnt lgkmcnt(2)
	v_perm_b32 v34, v117, v49, 0x5040100
	s_waitcnt lgkmcnt(1)
	v_perm_b32 v36, v123, v51, 0x5040100
	;; [unrolled: 2-line block ×3, first 2 shown]
	s_delay_alu instid0(VALU_DEP_1)
	v_wmma_f16_16x16x16_f16 v[8:15], v[32:39], v[40:47], v[8:15]
	v_perm_b32 v32, v74, v72, 0x7060302
	v_perm_b32 v33, v78, v76, 0x7060302
	;; [unrolled: 1-line block ×8, first 2 shown]
	v_add_nc_u32_e32 v117, 0x2800, v93
	s_delay_alu instid0(VALU_DEP_2)
	v_wmma_f16_16x16x16_f16 v[8:15], v[32:39], v[40:47], v[8:15] op_sel:[0,0,1]
	v_add3_u32 v32, 0, 0x11c0, v150
	ds_load_b32 v49, v32 offset:1088
	ds_load_b32 v51, v32 offset:2176
	;; [unrolled: 1-line block ×3, first 2 shown]
	ds_load_2addr_b32 v[71:72], v115 offset0:108 offset1:128
	v_perm_b32 v32, v58, v56, 0x5040100
	v_perm_b32 v33, v62, v60, 0x5040100
	v_perm_b32 v35, v66, v64, 0x5040100
	v_perm_b32 v37, v70, v68, 0x5040100
	s_waitcnt lgkmcnt(3)
	v_perm_b32 v34, v52, v49, 0x5040100
	s_waitcnt lgkmcnt(2)
	v_perm_b32 v36, v50, v51, 0x5040100
	;; [unrolled: 2-line block ×4, first 2 shown]
	s_delay_alu instid0(VALU_DEP_1)
	v_wmma_f16_16x16x16_f16 v[0:7], v[32:39], v[40:47], v[0:7]
	v_sub_f32_e32 v34, v90, v80
	v_perm_b32 v33, v62, v60, 0x7060302
	v_sub_f32_e32 v60, v86, v80
	v_perm_b32 v32, v58, v56, 0x7060302
	v_sub_f32_e32 v58, v91, v80
	v_mul_f32_e32 v36, 0x3fb8aa3b, v34
	v_perm_b32 v35, v66, v64, 0x7060302
	v_sub_f32_e32 v64, v84, v80
	v_cmp_ngt_f32_e64 s3, 0xc2ce8ed0, v34
	v_cmp_nlt_f32_e64 s4, 0x42b17218, v34
	v_fma_f32 v38, 0x3fb8aa3b, v34, -v36
	v_rndne_f32_e32 v39, v36
	v_cmp_ngt_f32_e64 s7, 0xc2ce8ed0, v58
	v_cmp_nlt_f32_e64 s8, 0x42b17218, v58
	v_perm_b32 v37, v70, v68, 0x7060302
	v_fmac_f32_e32 v38, 0x32a5705f, v34
	v_sub_f32_e32 v36, v36, v39
	v_cvt_i32_f32_e32 v39, v39
	s_delay_alu instid0(VALU_DEP_2) | instskip(SKIP_1) | instid1(VALU_DEP_2)
	v_add_f32_e32 v36, v36, v38
	v_sub_f32_e32 v38, v89, v80
	v_exp_f32_e32 v36, v36
	s_delay_alu instid0(VALU_DEP_1) | instskip(SKIP_2) | instid1(VALU_DEP_3)
	v_mul_f32_e32 v55, 0x3fb8aa3b, v38
	v_cmp_ngt_f32_e64 s5, 0xc2ce8ed0, v38
	v_cmp_nlt_f32_e64 s6, 0x42b17218, v38
	v_fma_f32 v56, 0x3fb8aa3b, v38, -v55
	v_rndne_f32_e32 v57, v55
	s_waitcnt_depctr 0xfff
	v_ldexp_f32 v36, v36, v39
	v_dual_fmac_f32 v56, 0x32a5705f, v38 :: v_dual_sub_f32 v39, v55, v57
	v_mul_f32_e32 v55, 0x3fb8aa3b, v58
	v_cvt_i32_f32_e32 v57, v57
	s_delay_alu instid0(VALU_DEP_4) | instskip(SKIP_4) | instid1(VALU_DEP_3)
	v_cndmask_b32_e64 v36, 0, v36, s3
	v_cmp_ngt_f32_e64 s3, 0xc2ce8ed0, v60
	v_add_f32_e32 v39, v39, v56
	v_fma_f32 v56, 0x3fb8aa3b, v58, -v55
	v_rndne_f32_e32 v59, v55
	v_exp_f32_e32 v39, v39
	s_delay_alu instid0(VALU_DEP_1) | instskip(SKIP_1) | instid1(VALU_DEP_2)
	v_dual_fmac_f32 v56, 0x32a5705f, v58 :: v_dual_sub_f32 v55, v55, v59
	v_cvt_i32_f32_e32 v38, v59
	v_add_f32_e32 v55, v55, v56
	v_sub_f32_e32 v56, v88, v80
	s_waitcnt_depctr 0xfff
	v_ldexp_f32 v39, v39, v57
	v_exp_f32_e32 v34, v55
	v_mul_f32_e32 v55, 0x3fb8aa3b, v56
	v_cmp_ngt_f32_e64 s9, 0xc2ce8ed0, v56
	v_cmp_nlt_f32_e64 s10, 0x42b17218, v56
	v_cndmask_b32_e64 v39, 0, v39, s5
	s_delay_alu instid0(VALU_DEP_4) | instskip(SKIP_1) | instid1(TRANS32_DEP_1)
	v_fma_f32 v57, 0x3fb8aa3b, v56, -v55
	v_rndne_f32_e32 v59, v55
	v_ldexp_f32 v34, v34, v38
	s_delay_alu instid0(VALU_DEP_2) | instskip(SKIP_2) | instid1(VALU_DEP_4)
	v_dual_fmac_f32 v57, 0x32a5705f, v56 :: v_dual_sub_f32 v38, v55, v59
	v_mul_f32_e32 v55, 0x3fb8aa3b, v60
	v_cvt_i32_f32_e32 v59, v59
	v_cndmask_b32_e64 v34, 0, v34, s7
	s_delay_alu instid0(VALU_DEP_4) | instskip(NEXT) | instid1(VALU_DEP_4)
	v_add_f32_e32 v38, v38, v57
	v_fma_f32 v57, 0x3fb8aa3b, v60, -v55
	v_rndne_f32_e32 v61, v55
	s_delay_alu instid0(VALU_DEP_4)
	v_cndmask_b32_e64 v74, 0x7f800000, v34, s8
	v_perm_b32 v34, v52, v49, 0x7060302
	v_exp_f32_e32 v38, v38
	v_fmac_f32_e32 v57, 0x32a5705f, v60
	v_sub_f32_e32 v55, v55, v61
	v_cvt_i32_f32_e32 v56, v61
	v_cndmask_b32_e64 v61, 0x7f800000, v36, s4
	v_cmp_nlt_f32_e64 s4, 0x42b17218, v60
	ds_bpermute_b32 v49, v87, v74
	v_add_f32_e32 v55, v55, v57
	v_sub_f32_e32 v57, v85, v80
	v_ldexp_f32 v38, v38, v59
	s_delay_alu instid0(VALU_DEP_3) | instskip(NEXT) | instid1(VALU_DEP_2)
	v_exp_f32_e32 v55, v55
	v_mul_f32_e32 v58, 0x3fb8aa3b, v57
	v_cmp_ngt_f32_e64 s11, 0xc2ce8ed0, v57
	v_cmp_nlt_f32_e64 s12, 0x42b17218, v57
	v_cndmask_b32_e64 v38, 0, v38, s9
	s_delay_alu instid0(VALU_DEP_4) | instskip(SKIP_1) | instid1(VALU_DEP_3)
	v_fma_f32 v59, 0x3fb8aa3b, v57, -v58
	v_rndne_f32_e32 v62, v58
	v_cndmask_b32_e64 v75, 0x7f800000, v38, s10
	s_delay_alu instid0(TRANS32_DEP_1) | instskip(NEXT) | instid1(VALU_DEP_3)
	v_ldexp_f32 v55, v55, v56
	v_dual_fmac_f32 v59, 0x32a5705f, v57 :: v_dual_sub_f32 v56, v58, v62
	v_mul_f32_e32 v58, 0x3fb8aa3b, v64
	s_delay_alu instid0(VALU_DEP_2) | instskip(NEXT) | instid1(VALU_DEP_2)
	v_add_f32_e32 v56, v56, v59
	v_fma_f32 v59, 0x3fb8aa3b, v64, -v58
	v_rndne_f32_e32 v63, v58
	s_delay_alu instid0(VALU_DEP_3) | instskip(NEXT) | instid1(VALU_DEP_1)
	v_exp_f32_e32 v56, v56
	v_dual_fmac_f32 v59, 0x32a5705f, v64 :: v_dual_sub_f32 v58, v58, v63
	v_cvt_i32_f32_e32 v60, v63
	v_cndmask_b32_e64 v63, 0x7f800000, v39, s6
	v_cndmask_b32_e64 v39, 0, v55, s3
	v_cmp_ngt_f32_e64 s3, 0xc2ce8ed0, v64
	v_add_f32_e32 v58, v58, v59
	v_cvt_i32_f32_e32 v59, v62
	ds_bpermute_b32 v55, v87, v63
	v_cndmask_b32_e64 v88, 0x7f800000, v39, s4
	v_cmp_nlt_f32_e64 s4, 0x42b17218, v64
	v_exp_f32_e32 v36, v58
	v_sub_f32_e32 v58, v83, v80
	v_ldexp_f32 v56, v56, v59
	ds_bpermute_b32 v64, v87, v88
	v_mul_f32_e32 v62, 0x3fb8aa3b, v58
	v_cndmask_b32_e64 v38, 0, v56, s11
	v_cmp_ngt_f32_e64 s5, 0xc2ce8ed0, v58
	v_cmp_nlt_f32_e64 s6, 0x42b17218, v58
	v_ldexp_f32 v57, v36, v60
	ds_bpermute_b32 v60, v87, v61
	v_fma_f32 v36, 0x3fb8aa3b, v58, -v62
	v_rndne_f32_e32 v59, v62
	v_cndmask_b32_e64 v89, 0x7f800000, v38, s12
	s_delay_alu instid0(VALU_DEP_3) | instskip(NEXT) | instid1(VALU_DEP_3)
	v_fmac_f32_e32 v36, 0x32a5705f, v58
	v_sub_f32_e32 v62, v62, v59
	v_cvt_i32_f32_e32 v56, v59
	s_delay_alu instid0(VALU_DEP_2) | instskip(NEXT) | instid1(VALU_DEP_1)
	v_add_f32_e32 v36, v62, v36
	v_exp_f32_e32 v36, v36
	s_waitcnt lgkmcnt(0)
	v_cndmask_b32_e32 v39, v61, v60, vcc_lo
	v_cndmask_b32_e64 v52, v61, v60, s0
	s_delay_alu instid0(VALU_DEP_2) | instskip(NEXT) | instid1(VALU_DEP_2)
	v_cndmask_b32_e64 v59, v39, v63, s2
	v_cndmask_b32_e64 v60, v52, v63, s1
	s_waitcnt_depctr 0xfff
	v_ldexp_f32 v56, v36, v56
	v_cvt_f16_f32_e32 v52, v52
	v_cvt_f16_f32_e32 v39, v39
	v_cndmask_b32_e32 v36, v59, v55, vcc_lo
	v_cndmask_b32_e64 v38, v60, v55, s0
	ds_bpermute_b32 v55, v87, v75
	v_cndmask_b32_e64 v58, v36, v74, s2
	v_cndmask_b32_e64 v59, v38, v74, s1
	v_cvt_f16_f32_e32 v62, v36
	v_perm_b32 v36, v50, v51, 0x7060302
	v_cvt_f16_f32_e32 v60, v38
	v_cndmask_b32_e32 v58, v58, v49, vcc_lo
	v_cndmask_b32_e64 v59, v59, v49, s0
	v_pack_b32_f16 v49, v52, v39
	v_perm_b32 v38, v54, v53, 0x7060302
	v_cndmask_b32_e64 v52, 0, v57, s3
	v_cndmask_b32_e64 v39, v58, v75, s2
	;; [unrolled: 1-line block ×3, first 2 shown]
	v_cvt_f16_f32_e32 v53, v59
	v_cvt_f16_f32_e32 v54, v58
	ds_bpermute_b32 v57, v87, v89
	v_cndmask_b32_e64 v90, 0x7f800000, v52, s4
	v_pack_b32_f16 v50, v60, v62
	s_waitcnt lgkmcnt(1)
	v_cndmask_b32_e32 v39, v39, v55, vcc_lo
	v_cndmask_b32_e64 v55, v51, v55, s0
	v_pack_b32_f16 v51, v53, v54
	v_cndmask_b32_e64 v54, 0, v56, s5
	ds_bpermute_b32 v58, v87, v90
	v_cndmask_b32_e64 v52, v39, v88, s2
	v_cndmask_b32_e64 v53, v55, v88, s1
	v_cvt_f16_f32_e32 v55, v55
	v_cvt_f16_f32_e32 v39, v39
	v_cndmask_b32_e64 v91, 0x7f800000, v54, s6
	v_cndmask_b32_e32 v56, v52, v64, vcc_lo
	v_cndmask_b32_e64 v53, v53, v64, s0
	s_delay_alu instid0(VALU_DEP_4) | instskip(NEXT) | instid1(VALU_DEP_3)
	v_pack_b32_f16 v52, v55, v39
	v_cndmask_b32_e64 v39, v56, v89, s2
	s_delay_alu instid0(VALU_DEP_3) | instskip(SKIP_1) | instid1(VALU_DEP_2)
	v_cndmask_b32_e64 v55, v53, v89, s1
	s_waitcnt lgkmcnt(1)
	v_cndmask_b32_e32 v54, v39, v57, vcc_lo
	s_delay_alu instid0(VALU_DEP_2) | instskip(SKIP_4) | instid1(VALU_DEP_3)
	v_cndmask_b32_e64 v55, v55, v57, s0
	ds_bpermute_b32 v57, v87, v91
	v_perm_b32 v39, v71, v48, 0x7060302
	v_cndmask_b32_e64 v48, v54, v90, s2
	v_cndmask_b32_e64 v59, v55, v90, s1
	v_wmma_f16_16x16x16_f16 v[0:7], v[32:39], v[40:47], v[0:7] op_sel:[0,0,1]
	v_add_nc_u32_e32 v32, 0x2200, v93
	s_waitcnt lgkmcnt(1)
	v_cndmask_b32_e32 v62, v48, v58, vcc_lo
	v_cndmask_b32_e64 v64, v59, v58, s0
	v_add3_u32 v38, 0, 0x2200, v150
	v_cvt_f16_f32_e32 v33, v56
	ds_load_2addr_b32 v[43:44], v115 offset0:176 offset1:196
	v_cndmask_b32_e64 v48, v62, v91, s2
	v_cvt_f16_f32_e32 v37, v62
	v_add_nc_u32_e32 v62, 0x2c00, v93
	v_cvt_f16_f32_e32 v36, v64
	v_cvt_f16_f32_e32 v34, v55
	;; [unrolled: 1-line block ×3, first 2 shown]
	s_waitcnt lgkmcnt(1)
	v_cndmask_b32_e32 v65, v48, v57, vcc_lo
	v_cndmask_b32_e64 v48, v64, v91, s1
	v_pack_b32_f16 v55, v36, v37
	v_pack_b32_f16 v54, v34, v35
	s_delay_alu instid0(VALU_DEP_4) | instskip(NEXT) | instid1(VALU_DEP_4)
	v_cvt_f16_f32_e32 v40, v65
	v_cndmask_b32_e64 v68, v48, v57, s0
	ds_load_2addr_b32 v[45:46], v32 offset0:116 offset1:136
	ds_load_2addr_b32 v[47:48], v73 offset0:56 offset1:76
	ds_load_b32 v41, v38 offset:1088
	ds_load_2addr_b32 v[57:58], v73 offset0:124 offset1:212
	ds_load_2addr_b32 v[59:60], v117 offset0:4 offset1:24
	ds_load_2addr_b32 v[66:67], v117 offset0:72 offset1:92
	v_cvt_f16_f32_e32 v32, v53
	v_cvt_f16_f32_e32 v39, v68
	ds_load_b32 v42, v38 offset:2176
	ds_load_2addr_b32 v[68:69], v117 offset0:140 offset1:228
	ds_load_2addr_b32 v[70:71], v62 offset0:20 offset1:40
	;; [unrolled: 1-line block ×3, first 2 shown]
	ds_load_b32 v64, v38 offset:3264
	ds_load_2addr_b32 v[83:84], v62 offset0:156 offset1:244
	v_pack_b32_f16 v53, v32, v33
	v_pack_b32_f16 v56, v39, v40
	v_add_nc_u32_e32 v40, 0x3000, v93
	ds_load_2addr_b32 v[85:86], v40 offset0:36 offset1:56
	ds_load_2addr_b32 v[118:119], v40 offset0:104 offset1:124
	s_waitcnt lgkmcnt(14)
	v_perm_b32 v32, v44, v72, 0x5040100
	s_waitcnt lgkmcnt(12)
	v_perm_b32 v33, v48, v46, 0x5040100
	;; [unrolled: 2-line block ×8, first 2 shown]
	s_delay_alu instid0(VALU_DEP_1)
	v_wmma_f16_16x16x16_f16 v[24:31], v[32:39], v[49:56], v[24:31]
	v_perm_b32 v32, v44, v72, 0x7060302
	v_perm_b32 v34, v58, v41, 0x7060302
	;; [unrolled: 1-line block ×8, first 2 shown]
	ds_load_2addr_b32 v[41:42], v115 offset0:144 offset1:160
	ds_load_2addr_b32 v[64:65], v115 offset0:212 offset1:228
	;; [unrolled: 1-line block ×4, first 2 shown]
	v_perm_b32 v67, v68, v66, 0x7060302
	v_perm_b32 v69, v83, v76, 0x7060302
	v_wmma_f16_16x16x16_f16 v[24:31], v[32:39], v[49:56], v[24:31] op_sel:[0,0,1]
	v_add3_u32 v38, 0, 0x2240, v150
	v_add_nc_u32_e32 v36, 0x2a00, v93
	ds_load_b32 v44, v38 offset:1088
	ds_load_2addr_b32 v[115:116], v73 offset0:228 offset1:244
	ds_load_2addr_b32 v[119:120], v117 offset0:40 offset1:56
	ds_load_2addr_b32 v[121:122], v117 offset0:108 offset1:124
	ds_load_b32 v46, v38 offset:2176
	ds_load_2addr_b32 v[123:124], v36 offset0:116 offset1:132
	ds_load_2addr_b32 v[125:126], v62 offset0:56 offset1:72
	ds_load_2addr_b32 v[127:128], v62 offset0:124 offset1:140
	;; [unrolled: 4-line block ×3, first 2 shown]
	s_waitcnt lgkmcnt(14)
	v_perm_b32 v32, v64, v41, 0x5040100
	s_waitcnt lgkmcnt(12)
	v_perm_b32 v33, v77, v71, 0x5040100
	;; [unrolled: 2-line block ×8, first 2 shown]
	s_delay_alu instid0(VALU_DEP_1)
	v_wmma_f16_16x16x16_f16 v[16:23], v[32:39], v[49:56], v[16:23]
	v_perm_b32 v34, v115, v44, 0x7060302
	v_perm_b32 v36, v123, v46, 0x7060302
	;; [unrolled: 1-line block ×9, first 2 shown]
	v_add_nc_u32_e32 v134, 0x3c00, v93
	s_delay_alu instid0(VALU_DEP_3)
	v_wmma_f16_16x16x16_f16 v[16:23], v[32:39], v[49:56], v[16:23] op_sel:[0,0,1]
	v_add3_u32 v32, 0, 0x2280, v150
	ds_load_b32 v41, v32 offset:1088
	ds_load_b32 v44, v32 offset:2176
	ds_load_b32 v46, v32 offset:3264
	v_perm_b32 v32, v65, v42, 0x5040100
	v_perm_b32 v33, v78, v72, 0x5040100
	;; [unrolled: 1-line block ×5, first 2 shown]
	s_waitcnt lgkmcnt(2)
	v_perm_b32 v34, v116, v41, 0x5040100
	s_waitcnt lgkmcnt(1)
	v_perm_b32 v36, v124, v44, 0x5040100
	;; [unrolled: 2-line block ×3, first 2 shown]
	s_delay_alu instid0(VALU_DEP_1)
	v_wmma_f16_16x16x16_f16 v[8:15], v[32:39], v[49:56], v[8:15]
	v_perm_b32 v32, v65, v42, 0x7060302
	v_perm_b32 v33, v78, v72, 0x7060302
	;; [unrolled: 1-line block ×9, first 2 shown]
	s_delay_alu instid0(VALU_DEP_2)
	v_wmma_f16_16x16x16_f16 v[8:15], v[32:39], v[49:56], v[8:15] op_sel:[0,0,1]
	v_add3_u32 v32, 0, 0x22c0, v150
	ds_load_b32 v44, v32 offset:1088
	ds_load_b32 v46, v32 offset:2176
	ds_load_b32 v48, v32 offset:3264
	ds_load_2addr_b32 v[41:42], v40 offset0:172 offset1:192
	v_perm_b32 v32, v45, v43, 0x5040100
	v_perm_b32 v33, v57, v47, 0x5040100
	;; [unrolled: 1-line block ×4, first 2 shown]
	v_sub_f32_e32 v43, v101, v80
	v_sub_f32_e32 v47, v104, v80
	s_delay_alu instid0(VALU_DEP_2)
	v_cmp_ngt_f32_e64 s9, 0xc2ce8ed0, v43
	v_cmp_nlt_f32_e64 s10, 0x42b17218, v43
	s_waitcnt lgkmcnt(3)
	v_perm_b32 v34, v59, v44, 0x5040100
	s_waitcnt lgkmcnt(2)
	v_perm_b32 v36, v70, v46, 0x5040100
	;; [unrolled: 2-line block ×4, first 2 shown]
	v_perm_b32 v66, v59, v44, 0x7060302
	v_perm_b32 v68, v70, v46, 0x7060302
	;; [unrolled: 1-line block ×4, first 2 shown]
	v_wmma_f16_16x16x16_f16 v[0:7], v[32:39], v[49:56], v[0:7]
	v_sub_f32_e32 v32, v82, v80
	v_sub_f32_e32 v36, v81, v80
	s_delay_alu instid0(VALU_DEP_3) | instskip(NEXT) | instid1(VALU_DEP_3)
	v_wmma_f16_16x16x16_f16 v[0:7], v[64:71], v[49:56], v[0:7] op_sel:[0,0,1]
	v_mul_f32_e32 v33, 0x3fb8aa3b, v32
	s_delay_alu instid0(VALU_DEP_3)
	v_mul_f32_e32 v37, 0x3fb8aa3b, v36
	v_add_nc_u32_e32 v49, 0x3200, v93
	v_cmp_ngt_f32_e64 s3, 0xc2ce8ed0, v32
	v_cmp_nlt_f32_e64 s4, 0x42b17218, v32
	v_fma_f32 v34, 0x3fb8aa3b, v32, -v33
	v_rndne_f32_e32 v35, v33
	v_rndne_f32_e32 v38, v37
	v_cmp_ngt_f32_e64 s5, 0xc2ce8ed0, v36
	v_cmp_nlt_f32_e64 s6, 0x42b17218, v36
	s_delay_alu instid0(VALU_DEP_4) | instskip(SKIP_2) | instid1(VALU_DEP_3)
	v_dual_fmac_f32 v34, 0x32a5705f, v32 :: v_dual_sub_f32 v33, v33, v35
	v_cvt_i32_f32_e32 v35, v35
	v_cvt_i32_f32_e32 v32, v38
	v_add_f32_e32 v33, v33, v34
	v_fma_f32 v34, 0x3fb8aa3b, v36, -v37
	v_sub_f32_e32 v37, v37, v38
	s_delay_alu instid0(VALU_DEP_3) | instskip(NEXT) | instid1(VALU_DEP_2)
	v_exp_f32_e32 v33, v33
	v_fmac_f32_e32 v34, 0x32a5705f, v36
	s_delay_alu instid0(VALU_DEP_1)
	v_dual_add_f32 v34, v37, v34 :: v_dual_sub_f32 v37, v79, v80
	s_waitcnt_depctr 0xfff
	v_ldexp_f32 v33, v33, v35
	v_exp_f32_e32 v34, v34
	v_mul_f32_e32 v39, 0x3fb8aa3b, v37
	v_cmp_ngt_f32_e64 s7, 0xc2ce8ed0, v37
	v_cmp_nlt_f32_e64 s8, 0x42b17218, v37
	v_cndmask_b32_e64 v33, 0, v33, s3
	s_delay_alu instid0(VALU_DEP_4) | instskip(SKIP_1) | instid1(VALU_DEP_3)
	v_fma_f32 v35, 0x3fb8aa3b, v37, -v39
	v_rndne_f32_e32 v38, v39
	v_cndmask_b32_e64 v101, 0x7f800000, v33, s4
	s_delay_alu instid0(TRANS32_DEP_1) | instskip(NEXT) | instid1(VALU_DEP_3)
	v_ldexp_f32 v32, v34, v32
	v_dual_fmac_f32 v35, 0x32a5705f, v37 :: v_dual_sub_f32 v34, v39, v38
	v_mul_f32_e32 v39, 0x3fb8aa3b, v43
	v_cvt_i32_f32_e32 v38, v38
	s_delay_alu instid0(VALU_DEP_4) | instskip(SKIP_4) | instid1(VALU_DEP_3)
	v_cndmask_b32_e64 v32, 0, v32, s5
	v_cmp_ngt_f32_e64 s5, 0xc2ce8ed0, v47
	v_add_f32_e32 v34, v34, v35
	v_fma_f32 v35, 0x3fb8aa3b, v43, -v39
	v_rndne_f32_e32 v45, v39
	v_exp_f32_e32 v34, v34
	s_delay_alu instid0(VALU_DEP_2) | instskip(NEXT) | instid1(VALU_DEP_2)
	v_fmac_f32_e32 v35, 0x32a5705f, v43
	v_sub_f32_e32 v39, v39, v45
	v_cvt_i32_f32_e32 v37, v45
	s_delay_alu instid0(VALU_DEP_2)
	v_add_f32_e32 v35, v39, v35
	v_sub_f32_e32 v39, v105, v80
	s_waitcnt_depctr 0xfff
	v_ldexp_f32 v34, v34, v38
	v_exp_f32_e32 v35, v35
	v_mul_f32_e32 v36, 0x3fb8aa3b, v39
	v_cmp_ngt_f32_e64 s3, 0xc2ce8ed0, v39
	s_delay_alu instid0(VALU_DEP_3) | instskip(SKIP_1) | instid1(VALU_DEP_4)
	v_cndmask_b32_e64 v34, 0, v34, s7
	v_cmp_nlt_f32_e64 s4, 0x42b17218, v39
	v_fma_f32 v38, 0x3fb8aa3b, v39, -v36
	v_rndne_f32_e32 v45, v36
	s_delay_alu instid0(VALU_DEP_4) | instskip(NEXT) | instid1(TRANS32_DEP_1)
	v_cndmask_b32_e64 v104, 0x7f800000, v34, s8
	v_ldexp_f32 v35, v35, v37
	s_delay_alu instid0(VALU_DEP_4) | instskip(NEXT) | instid1(VALU_DEP_4)
	v_fmac_f32_e32 v38, 0x32a5705f, v39
	v_dual_sub_f32 v36, v36, v45 :: v_dual_mul_f32 v37, 0x3fb8aa3b, v47
	s_delay_alu instid0(VALU_DEP_3) | instskip(NEXT) | instid1(VALU_DEP_2)
	v_cndmask_b32_e64 v34, 0, v35, s9
	v_add_f32_e32 v36, v36, v38
	s_delay_alu instid0(VALU_DEP_3) | instskip(SKIP_1) | instid1(VALU_DEP_3)
	v_fma_f32 v38, 0x3fb8aa3b, v47, -v37
	v_rndne_f32_e32 v43, v37
	v_exp_f32_e32 v33, v36
	s_delay_alu instid0(VALU_DEP_2) | instskip(NEXT) | instid1(VALU_DEP_2)
	v_fmac_f32_e32 v38, 0x32a5705f, v47
	v_sub_f32_e32 v37, v37, v43
	v_cvt_i32_f32_e32 v43, v43
	s_delay_alu instid0(VALU_DEP_2)
	v_add_f32_e32 v36, v37, v38
	ds_bpermute_b32 v37, v87, v101
	v_cvt_i32_f32_e32 v38, v45
	v_sub_f32_e32 v45, v103, v80
	v_cndmask_b32_e64 v103, 0x7f800000, v32, s6
	v_exp_f32_e32 v35, v36
	v_cmp_nlt_f32_e64 s6, 0x42b17218, v47
	v_ldexp_f32 v32, v33, v38
	v_mul_f32_e32 v33, 0x3fb8aa3b, v45
	ds_bpermute_b32 v36, v87, v103
	v_sub_f32_e32 v47, v102, v80
	v_cndmask_b32_e64 v102, 0x7f800000, v34, s10
	v_cndmask_b32_e64 v32, 0, v32, s3
	v_fma_f32 v38, 0x3fb8aa3b, v45, -v33
	v_rndne_f32_e32 v44, v33
	v_ldexp_f32 v35, v35, v43
	ds_bpermute_b32 v43, v87, v104
	v_cndmask_b32_e64 v105, 0x7f800000, v32, s4
	v_dual_fmac_f32 v38, 0x32a5705f, v45 :: v_dual_sub_f32 v33, v33, v44
	v_cmp_ngt_f32_e64 s3, 0xc2ce8ed0, v45
	s_waitcnt lgkmcnt(2)
	v_cndmask_b32_e32 v39, v101, v37, vcc_lo
	v_cndmask_b32_e64 v57, v101, v37, s0
	v_cmp_nlt_f32_e64 s7, 0x42b17218, v45
	v_add_f32_e32 v33, v33, v38
	ds_bpermute_b32 v32, v87, v105
	v_cndmask_b32_e64 v37, v39, v103, s2
	v_cndmask_b32_e64 v38, v57, v103, s1
	;; [unrolled: 1-line block ×3, first 2 shown]
	v_exp_f32_e32 v33, v33
	v_cmp_ngt_f32_e64 s4, 0xc2ce8ed0, v47
	s_waitcnt lgkmcnt(2)
	v_cndmask_b32_e32 v34, v37, v36, vcc_lo
	v_cndmask_b32_e64 v58, v38, v36, s0
	v_cvt_i32_f32_e32 v36, v44
	v_mul_f32_e32 v37, 0x3fb8aa3b, v47
	v_cndmask_b32_e64 v115, 0x7f800000, v35, s6
	v_cndmask_b32_e64 v38, v34, v104, s2
	;; [unrolled: 1-line block ×3, first 2 shown]
	v_cmp_nlt_f32_e64 s5, 0x42b17218, v47
	v_ldexp_f32 v33, v33, v36
	ds_bpermute_b32 v36, v87, v102
	v_fma_f32 v46, 0x3fb8aa3b, v47, -v37
	s_waitcnt lgkmcnt(2)
	v_cndmask_b32_e32 v59, v38, v43, vcc_lo
	v_rndne_f32_e32 v38, v37
	v_cndmask_b32_e64 v43, v44, v43, s0
	v_cndmask_b32_e64 v33, 0, v33, s3
	v_fmac_f32_e32 v46, 0x32a5705f, v47
	v_cndmask_b32_e64 v44, v59, v102, s2
	v_sub_f32_e32 v37, v37, v38
	v_cndmask_b32_e64 v45, v43, v102, s1
	v_cndmask_b32_e64 v116, 0x7f800000, v33, s7
	v_cvt_f16_f32_e32 v47, v39
	v_cvt_f16_f32_e32 v41, v58
	v_add_f32_e32 v37, v37, v46
	v_cvt_f16_f32_e32 v34, v34
	ds_bpermute_b32 v35, v87, v116
	s_waitcnt lgkmcnt(1)
	v_cndmask_b32_e32 v46, v44, v36, vcc_lo
	v_cndmask_b32_e64 v45, v45, v36, s0
	v_exp_f32_e32 v36, v37
	v_cvt_i32_f32_e32 v37, v38
	s_waitcnt_depctr 0xfff
	v_ldexp_f32 v38, v36, v37
	v_cndmask_b32_e64 v36, v46, v105, s2
	v_cndmask_b32_e64 v37, v45, v105, s1
	s_delay_alu instid0(VALU_DEP_3) | instskip(NEXT) | instid1(VALU_DEP_3)
	v_cndmask_b32_e64 v33, 0, v38, s4
	v_cndmask_b32_e32 v36, v36, v32, vcc_lo
	s_delay_alu instid0(VALU_DEP_3)
	v_cndmask_b32_e64 v37, v37, v32, s0
	ds_bpermute_b32 v32, v87, v115
	v_cndmask_b32_e64 v117, 0x7f800000, v33, s5
	v_cndmask_b32_e64 v38, v36, v115, s2
	;; [unrolled: 1-line block ×3, first 2 shown]
	v_cvt_f16_f32_e32 v33, v57
	v_cvt_f16_f32_e32 v37, v37
	ds_bpermute_b32 v48, v87, v117
	v_cvt_f16_f32_e32 v36, v36
	s_delay_alu instid0(VALU_DEP_1)
	v_pack_b32_f16 v36, v37, v36
	s_waitcnt lgkmcnt(1)
	v_cndmask_b32_e32 v38, v38, v32, vcc_lo
	v_cndmask_b32_e64 v39, v44, v32, s0
	v_pack_b32_f16 v32, v33, v47
	v_pack_b32_f16 v33, v41, v34
	v_cvt_f16_f32_e32 v34, v43
	v_cndmask_b32_e64 v57, v38, v116, s2
	v_cndmask_b32_e64 v44, v39, v116, s1
	v_cvt_f16_f32_e32 v41, v45
	v_cvt_f16_f32_e32 v45, v46
	;; [unrolled: 1-line block ×3, first 2 shown]
	v_cndmask_b32_e32 v43, v57, v35, vcc_lo
	v_cndmask_b32_e64 v44, v44, v35, s0
	v_cvt_f16_f32_e32 v35, v59
	ds_load_2addr_b32 v[58:59], v49 offset0:112 offset1:132
	v_add3_u32 v49, 0, 0x3300, v150
	v_cndmask_b32_e64 v46, v43, v117, s2
	v_cndmask_b32_e64 v47, v44, v117, s1
	v_pack_b32_f16 v34, v34, v35
	v_pack_b32_f16 v35, v41, v45
	v_add_nc_u32_e32 v41, 0x3400, v93
	s_waitcnt lgkmcnt(1)
	v_cndmask_b32_e32 v45, v46, v48, vcc_lo
	v_cndmask_b32_e64 v46, v47, v48, s0
	v_add_nc_u32_e32 v47, 0x3600, v93
	v_add_nc_u32_e32 v57, 0x3800, v93
	ds_load_2addr_b32 v[64:65], v41 offset0:52 offset1:72
	ds_load_2addr_b32 v[118:119], v41 offset0:120 offset1:140
	ds_load_b32 v128, v49 offset:1088
	ds_load_2addr_b32 v[120:121], v47 offset0:60 offset1:148
	ds_load_2addr_b32 v[66:67], v57 offset0:68 offset1:88
	ds_load_2addr_b32 v[76:77], v57 offset0:136 offset1:156
	v_add_nc_u32_e32 v47, 0x3a00, v93
	ds_load_b32 v60, v49 offset:2176
	ds_load_2addr_b32 v[78:79], v47 offset0:76 offset1:164
	ds_load_2addr_b32 v[68:69], v134 offset0:84 offset1:104
	;; [unrolled: 1-line block ×3, first 2 shown]
	ds_load_b32 v62, v49 offset:3264
	v_add_nc_u32_e32 v49, 0x3e00, v93
	v_cvt_f16_f32_e32 v38, v38
	v_cvt_f16_f32_e32 v44, v44
	;; [unrolled: 1-line block ×4, first 2 shown]
	ds_load_2addr_b32 v[81:82], v49 offset0:92 offset1:180
	ds_load_2addr_b32 v[83:84], v140 offset0:100 offset1:120
	;; [unrolled: 1-line block ×7, first 2 shown]
	v_add3_u32 v40, 0, 0x3340, v150
	ds_load_b32 v142, v40 offset:1088
	ds_load_2addr_b32 v[122:123], v57 offset0:36 offset1:52
	ds_load_2addr_b32 v[124:125], v57 offset0:104 offset1:120
	ds_load_2addr_b32 v[126:127], v57 offset0:172 offset1:188
	ds_load_b32 v143, v40 offset:2176
	ds_load_2addr_b32 v[130:131], v134 offset0:52 offset1:68
	ds_load_2addr_b32 v[132:133], v134 offset0:120 offset1:136
	ds_load_2addr_b32 v[134:135], v134 offset0:188 offset1:204
	;; [unrolled: 4-line block ×3, first 2 shown]
	v_add3_u32 v40, 0, 0x3380, v150
	ds_load_b32 v145, v40 offset:1088
	ds_load_b32 v146, v40 offset:2176
	ds_load_b32 v147, v40 offset:3264
	v_cvt_f16_f32_e32 v45, v45
	v_pack_b32_f16 v37, v39, v38
	v_pack_b32_f16 v38, v44, v43
	s_waitcnt lgkmcnt(33)
	v_perm_b32 v43, v59, v42, 0x5040100
	s_waitcnt lgkmcnt(31)
	v_perm_b32 v44, v119, v65, 0x5040100
	v_pack_b32_f16 v39, v46, v45
	s_waitcnt lgkmcnt(29)
	v_perm_b32 v45, v121, v128, 0x5040100
	s_waitcnt lgkmcnt(27)
	v_perm_b32 v46, v77, v67, 0x5040100
	s_waitcnt lgkmcnt(25)
	v_perm_b32 v47, v79, v60, 0x5040100
	s_waitcnt lgkmcnt(23)
	v_perm_b32 v48, v71, v69, 0x5040100
	s_waitcnt lgkmcnt(21)
	v_perm_b32 v49, v82, v62, 0x5040100
	s_waitcnt lgkmcnt(19)
	v_perm_b32 v50, v86, v84, 0x5040100
	v_perm_b32 v62, v82, v62, 0x7060302
	s_waitcnt lgkmcnt(15)
	v_perm_b32 v41, v72, v55, 0x7060302
	v_perm_b32 v60, v79, v60, 0x7060302
	;; [unrolled: 1-line block ×3, first 2 shown]
	v_wmma_f16_16x16x16_f16 v[24:31], v[43:50], v[32:39], v[24:31]
	v_perm_b32 v43, v53, v51, 0x5040100
	v_perm_b32 v44, v72, v55, 0x5040100
	s_waitcnt lgkmcnt(13)
	v_perm_b32 v45, v122, v142, 0x5040100
	s_waitcnt lgkmcnt(11)
	;; [unrolled: 2-line block ×6, first 2 shown]
	v_perm_b32 v50, v140, v138, 0x5040100
	v_perm_b32 v72, v64, v58, 0x5040100
	;; [unrolled: 1-line block ×5, first 2 shown]
	v_wmma_f16_16x16x16_f16 v[16:23], v[43:50], v[32:39], v[16:23]
	v_perm_b32 v43, v54, v52, 0x5040100
	v_perm_b32 v44, v73, v56, 0x5040100
	s_waitcnt lgkmcnt(2)
	v_perm_b32 v45, v123, v145, 0x5040100
	v_perm_b32 v46, v127, v125, 0x5040100
	s_waitcnt lgkmcnt(1)
	;; [unrolled: 3-line block ×3, first 2 shown]
	v_perm_b32 v49, v137, v147, 0x5040100
	v_perm_b32 v50, v141, v139, 0x5040100
	;; [unrolled: 1-line block ×6, first 2 shown]
	v_wmma_f16_16x16x16_f16 v[8:15], v[43:50], v[32:39], v[8:15]
	v_perm_b32 v49, v73, v56, 0x7060302
	v_perm_b32 v56, v59, v42, 0x7060302
	v_add_f32_e32 v59, v94, v95
	v_perm_b32 v73, v120, v118, 0x5040100
	v_perm_b32 v48, v54, v52, 0x7060302
	v_perm_b32 v43, v126, v124, 0x7060302
	v_perm_b32 v45, v134, v132, 0x7060302
	v_add_f32_e32 v59, v96, v59
	v_perm_b32 v47, v140, v138, 0x7060302
	v_perm_b32 v42, v122, v142, 0x7060302
	v_perm_b32 v50, v123, v145, 0x7060302
	v_perm_b32 v44, v130, v143, 0x7060302
	v_add_f32_e32 v59, v97, v59
	v_perm_b32 v52, v131, v146, 0x7060302
	v_perm_b32 v46, v136, v144, 0x7060302
	v_perm_b32 v54, v137, v147, 0x7060302
	s_mov_b32 s1, 0
	v_add_f32_e32 v59, v98, v59
	s_mov_b32 s2, exec_lo
	v_wmma_f16_16x16x16_f16 v[16:23], v[40:47], v[32:39], v[16:23] op_sel:[0,0,1]
	v_wmma_f16_16x16x16_f16 v[8:15], v[48:55], v[32:39], v[8:15] op_sel:[0,0,1]
	s_delay_alu instid0(VALU_DEP_3) | instskip(NEXT) | instid1(VALU_DEP_1)
	v_add_f32_e32 v59, v99, v59
	v_add_f32_e32 v59, v100, v59
	s_delay_alu instid0(VALU_DEP_1) | instskip(NEXT) | instid1(VALU_DEP_1)
	v_add_f32_e32 v59, v106, v59
	v_add_f32_e32 v59, v107, v59
	s_delay_alu instid0(VALU_DEP_1) | instskip(NEXT) | instid1(VALU_DEP_1)
	;; [unrolled: 3-line block ×5, first 2 shown]
	v_add_f32_e32 v59, v114, v59
	v_add_f32_e32 v59, v61, v59
	v_perm_b32 v61, v71, v69, 0x7060302
	v_perm_b32 v69, v81, v70, 0x7060302
	s_delay_alu instid0(VALU_DEP_3) | instskip(SKIP_1) | instid1(VALU_DEP_2)
	v_add_f32_e32 v59, v63, v59
	v_perm_b32 v63, v86, v84, 0x7060302
	v_add_f32_e32 v59, v74, v59
	s_delay_alu instid0(VALU_DEP_1) | instskip(NEXT) | instid1(VALU_DEP_1)
	v_add_f32_e32 v59, v75, v59
	v_add_f32_e32 v59, v88, v59
	s_delay_alu instid0(VALU_DEP_1) | instskip(NEXT) | instid1(VALU_DEP_1)
	v_add_f32_e32 v59, v89, v59
	;; [unrolled: 3-line block ×6, first 2 shown]
	v_add_f32_e32 v59, v116, v59
	s_delay_alu instid0(VALU_DEP_1)
	v_add_f32_e32 v88, v117, v59
	v_add3_u32 v59, 0, 0x33c0, v150
	ds_load_b32 v75, v59 offset:1088
	ds_load_b32 v90, v59 offset:2176
	;; [unrolled: 1-line block ×4, first 2 shown]
	v_fmac_f32_e32 v88, v129, v92
	v_perm_b32 v59, v77, v67, 0x7060302
	v_perm_b32 v67, v78, v76, 0x7060302
	;; [unrolled: 1-line block ×3, first 2 shown]
	s_waitcnt lgkmcnt(0)
	ds_bpermute_b32 v82, v87, v88
	v_wmma_f16_16x16x16_f16 v[24:31], v[56:63], v[32:39], v[24:31] op_sel:[0,0,1]
	s_waitcnt lgkmcnt(0)
	s_barrier
	buffer_gl0_inv
	s_barrier
	buffer_gl0_inv
	v_perm_b32 v74, v66, v75, 0x5040100
	v_perm_b32 v66, v66, v75, 0x7060302
	;; [unrolled: 1-line block ×9, first 2 shown]
	s_delay_alu instid0(VALU_DEP_4) | instskip(NEXT) | instid1(VALU_DEP_1)
	v_wmma_f16_16x16x16_f16 v[0:7], v[72:79], v[32:39], v[0:7]
	v_wmma_f16_16x16x16_f16 v[0:7], v[64:71], v[32:39], v[0:7] op_sel:[0,0,1]
	v_cmpx_gt_u32_e32 16, v148
	s_cbranch_execz .LBB25_1202
; %bb.1201:
	v_readlane_b32 s0, v255, 9
	v_or_b32_e32 v32, v149, v148
	v_add_f32_e32 v81, v88, v82
	s_delay_alu instid0(VALU_DEP_3) | instskip(NEXT) | instid1(VALU_DEP_2)
	s_add_i32 s0, s0, s15
	v_lshlrev_b32_e32 v32, 3, v32
	s_lshl_b32 s0, s0, 6
	s_delay_alu instid0(SALU_CYCLE_1) | instskip(NEXT) | instid1(SALU_CYCLE_1)
	s_lshl_b64 s[4:5], s[0:1], 3
	s_add_u32 s4, s30, s4
	s_addc_u32 s5, s31, s5
	global_store_b64 v32, v[80:81], s[4:5]
.LBB25_1202:
	s_or_b32 exec_lo, exec_lo, s2
	s_clause 0x1
	scratch_load_b32 v32, off, off offset:828
	scratch_load_b32 v33, off, off offset:512
	v_readlane_b32 s2, v255, 4
	v_readlane_b32 s3, v255, 5
	s_waitcnt vmcnt(0)
	v_lshl_add_u32 v32, v33, 2, v32
	ds_store_2addr_b32 v32, v24, v25 offset1:2
	ds_store_2addr_b32 v32, v26, v27 offset0:4 offset1:6
	ds_store_2addr_b32 v32, v28, v29 offset0:8 offset1:10
	;; [unrolled: 1-line block ×15, first 2 shown]
	s_waitcnt lgkmcnt(0)
	s_waitcnt_vscnt null, 0x0
	s_barrier
	buffer_gl0_inv
	s_clause 0x1
	s_load_b32 s0, s[2:3], 0x10
	s_load_b32 s2, s[2:3], 0x0
	s_clause 0x2
	scratch_load_b32 v0, off, off offset:1636
	scratch_load_b32 v16, off, off offset:1632
	;; [unrolled: 1-line block ×3, first 2 shown]
	v_mov_b32_e32 v1, 0
	s_waitcnt lgkmcnt(0)
	s_lshr_b32 s0, s0, 16
	s_delay_alu instid0(SALU_CYCLE_1) | instskip(SKIP_1) | instid1(SALU_CYCLE_1)
	s_cmp_lg_u32 s0, 0
	s_cselect_b32 s0, -1, 0
	s_cmp_lg_u32 s0, 0
	s_addc_u32 s0, s2, 0
	s_delay_alu instid0(SALU_CYCLE_1) | instskip(NEXT) | instid1(SALU_CYCLE_1)
	s_lshl_b32 s0, s0, 7
	s_lshl_b64 s[2:3], s[0:1], 3
	s_delay_alu instid0(SALU_CYCLE_1) | instskip(SKIP_2) | instid1(SALU_CYCLE_1)
	s_add_u32 s2, s30, s2
	s_addc_u32 s3, s31, s3
	s_lshl_b32 s0, s15, 12
	s_lshl_b64 s[0:1], s[0:1], 3
	s_delay_alu instid0(SALU_CYCLE_1)
	s_add_u32 s0, s2, s0
	s_addc_u32 s1, s3, s1
	s_waitcnt vmcnt(2)
	v_lshl_add_u32 v2, v0, 2, v248
	scratch_load_b32 v0, off, off offset:1204 ; 4-byte Folded Reload
	s_waitcnt vmcnt(1)
	v_add_nc_u32_e32 v13, 0x110, v22
	ds_load_2addr_b32 v[3:4], v2 offset1:32
	s_waitcnt lgkmcnt(0)
	v_lshrrev_b32_e32 v7, 16, v3
	v_cvt_f32_f16_e32 v3, v3
	v_lshrrev_b32_e32 v12, 16, v4
	s_delay_alu instid0(VALU_DEP_3) | instskip(NEXT) | instid1(VALU_DEP_1)
	v_cvt_f32_f16_e32 v10, v7
	v_dual_add_f32 v9, 0, v3 :: v_dual_add_f32 v10, 0, v10
	s_waitcnt vmcnt(0)
	v_lshlrev_b32_e32 v11, 6, v0
	v_lshlrev_b32_e32 v0, 2, v0
	s_delay_alu instid0(VALU_DEP_2) | instskip(NEXT) | instid1(VALU_DEP_2)
	v_add_lshl_u32 v15, v148, v11, 3
	v_sub_nc_u32_e32 v0, v22, v0
	s_delay_alu instid0(VALU_DEP_1) | instskip(SKIP_1) | instid1(VALU_DEP_2)
	v_lshlrev_b64 v[7:8], 3, v[0:1]
	v_cvt_f32_f16_e32 v0, v4
	v_add_co_u32 v3, vcc_lo, s0, v7
	s_delay_alu instid0(VALU_DEP_3) | instskip(SKIP_4) | instid1(VALU_DEP_4)
	v_add_co_ci_u32_e32 v4, vcc_lo, s1, v8, vcc_lo
	v_cvt_f32_f16_e32 v8, v12
	v_add_nc_u32_e32 v5, 0x400, v2
	v_dual_add_f32 v7, 0, v0 :: v_dual_add_nc_u32 v12, 0x800, v2
	v_lshlrev_b32_e32 v0, 2, v16
	v_add_f32_e32 v8, 0, v8
	ds_load_2addr_b32 v[5:6], v5 offset0:16 offset1:48
	global_store_b64 v[3:4], v[9:10], off
	ds_load_2addr_b32 v[11:12], v12 offset0:32 offset1:64
	v_sub_nc_u32_e32 v0, v13, v0
	global_store_b64 v15, v[7:8], s[0:1] offset:256
	v_lshlrev_b64 v[3:4], 3, v[0:1]
	s_delay_alu instid0(VALU_DEP_1) | instskip(NEXT) | instid1(VALU_DEP_2)
	v_add_co_u32 v3, vcc_lo, s0, v3
	v_add_co_ci_u32_e32 v4, vcc_lo, s1, v4, vcc_lo
	s_waitcnt lgkmcnt(1)
	v_lshrrev_b32_e32 v14, 16, v5
	v_cvt_f32_f16_e32 v5, v5
	v_lshrrev_b32_e32 v0, 16, v6
	s_delay_alu instid0(VALU_DEP_3) | instskip(NEXT) | instid1(VALU_DEP_3)
	v_cvt_f32_f16_e32 v14, v14
	v_add_f32_e32 v7, 0, v5
	v_cvt_f32_f16_e32 v5, v6
	s_delay_alu instid0(VALU_DEP_4)
	v_cvt_f32_f16_e32 v0, v0
	v_lshlrev_b32_e32 v6, 6, v16
	v_add_f32_e32 v8, 0, v14
	scratch_load_b32 v14, off, off offset:1628 ; 4-byte Folded Reload
	global_store_b64 v[3:4], v[7:8], off
	v_dual_add_f32 v3, 0, v5 :: v_dual_add_f32 v4, 0, v0
	v_add_lshl_u32 v8, v148, v6, 3
	s_waitcnt lgkmcnt(0)
	v_lshrrev_b32_e32 v0, 16, v11
	v_add_nc_u32_e32 v7, 0xc00, v2
	global_store_b64 v8, v[3:4], s[0:1] offset:256
	v_cvt_f32_f16_e32 v10, v0
	s_delay_alu instid0(VALU_DEP_1) | instskip(SKIP_2) | instid1(VALU_DEP_1)
	v_add_f32_e32 v4, 0, v10
	s_waitcnt vmcnt(0)
	v_lshlrev_b32_e32 v9, 2, v14
	v_sub_nc_u32_e32 v5, v13, v9
	v_cvt_f32_f16_e32 v9, v11
	v_lshlrev_b32_e32 v11, 6, v14
	v_add_nc_u32_e32 v13, 0x330, v22
	s_delay_alu instid0(VALU_DEP_4)
	v_add_nc_u32_e32 v0, 0x110, v5
	ds_load_2addr_b32 v[5:6], v7 offset0:48 offset1:80
	s_clause 0x2
	scratch_load_b32 v21, off, off offset:1592
	scratch_load_b32 v18, off, off offset:1620
	;; [unrolled: 1-line block ×3, first 2 shown]
	v_add_f32_e32 v3, 0, v9
	v_lshrrev_b32_e32 v9, 16, v12
	v_lshlrev_b64 v[7:8], 3, v[0:1]
	v_cvt_f32_f16_e32 v0, v12
	v_add_lshl_u32 v16, v148, v11, 3
	s_delay_alu instid0(VALU_DEP_4) | instskip(NEXT) | instid1(VALU_DEP_4)
	v_cvt_f32_f16_e32 v12, v9
	v_add_co_u32 v7, vcc_lo, s0, v7
	v_add_co_ci_u32_e32 v8, vcc_lo, s1, v8, vcc_lo
	v_add_f32_e32 v9, 0, v0
	s_waitcnt lgkmcnt(0)
	v_lshrrev_b32_e32 v15, 16, v5
	v_cvt_f32_f16_e32 v5, v5
	s_waitcnt vmcnt(1)
	v_and_or_b32 v10, 0x7f0, v18, v21
	s_waitcnt vmcnt(0)
	v_lshlrev_b32_e32 v0, 2, v17
	s_delay_alu instid0(VALU_DEP_2) | instskip(NEXT) | instid1(VALU_DEP_2)
	v_mul_u32_u24_e32 v10, 0x44, v10
	v_sub_nc_u32_e32 v0, v13, v0
	s_delay_alu instid0(VALU_DEP_2)
	v_lshl_add_u32 v14, v10, 2, v248
	v_add_f32_e32 v10, 0, v12
	ds_load_2addr_b32 v[11:12], v14 offset1:32
	v_cvt_f32_f16_e32 v14, v15
	s_clause 0x1
	global_store_b64 v[7:8], v[3:4], off
	global_store_b64 v16, v[9:10], s[0:1] offset:256
	v_add_f32_e32 v7, 0, v5
	v_lshlrev_b64 v[3:4], 3, v[0:1]
	v_add_nc_u32_e32 v5, 0x1400, v2
	v_add_f32_e32 v8, 0, v14
	scratch_load_b32 v14, off, off offset:1616 ; 4-byte Folded Reload
	v_lshrrev_b32_e32 v0, 16, v6
	v_cvt_f32_f16_e32 v9, v6
	v_add_co_u32 v3, vcc_lo, s0, v3
	v_add_co_ci_u32_e32 v4, vcc_lo, s1, v4, vcc_lo
	ds_load_2addr_b32 v[5:6], v5 offset0:80 offset1:112
	v_cvt_f32_f16_e32 v0, v0
	global_store_b64 v[3:4], v[7:8], off
	v_add_f32_e32 v3, 0, v9
	s_waitcnt lgkmcnt(1)
	v_lshrrev_b32_e32 v7, 16, v11
	v_cvt_f32_f16_e32 v8, v11
	v_cvt_f32_f16_e32 v11, v12
	v_lshlrev_b32_e32 v10, 6, v17
	v_add_f32_e32 v4, 0, v0
	v_cvt_f32_f16_e32 v9, v7
	v_dual_add_f32 v7, 0, v8 :: v_dual_lshlrev_b32 v0, 6, v18
	s_delay_alu instid0(VALU_DEP_2) | instskip(SKIP_2) | instid1(VALU_DEP_4)
	v_dual_add_f32 v8, 0, v9 :: v_dual_add_f32 v9, 0, v11
	v_add_lshl_u32 v17, v148, v10, 3
	v_lshrrev_b32_e32 v10, 16, v12
	v_add_lshl_u32 v18, v148, v0, 3
	s_waitcnt lgkmcnt(0)
	v_lshrrev_b32_e32 v20, 16, v6
	s_delay_alu instid0(VALU_DEP_3) | instskip(NEXT) | instid1(VALU_DEP_2)
	v_cvt_f32_f16_e32 v0, v10
	v_cvt_f32_f16_e32 v20, v20
	s_delay_alu instid0(VALU_DEP_2) | instskip(SKIP_3) | instid1(VALU_DEP_2)
	v_add_f32_e32 v10, 0, v0
	s_waitcnt vmcnt(0)
	v_lshlrev_b32_e32 v12, 2, v14
	v_lshlrev_b32_e32 v19, 6, v14
	v_sub_nc_u32_e32 v11, v13, v12
	v_lshrrev_b32_e32 v12, 16, v5
	v_add_nc_u32_e32 v13, 0x1800, v2
	v_cvt_f32_f16_e32 v5, v5
	s_delay_alu instid0(VALU_DEP_4) | instskip(NEXT) | instid1(VALU_DEP_4)
	v_add_nc_u32_e32 v0, 0x220, v11
	v_cvt_f32_f16_e32 v16, v12
	ds_load_2addr_b32 v[11:12], v13 offset0:96 offset1:128
	v_add_f32_e32 v15, 0, v5
	v_lshlrev_b64 v[13:14], 3, v[0:1]
	v_cvt_f32_f16_e32 v0, v6
	v_add_f32_e32 v16, 0, v16
	s_delay_alu instid0(VALU_DEP_3) | instskip(NEXT) | instid1(VALU_DEP_4)
	v_add_co_u32 v5, vcc_lo, s0, v13
	v_add_co_ci_u32_e32 v6, vcc_lo, s1, v14, vcc_lo
	s_delay_alu instid0(VALU_DEP_4)
	v_add_f32_e32 v13, 0, v0
	v_add_f32_e32 v14, 0, v20
	v_add_lshl_u32 v0, v148, v19, 3
	s_clause 0x4
	global_store_b64 v17, v[3:4], s[0:1] offset:256
	global_store_b64 v18, v[7:8], s[0:1]
	global_store_b64 v18, v[9:10], s[0:1] offset:256
	global_store_b64 v[5:6], v[15:16], off
	global_store_b64 v0, v[13:14], s[0:1] offset:256
	v_add_nc_u32_e32 v10, 0x660, v22
	s_clause 0x2
	scratch_load_b32 v8, off, off offset:1612
	scratch_load_b32 v17, off, off offset:1608
	;; [unrolled: 1-line block ×3, first 2 shown]
	s_waitcnt lgkmcnt(0)
	v_lshrrev_b32_e32 v0, 16, v11
	v_cvt_f32_f16_e32 v6, v11
	v_lshrrev_b32_e32 v9, 16, v12
	s_delay_alu instid0(VALU_DEP_3)
	v_cvt_f32_f16_e32 v7, v0
	s_waitcnt vmcnt(2)
	v_lshlrev_b32_e32 v5, 2, v8
	v_lshlrev_b32_e32 v11, 6, v8
	s_waitcnt vmcnt(0)
	v_and_or_b32 v13, 0x7f0, v16, v21
	s_delay_alu instid0(VALU_DEP_3) | instskip(SKIP_1) | instid1(VALU_DEP_3)
	v_sub_nc_u32_e32 v0, v10, v5
	v_dual_add_f32 v5, 0, v6 :: v_dual_add_f32 v6, 0, v7
	v_mul_u32_u24_e32 v13, 0x44, v13
	v_add_lshl_u32 v15, v148, v11, 3
	s_delay_alu instid0(VALU_DEP_4) | instskip(SKIP_3) | instid1(VALU_DEP_3)
	v_lshlrev_b64 v[7:8], 3, v[0:1]
	v_cvt_f32_f16_e32 v0, v12
	v_cvt_f32_f16_e32 v12, v9
	v_add_nc_u32_e32 v3, 0x1c00, v2
	v_dual_add_f32 v9, 0, v0 :: v_dual_lshlrev_b32 v14, 2, v17
	v_lshl_add_u32 v0, v13, 2, v248
	v_add_co_u32 v7, vcc_lo, s0, v7
	s_delay_alu instid0(VALU_DEP_3)
	v_sub_nc_u32_e32 v13, v10, v14
	v_add_f32_e32 v10, 0, v12
	ds_load_2addr_b32 v[3:4], v3 offset0:112 offset1:144
	ds_load_2addr_b32 v[11:12], v0 offset1:32
	v_add_co_ci_u32_e32 v8, vcc_lo, s1, v8, vcc_lo
	s_clause 0x1
	global_store_b64 v[7:8], v[5:6], off
	global_store_b64 v15, v[9:10], s[0:1] offset:256
	s_waitcnt lgkmcnt(1)
	v_lshrrev_b32_e32 v14, 16, v3
	v_cvt_f32_f16_e32 v3, v3
	v_add_nc_u32_e32 v0, 0x110, v13
	v_cvt_f32_f16_e32 v9, v4
	s_delay_alu instid0(VALU_DEP_4) | instskip(NEXT) | instid1(VALU_DEP_4)
	v_cvt_f32_f16_e32 v13, v14
	v_add_f32_e32 v7, 0, v3
	s_delay_alu instid0(VALU_DEP_4) | instskip(SKIP_1) | instid1(VALU_DEP_4)
	v_lshlrev_b64 v[5:6], 3, v[0:1]
	v_lshrrev_b32_e32 v0, 16, v4
	v_add_f32_e32 v8, 0, v13
	s_delay_alu instid0(VALU_DEP_3) | instskip(NEXT) | instid1(VALU_DEP_4)
	v_add_co_u32 v5, vcc_lo, s0, v5
	v_add_co_ci_u32_e32 v6, vcc_lo, s1, v6, vcc_lo
	s_delay_alu instid0(VALU_DEP_4)
	v_cvt_f32_f16_e32 v0, v0
	v_add_nc_u32_e32 v3, 0x2400, v2
	global_store_b64 v[5:6], v[7:8], off
	s_waitcnt lgkmcnt(0)
	v_lshrrev_b32_e32 v7, 16, v11
	v_add_f32_e32 v6, 0, v0
	v_cvt_f32_f16_e32 v0, v11
	v_lshlrev_b32_e32 v10, 6, v17
	scratch_load_b32 v17, off, off offset:1600 ; 4-byte Folded Reload
	ds_load_2addr_b32 v[3:4], v3 offset0:144 offset1:176
	v_cvt_f32_f16_e32 v8, v7
	v_add_f32_e32 v7, 0, v0
	v_add_f32_e32 v5, 0, v9
	v_add_lshl_u32 v13, v148, v10, 3
	v_lshlrev_b32_e32 v9, 6, v16
	v_lshrrev_b32_e32 v10, 16, v12
	v_cvt_f32_f16_e32 v11, v12
	v_add_nc_u32_e32 v12, 0x2800, v2
	v_add_f32_e32 v8, 0, v8
	v_add_lshl_u32 v14, v148, v9, 3
	v_cvt_f32_f16_e32 v0, v10
	v_add_f32_e32 v9, 0, v11
	s_delay_alu instid0(VALU_DEP_2) | instskip(SKIP_3) | instid1(VALU_DEP_2)
	v_dual_add_f32 v10, 0, v0 :: v_dual_add_nc_u32 v15, 0x990, v22
	s_waitcnt lgkmcnt(0)
	v_lshrrev_b32_e32 v16, 16, v3
	v_cvt_f32_f16_e32 v3, v3
	v_cvt_f32_f16_e32 v16, v16
	s_waitcnt vmcnt(0)
	v_lshlrev_b32_e32 v11, 2, v17
	s_delay_alu instid0(VALU_DEP_1)
	v_sub_nc_u32_e32 v0, v15, v11
	ds_load_2addr_b32 v[11:12], v12 offset0:160 offset1:192
	s_clause 0x1
	global_store_b64 v13, v[5:6], s[0:1] offset:256
	global_store_b64 v14, v[7:8], s[0:1]
	v_add_f32_e32 v8, 0, v16
	s_clause 0x1
	scratch_load_b32 v13, off, off offset:1596
	scratch_load_b32 v18, off, off offset:1588
	v_lshlrev_b64 v[5:6], 3, v[0:1]
	v_lshrrev_b32_e32 v0, 16, v4
	global_store_b64 v14, v[9:10], s[0:1] offset:256
	v_add_f32_e32 v7, 0, v3
	v_cvt_f32_f16_e32 v3, v4
	v_cvt_f32_f16_e32 v0, v0
	v_lshlrev_b32_e32 v9, 6, v17
	scratch_load_b32 v17, off, off offset:1584 ; 4-byte Folded Reload
	v_add_co_u32 v5, vcc_lo, s0, v5
	v_add_co_ci_u32_e32 v6, vcc_lo, s1, v6, vcc_lo
	v_dual_add_f32 v3, 0, v3 :: v_dual_add_f32 v4, 0, v0
	s_waitcnt lgkmcnt(0)
	v_lshrrev_b32_e32 v0, 16, v11
	s_waitcnt vmcnt(2)
	v_lshlrev_b32_e32 v10, 2, v13
	global_store_b64 v[5:6], v[7:8], off
	v_add_nc_u32_e32 v6, 0x2c00, v2
	v_add_lshl_u32 v7, v148, v9, 3
	v_cvt_f32_f16_e32 v8, v11
	v_sub_nc_u32_e32 v5, v15, v10
	v_cvt_f32_f16_e32 v9, v0
	global_store_b64 v7, v[3:4], s[0:1] offset:256
	v_dual_add_f32 v3, 0, v8 :: v_dual_add_nc_u32 v0, 0x110, v5
	ds_load_2addr_b32 v[5:6], v6 offset0:176 offset1:208
	s_waitcnt vmcnt(0)
	v_and_or_b32 v10, 0x7f0, v17, v21
	v_add_f32_e32 v4, 0, v9
	v_lshrrev_b32_e32 v9, 16, v12
	v_lshlrev_b64 v[7:8], 3, v[0:1]
	v_cvt_f32_f16_e32 v0, v12
	v_mul_u32_u24_e32 v10, 0x44, v10
	s_delay_alu instid0(VALU_DEP_4)
	v_cvt_f32_f16_e32 v12, v9
	v_lshlrev_b32_e32 v11, 6, v13
	v_add_co_u32 v7, vcc_lo, s0, v7
	v_add_co_ci_u32_e32 v8, vcc_lo, s1, v8, vcc_lo
	v_lshl_add_u32 v14, v10, 2, v248
	v_add_f32_e32 v10, 0, v12
	v_dual_add_f32 v9, 0, v0 :: v_dual_lshlrev_b32 v0, 2, v18
	v_add_lshl_u32 v16, v148, v11, 3
	ds_load_2addr_b32 v[11:12], v14 offset1:32
	s_waitcnt lgkmcnt(1)
	v_lshrrev_b32_e32 v15, 16, v5
	v_cvt_f32_f16_e32 v5, v5
	s_clause 0x1
	global_store_b64 v[7:8], v[3:4], off
	global_store_b64 v16, v[9:10], s[0:1] offset:256
	v_lshlrev_b32_e32 v10, 6, v18
	scratch_load_b32 v18, off, off offset:1580 ; 4-byte Folded Reload
	v_add_nc_u32_e32 v13, 0xbb0, v22
	v_add_f32_e32 v7, 0, v5
	v_cvt_f32_f16_e32 v14, v15
	v_cvt_f32_f16_e32 v9, v6
	v_add_lshl_u32 v15, v148, v10, 3
	v_sub_nc_u32_e32 v0, v13, v0
	s_delay_alu instid0(VALU_DEP_4) | instskip(NEXT) | instid1(VALU_DEP_2)
	v_add_f32_e32 v8, 0, v14
	v_lshlrev_b64 v[3:4], 3, v[0:1]
	v_lshrrev_b32_e32 v0, 16, v6
	s_delay_alu instid0(VALU_DEP_2) | instskip(NEXT) | instid1(VALU_DEP_3)
	v_add_co_u32 v3, vcc_lo, s0, v3
	v_add_co_ci_u32_e32 v4, vcc_lo, s1, v4, vcc_lo
	s_delay_alu instid0(VALU_DEP_3)
	v_cvt_f32_f16_e32 v0, v0
	global_store_b64 v[3:4], v[7:8], off
	s_waitcnt lgkmcnt(0)
	v_lshrrev_b32_e32 v7, 16, v11
	v_add_f32_e32 v3, 0, v9
	v_cvt_f32_f16_e32 v8, v11
	v_add_f32_e32 v4, 0, v0
	v_lshlrev_b32_e32 v0, 6, v17
	v_cvt_f32_f16_e32 v9, v7
	v_add_nc_u32_e32 v5, 0x3400, v2
	v_add_f32_e32 v7, 0, v8
	v_lshrrev_b32_e32 v11, 16, v12
	v_add_lshl_u32 v16, v148, v0, 3
	v_add_f32_e32 v8, 0, v9
	ds_load_2addr_b32 v[5:6], v5 offset0:208 offset1:240
	v_cvt_f32_f16_e32 v12, v12
	s_waitcnt vmcnt(0)
	v_lshlrev_b32_e32 v10, 2, v18
	s_delay_alu instid0(VALU_DEP_1)
	v_sub_nc_u32_e32 v0, v13, v10
	s_waitcnt lgkmcnt(0)
	v_lshrrev_b32_e32 v13, 16, v5
	v_cvt_f32_f16_e32 v10, v11
	v_add_f32_e32 v9, 0, v12
	v_cvt_f32_f16_e32 v5, v5
	v_add_nc_u32_e32 v0, 0x220, v0
	v_cvt_f32_f16_e32 v17, v13
	v_add_nc_u32_e32 v11, 0x3a00, v2
	v_add_f32_e32 v10, 0, v10
	ds_load_2addr_b32 v[11:12], v11 offset0:96 offset1:128
	s_clause 0x1
	global_store_b64 v15, v[3:4], s[0:1] offset:256
	global_store_b64 v16, v[7:8], s[0:1]
	v_add_f32_e32 v4, 0, v17
	global_store_b64 v16, v[9:10], s[0:1] offset:256
	s_clause 0x1
	scratch_load_b32 v9, off, off offset:1576
	scratch_load_b32 v17, off, off offset:1572
	v_add_f32_e32 v3, 0, v5
	v_lshlrev_b64 v[13:14], 3, v[0:1]
	v_lshrrev_b32_e32 v0, 16, v6
	v_cvt_f32_f16_e32 v5, v6
	s_delay_alu instid0(VALU_DEP_3) | instskip(NEXT) | instid1(VALU_DEP_4)
	v_add_co_u32 v7, vcc_lo, s0, v13
	v_add_co_ci_u32_e32 v8, vcc_lo, s1, v14, vcc_lo
	s_delay_alu instid0(VALU_DEP_4)
	v_cvt_f32_f16_e32 v0, v0
	v_lshlrev_b32_e32 v6, 6, v18
	global_store_b64 v[7:8], v[3:4], off
	v_dual_add_f32 v2, 0, v5 :: v_dual_add_nc_u32 v3, 0x3e00, v2
	s_waitcnt lgkmcnt(0)
	v_lshrrev_b32_e32 v7, 16, v11
	ds_load_2addr_b32 v[4:5], v3 offset0:112 offset1:144
	v_add_f32_e32 v3, 0, v0
	v_add_lshl_u32 v14, v148, v6, 3
	v_cvt_f32_f16_e32 v6, v11
	v_lshrrev_b32_e32 v11, 16, v12
	v_cvt_f32_f16_e32 v7, v7
	v_add_nc_u32_e32 v10, 0xee0, v22
	s_delay_alu instid0(VALU_DEP_4) | instskip(NEXT) | instid1(VALU_DEP_4)
	v_add_f32_e32 v6, 0, v6
	v_cvt_f32_f16_e32 v11, v11
	s_delay_alu instid0(VALU_DEP_4) | instskip(NEXT) | instid1(VALU_DEP_2)
	v_add_f32_e32 v7, 0, v7
	v_add_f32_e32 v11, 0, v11
	s_waitcnt lgkmcnt(0)
	v_lshrrev_b32_e32 v15, 16, v4
	v_cvt_f32_f16_e32 v4, v4
	s_waitcnt vmcnt(1)
	v_lshlrev_b32_e32 v8, 2, v9
	v_lshlrev_b32_e32 v13, 6, v9
	s_delay_alu instid0(VALU_DEP_2) | instskip(NEXT) | instid1(VALU_DEP_2)
	v_sub_nc_u32_e32 v0, v10, v8
	v_add_lshl_u32 v16, v148, v13, 3
	v_cvt_f32_f16_e32 v13, v15
	s_waitcnt vmcnt(0)
	v_lshlrev_b32_e32 v15, 6, v17
	v_lshlrev_b64 v[8:9], 3, v[0:1]
	v_cvt_f32_f16_e32 v0, v12
	v_lshlrev_b32_e32 v12, 2, v17
	v_lshrrev_b32_e32 v17, 16, v5
	v_add_f32_e32 v13, 0, v13
	v_add_lshl_u32 v15, v148, v15, 3
	v_add_co_u32 v8, vcc_lo, s0, v8
	v_sub_nc_u32_e32 v12, v10, v12
	v_add_f32_e32 v10, 0, v0
	v_add_co_ci_u32_e32 v9, vcc_lo, s1, v9, vcc_lo
	s_delay_alu instid0(VALU_DEP_3) | instskip(SKIP_3) | instid1(VALU_DEP_4)
	v_add_nc_u32_e32 v0, 0x110, v12
	v_add_f32_e32 v12, 0, v4
	v_cvt_f32_f16_e32 v4, v5
	v_cvt_f32_f16_e32 v5, v17
	v_lshlrev_b64 v[0:1], 3, v[0:1]
	s_delay_alu instid0(VALU_DEP_2) | instskip(NEXT) | instid1(VALU_DEP_2)
	v_dual_add_f32 v4, 0, v4 :: v_dual_add_f32 v5, 0, v5
	v_add_co_u32 v0, vcc_lo, s0, v0
	s_delay_alu instid0(VALU_DEP_3)
	v_add_co_ci_u32_e32 v1, vcc_lo, s1, v1, vcc_lo
	s_clause 0x4
	global_store_b64 v14, v[2:3], s[0:1] offset:256
	global_store_b64 v[8:9], v[6:7], off
	global_store_b64 v16, v[10:11], s[0:1] offset:256
	global_store_b64 v[0:1], v[12:13], off
	global_store_b64 v15, v[4:5], s[0:1] offset:256
	s_nop 0
	s_sendmsg sendmsg(MSG_DEALLOC_VGPRS)
	s_endpgm
	.section	.rodata,"a",@progbits
	.p2align	6, 0x0
	.amdhsa_kernel _ZL18flash_attn_ext_f16ILi128ELi128ELi16ELi4ELb1ELb0EEvPKcS1_S1_S1_S1_PKiPfP15HIP_vector_typeIfLj2EEffffjfiS5_IjLj3EEiiiiiiiiiiiliiliiiiil
		.amdhsa_group_segment_fixed_size 0
		.amdhsa_private_segment_fixed_size 1672
		.amdhsa_kernarg_size 464
		.amdhsa_user_sgpr_count 15
		.amdhsa_user_sgpr_dispatch_ptr 0
		.amdhsa_user_sgpr_queue_ptr 0
		.amdhsa_user_sgpr_kernarg_segment_ptr 1
		.amdhsa_user_sgpr_dispatch_id 0
		.amdhsa_user_sgpr_private_segment_size 0
		.amdhsa_wavefront_size32 1
		.amdhsa_uses_dynamic_stack 0
		.amdhsa_enable_private_segment 1
		.amdhsa_system_sgpr_workgroup_id_x 1
		.amdhsa_system_sgpr_workgroup_id_y 0
		.amdhsa_system_sgpr_workgroup_id_z 0
		.amdhsa_system_sgpr_workgroup_info 0
		.amdhsa_system_vgpr_workitem_id 1
		.amdhsa_next_free_vgpr 256
		.amdhsa_next_free_sgpr 105
		.amdhsa_reserve_vcc 1
		.amdhsa_float_round_mode_32 0
		.amdhsa_float_round_mode_16_64 0
		.amdhsa_float_denorm_mode_32 3
		.amdhsa_float_denorm_mode_16_64 3
		.amdhsa_dx10_clamp 1
		.amdhsa_ieee_mode 1
		.amdhsa_fp16_overflow 0
		.amdhsa_workgroup_processor_mode 1
		.amdhsa_memory_ordered 1
		.amdhsa_forward_progress 0
		.amdhsa_shared_vgpr_count 0
		.amdhsa_exception_fp_ieee_invalid_op 0
		.amdhsa_exception_fp_denorm_src 0
		.amdhsa_exception_fp_ieee_div_zero 0
		.amdhsa_exception_fp_ieee_overflow 0
		.amdhsa_exception_fp_ieee_underflow 0
		.amdhsa_exception_fp_ieee_inexact 0
		.amdhsa_exception_int_div_zero 0
	.end_amdhsa_kernel
	.section	.text._ZL18flash_attn_ext_f16ILi128ELi128ELi16ELi4ELb1ELb0EEvPKcS1_S1_S1_S1_PKiPfP15HIP_vector_typeIfLj2EEffffjfiS5_IjLj3EEiiiiiiiiiiiliiliiiiil,"axG",@progbits,_ZL18flash_attn_ext_f16ILi128ELi128ELi16ELi4ELb1ELb0EEvPKcS1_S1_S1_S1_PKiPfP15HIP_vector_typeIfLj2EEffffjfiS5_IjLj3EEiiiiiiiiiiiliiliiiiil,comdat
.Lfunc_end25:
	.size	_ZL18flash_attn_ext_f16ILi128ELi128ELi16ELi4ELb1ELb0EEvPKcS1_S1_S1_S1_PKiPfP15HIP_vector_typeIfLj2EEffffjfiS5_IjLj3EEiiiiiiiiiiiliiliiiiil, .Lfunc_end25-_ZL18flash_attn_ext_f16ILi128ELi128ELi16ELi4ELb1ELb0EEvPKcS1_S1_S1_S1_PKiPfP15HIP_vector_typeIfLj2EEffffjfiS5_IjLj3EEiiiiiiiiiiiliiliiiiil
                                        ; -- End function
	.section	.AMDGPU.csdata,"",@progbits
; Kernel info:
; codeLenInByte = 193744
; NumSgprs: 107
; NumVgprs: 256
; ScratchSize: 1672
; MemoryBound: 0
; FloatMode: 240
; IeeeMode: 1
; LDSByteSize: 0 bytes/workgroup (compile time only)
; SGPRBlocks: 13
; VGPRBlocks: 31
; NumSGPRsForWavesPerEU: 107
; NumVGPRsForWavesPerEU: 256
; Occupancy: 5
; WaveLimiterHint : 1
; COMPUTE_PGM_RSRC2:SCRATCH_EN: 1
; COMPUTE_PGM_RSRC2:USER_SGPR: 15
; COMPUTE_PGM_RSRC2:TRAP_HANDLER: 0
; COMPUTE_PGM_RSRC2:TGID_X_EN: 1
; COMPUTE_PGM_RSRC2:TGID_Y_EN: 0
; COMPUTE_PGM_RSRC2:TGID_Z_EN: 0
; COMPUTE_PGM_RSRC2:TIDIG_COMP_CNT: 1
	.section	.text._ZL33flash_attn_stream_k_fixup_uniformILi128ELi16ELi4EEvPfPK15HIP_vector_typeIfLj2EEiiiiiiS1_IjLj3EES5_S5_,"axG",@progbits,_ZL33flash_attn_stream_k_fixup_uniformILi128ELi16ELi4EEvPfPK15HIP_vector_typeIfLj2EEiiiiiiS1_IjLj3EES5_S5_,comdat
	.globl	_ZL33flash_attn_stream_k_fixup_uniformILi128ELi16ELi4EEvPfPK15HIP_vector_typeIfLj2EEiiiiiiS1_IjLj3EES5_S5_ ; -- Begin function _ZL33flash_attn_stream_k_fixup_uniformILi128ELi16ELi4EEvPfPK15HIP_vector_typeIfLj2EEiiiiiiS1_IjLj3EES5_S5_
	.p2align	8
	.type	_ZL33flash_attn_stream_k_fixup_uniformILi128ELi16ELi4EEvPfPK15HIP_vector_typeIfLj2EEiiiiiiS1_IjLj3EES5_S5_,@function
_ZL33flash_attn_stream_k_fixup_uniformILi128ELi16ELi4EEvPfPK15HIP_vector_typeIfLj2EEiiiiiiS1_IjLj3EES5_S5_: ; @_ZL33flash_attn_stream_k_fixup_uniformILi128ELi16ELi4EEvPfPK15HIP_vector_typeIfLj2EEiiiiiiS1_IjLj3EES5_S5_
; %bb.0:
	s_clause 0x1
	s_load_b256 s[4:11], s[0:1], 0x1c
	s_load_b128 s[16:19], s[0:1], 0x3c
	s_waitcnt lgkmcnt(0)
	s_mul_hi_u32 s2, s7, s13
	s_delay_alu instid0(SALU_CYCLE_1) | instskip(NEXT) | instid1(SALU_CYCLE_1)
	s_add_i32 s2, s13, s2
	s_lshr_b32 s2, s2, s8
	s_delay_alu instid0(SALU_CYCLE_1) | instskip(SKIP_2) | instid1(SALU_CYCLE_1)
	s_mul_i32 s3, s2, s9
	s_load_b64 s[8:9], s[0:1], 0x10
	s_sub_i32 s7, s13, s3
	s_mul_hi_u32 s3, s7, s10
	s_delay_alu instid0(SALU_CYCLE_1) | instskip(NEXT) | instid1(SALU_CYCLE_1)
	s_add_i32 s3, s7, s3
	s_lshr_b32 s3, s3, s11
	s_delay_alu instid0(SALU_CYCLE_1) | instskip(NEXT) | instid1(SALU_CYCLE_1)
	s_mul_i32 s10, s3, s16
	s_sub_i32 s7, s7, s10
	s_delay_alu instid0(SALU_CYCLE_1) | instskip(NEXT) | instid1(SALU_CYCLE_1)
	s_mul_hi_u32 s10, s7, s17
	s_add_i32 s10, s7, s10
	s_delay_alu instid0(SALU_CYCLE_1) | instskip(NEXT) | instid1(SALU_CYCLE_1)
	s_lshr_b32 s10, s10, s18
	s_mul_i32 s11, s10, s19
	s_lshl_b32 s10, s10, 2
	s_sub_i32 s7, s7, s11
	s_delay_alu instid0(SALU_CYCLE_1) | instskip(NEXT) | instid1(SALU_CYCLE_1)
	s_lshl_b32 s11, s7, 4
	s_add_i32 s11, s11, s14
	s_waitcnt lgkmcnt(0)
	s_cmp_lt_i32 s11, s8
	s_cselect_b32 s11, -1, 0
	s_add_i32 s12, s10, s15
	s_delay_alu instid0(SALU_CYCLE_1) | instskip(SKIP_1) | instid1(SALU_CYCLE_1)
	s_cmp_lt_i32 s12, s5
	s_cselect_b32 s12, -1, 0
	s_and_b32 s11, s11, s12
	s_delay_alu instid0(SALU_CYCLE_1)
	s_and_not1_b32 vcc_lo, exec_lo, s11
	s_cbranch_vccnz .LBB26_6
; %bb.1:
	s_mul_i32 s2, s2, s8
	s_mul_i32 s5, s3, s5
	s_add_i32 s2, s2, s14
	s_mul_i32 s7, s9, s7
	s_mul_i32 s2, s2, s9
	s_lshl_b32 s7, s7, 11
	s_add_i32 s8, s2, s15
	s_load_b128 s[0:3], s[0:1], 0x0
	s_add_i32 s5, s8, s5
	s_lshl_b32 s9, s14, 2
	s_add_i32 s5, s5, s10
	s_delay_alu instid0(SALU_CYCLE_1) | instskip(NEXT) | instid1(SALU_CYCLE_1)
	s_lshl_b32 s5, s5, 7
	s_add_i32 s7, s7, s5
	s_mul_i32 s5, s13, s6
	v_or_b32_e32 v1, s7, v0
	s_add_i32 s10, s5, s6
	s_delay_alu instid0(VALU_DEP_1) | instskip(NEXT) | instid1(VALU_DEP_1)
	v_ashrrev_i32_e32 v2, 31, v1
	v_lshlrev_b64 v[1:2], 2, v[1:2]
	s_waitcnt lgkmcnt(0)
	s_delay_alu instid0(VALU_DEP_1) | instskip(NEXT) | instid1(VALU_DEP_2)
	v_add_co_u32 v1, vcc_lo, s0, v1
	v_add_co_ci_u32_e32 v2, vcc_lo, s1, v2, vcc_lo
	s_add_i32 s0, s9, s15
	s_lshl_b32 s1, s10, 6
	s_delay_alu instid0(SALU_CYCLE_1) | instskip(SKIP_2) | instid1(SALU_CYCLE_1)
	s_add_i32 s0, s0, s1
	global_load_b32 v5, v[1:2], off
	s_sub_i32 s0, s0, 64
	s_ashr_i32 s1, s0, 31
	s_delay_alu instid0(SALU_CYCLE_1) | instskip(NEXT) | instid1(SALU_CYCLE_1)
	s_lshl_b64 s[0:1], s[0:1], 3
	s_add_u32 s0, s2, s0
	s_addc_u32 s1, s3, s1
	s_add_i32 s7, s10, -2
	s_load_b32 s11, s[0:1], 0x4
	s_cmp_lt_i32 s7, s5
	s_cbranch_scc1 .LBB26_4
; %bb.2:
	s_lshl_b32 s16, s4, 8
	s_load_b32 s12, s[0:1], 0x0
	s_ashr_i32 s17, s16, 31
	s_delay_alu instid0(SALU_CYCLE_1) | instskip(NEXT) | instid1(SALU_CYCLE_1)
	s_lshl_b64 s[0:1], s[16:17], 2
	s_add_u32 s7, s2, s0
	s_addc_u32 s8, s3, s1
	s_add_i32 s13, s13, 1
	s_lshl_b32 s0, s14, 9
	s_lshl_b32 s1, s15, 7
	s_mul_i32 s6, s6, s13
	s_add_i32 s0, s1, s0
	s_lshl_b32 s1, s6, 13
	s_delay_alu instid0(SALU_CYCLE_1)
	s_add_i32 s0, s0, s1
	s_lshl_b32 s1, s6, 6
	v_or_b32_e32 v0, s0, v0
	s_lshl_b32 s0, s4, 6
	s_add_i32 s1, s15, s1
	s_waitcnt lgkmcnt(0)
	v_mov_b32_e32 v6, s11
	s_add_i32 s0, s1, s0
	v_dual_mov_b32 v0, s12 :: v_dual_add_nc_u32 v3, 0xffffc000, v0
	s_add_i32 s0, s0, s9
	s_add_i32 s4, s10, -1
	s_addk_i32 s0, 0xff80
.LBB26_3:                               ; =>This Inner Loop Header: Depth=1
	s_delay_alu instid0(VALU_DEP_1) | instskip(SKIP_1) | instid1(SALU_CYCLE_1)
	v_ashrrev_i32_e32 v4, 31, v3
	s_ashr_i32 s1, s0, 31
	s_lshl_b64 s[10:11], s[0:1], 3
	s_delay_alu instid0(SALU_CYCLE_1) | instskip(NEXT) | instid1(VALU_DEP_1)
	s_add_u32 s10, s2, s10
	v_lshlrev_b64 v[7:8], 2, v[3:4]
	s_addc_u32 s11, s3, s11
	s_add_i32 s4, s4, -1
	s_sub_i32 s0, s0, 64
	s_cmp_le_i32 s4, s5
	s_load_b64 s[10:11], s[10:11], 0x0
	v_add_co_u32 v7, vcc_lo, s7, v7
	v_add_co_ci_u32_e32 v8, vcc_lo, s8, v8, vcc_lo
	global_load_b32 v4, v[7:8], off
	v_max_f32_e32 v7, v0, v0
	s_waitcnt lgkmcnt(0)
	v_max_f32_e64 v8, s10, s10
	s_delay_alu instid0(VALU_DEP_1) | instskip(NEXT) | instid1(VALU_DEP_1)
	v_max_f32_e32 v7, v7, v8
	v_sub_f32_e32 v8, s10, v7
	s_delay_alu instid0(VALU_DEP_1) | instskip(NEXT) | instid1(VALU_DEP_1)
	v_dual_sub_f32 v0, v0, v7 :: v_dual_mul_f32 v9, 0x3fb8aa3b, v8
	v_fma_f32 v10, 0x3fb8aa3b, v8, -v9
	v_rndne_f32_e32 v11, v9
	s_delay_alu instid0(VALU_DEP_3) | instskip(NEXT) | instid1(VALU_DEP_2)
	v_mul_f32_e32 v12, 0x3fb8aa3b, v0
	v_dual_fmac_f32 v10, 0x32a5705f, v8 :: v_dual_sub_f32 v9, v9, v11
	v_cvt_i32_f32_e32 v11, v11
	s_delay_alu instid0(VALU_DEP_3) | instskip(SKIP_1) | instid1(VALU_DEP_4)
	v_fma_f32 v13, 0x3fb8aa3b, v0, -v12
	v_rndne_f32_e32 v14, v12
	v_add_f32_e32 v9, v9, v10
	v_cmp_ngt_f32_e32 vcc_lo, 0xc2ce8ed0, v8
	s_delay_alu instid0(VALU_DEP_3) | instskip(NEXT) | instid1(VALU_DEP_3)
	v_sub_f32_e32 v10, v12, v14
	v_exp_f32_e32 v9, v9
	s_waitcnt_depctr 0xfff
	v_ldexp_f32 v9, v9, v11
	v_cvt_i32_f32_e32 v11, v14
	s_delay_alu instid0(VALU_DEP_2) | instskip(SKIP_1) | instid1(VALU_DEP_2)
	v_cndmask_b32_e32 v9, 0, v9, vcc_lo
	v_cmp_nlt_f32_e32 vcc_lo, 0x42b17218, v8
	v_cndmask_b32_e32 v9, 0x7f800000, v9, vcc_lo
	v_cmp_ngt_f32_e32 vcc_lo, 0xc2ce8ed0, v0
	v_fmac_f32_e32 v13, 0x32a5705f, v0
	s_delay_alu instid0(VALU_DEP_1) | instskip(NEXT) | instid1(VALU_DEP_1)
	v_add_f32_e32 v10, v10, v13
	v_exp_f32_e32 v10, v10
	s_waitcnt_depctr 0xfff
	v_ldexp_f32 v10, v10, v11
	s_delay_alu instid0(VALU_DEP_1)
	v_dual_mov_b32 v11, v6 :: v_dual_cndmask_b32 v10, 0, v10
	v_cmp_le_f32_e32 vcc_lo, 0xc1a00000, v8
	s_waitcnt vmcnt(1)
	v_dual_cndmask_b32 v8, 0, v9 :: v_dual_mov_b32 v9, v5
	v_cmp_nlt_f32_e32 vcc_lo, 0x42b17218, v0
	v_cndmask_b32_e32 v5, 0x7f800000, v10, vcc_lo
	s_delay_alu instid0(VALU_DEP_3) | instskip(SKIP_2) | instid1(VALU_DEP_3)
	v_mul_f32_e32 v10, s11, v8
	v_cmp_le_f32_e32 vcc_lo, 0xc1a00000, v0
	v_mov_b32_e32 v0, v7
	v_mov_b32_e32 v6, v10
	s_waitcnt vmcnt(0)
	v_dual_cndmask_b32 v12, 0, v5 :: v_dual_mul_f32 v5, v4, v8
	s_delay_alu instid0(VALU_DEP_1) | instskip(NEXT) | instid1(VALU_DEP_2)
	v_dual_fmac_f32 v6, v11, v12 :: v_dual_add_nc_u32 v3, 0xffffe000, v3
	v_fmac_f32_e32 v5, v9, v12
	s_cbranch_scc0 .LBB26_3
	s_branch .LBB26_5
.LBB26_4:
	s_waitcnt lgkmcnt(0)
	v_mov_b32_e32 v6, s11
.LBB26_5:
	s_waitcnt vmcnt(0)
	s_delay_alu instid0(VALU_DEP_1) | instskip(NEXT) | instid1(VALU_DEP_1)
	v_div_scale_f32 v0, null, v6, v6, v5
	v_rcp_f32_e32 v3, v0
	s_waitcnt_depctr 0xfff
	v_fma_f32 v4, -v0, v3, 1.0
	s_delay_alu instid0(VALU_DEP_1) | instskip(SKIP_1) | instid1(VALU_DEP_1)
	v_fmac_f32_e32 v3, v4, v3
	v_div_scale_f32 v4, vcc_lo, v5, v6, v5
	v_mul_f32_e32 v7, v4, v3
	s_delay_alu instid0(VALU_DEP_1) | instskip(NEXT) | instid1(VALU_DEP_1)
	v_fma_f32 v8, -v0, v7, v4
	v_fmac_f32_e32 v7, v8, v3
	s_delay_alu instid0(VALU_DEP_1) | instskip(NEXT) | instid1(VALU_DEP_1)
	v_fma_f32 v0, -v0, v7, v4
	v_div_fmas_f32 v0, v0, v3, v7
	s_delay_alu instid0(VALU_DEP_1)
	v_div_fixup_f32 v0, v0, v6, v5
	global_store_b32 v[1:2], v0, off
.LBB26_6:
	s_nop 0
	s_sendmsg sendmsg(MSG_DEALLOC_VGPRS)
	s_endpgm
	.section	.rodata,"a",@progbits
	.p2align	6, 0x0
	.amdhsa_kernel _ZL33flash_attn_stream_k_fixup_uniformILi128ELi16ELi4EEvPfPK15HIP_vector_typeIfLj2EEiiiiiiS1_IjLj3EES5_S5_
		.amdhsa_group_segment_fixed_size 0
		.amdhsa_private_segment_fixed_size 0
		.amdhsa_kernarg_size 76
		.amdhsa_user_sgpr_count 13
		.amdhsa_user_sgpr_dispatch_ptr 0
		.amdhsa_user_sgpr_queue_ptr 0
		.amdhsa_user_sgpr_kernarg_segment_ptr 1
		.amdhsa_user_sgpr_dispatch_id 0
		.amdhsa_user_sgpr_private_segment_size 0
		.amdhsa_wavefront_size32 1
		.amdhsa_uses_dynamic_stack 0
		.amdhsa_enable_private_segment 0
		.amdhsa_system_sgpr_workgroup_id_x 1
		.amdhsa_system_sgpr_workgroup_id_y 1
		.amdhsa_system_sgpr_workgroup_id_z 1
		.amdhsa_system_sgpr_workgroup_info 0
		.amdhsa_system_vgpr_workitem_id 0
		.amdhsa_next_free_vgpr 15
		.amdhsa_next_free_sgpr 20
		.amdhsa_reserve_vcc 1
		.amdhsa_float_round_mode_32 0
		.amdhsa_float_round_mode_16_64 0
		.amdhsa_float_denorm_mode_32 3
		.amdhsa_float_denorm_mode_16_64 3
		.amdhsa_dx10_clamp 1
		.amdhsa_ieee_mode 1
		.amdhsa_fp16_overflow 0
		.amdhsa_workgroup_processor_mode 1
		.amdhsa_memory_ordered 1
		.amdhsa_forward_progress 0
		.amdhsa_shared_vgpr_count 0
		.amdhsa_exception_fp_ieee_invalid_op 0
		.amdhsa_exception_fp_denorm_src 0
		.amdhsa_exception_fp_ieee_div_zero 0
		.amdhsa_exception_fp_ieee_overflow 0
		.amdhsa_exception_fp_ieee_underflow 0
		.amdhsa_exception_fp_ieee_inexact 0
		.amdhsa_exception_int_div_zero 0
	.end_amdhsa_kernel
	.section	.text._ZL33flash_attn_stream_k_fixup_uniformILi128ELi16ELi4EEvPfPK15HIP_vector_typeIfLj2EEiiiiiiS1_IjLj3EES5_S5_,"axG",@progbits,_ZL33flash_attn_stream_k_fixup_uniformILi128ELi16ELi4EEvPfPK15HIP_vector_typeIfLj2EEiiiiiiS1_IjLj3EES5_S5_,comdat
.Lfunc_end26:
	.size	_ZL33flash_attn_stream_k_fixup_uniformILi128ELi16ELi4EEvPfPK15HIP_vector_typeIfLj2EEiiiiiiS1_IjLj3EES5_S5_, .Lfunc_end26-_ZL33flash_attn_stream_k_fixup_uniformILi128ELi16ELi4EEvPfPK15HIP_vector_typeIfLj2EEiiiiiiS1_IjLj3EES5_S5_
                                        ; -- End function
	.section	.AMDGPU.csdata,"",@progbits
; Kernel info:
; codeLenInByte = 996
; NumSgprs: 22
; NumVgprs: 15
; ScratchSize: 0
; MemoryBound: 0
; FloatMode: 240
; IeeeMode: 1
; LDSByteSize: 0 bytes/workgroup (compile time only)
; SGPRBlocks: 2
; VGPRBlocks: 1
; NumSGPRsForWavesPerEU: 22
; NumVGPRsForWavesPerEU: 15
; Occupancy: 16
; WaveLimiterHint : 0
; COMPUTE_PGM_RSRC2:SCRATCH_EN: 0
; COMPUTE_PGM_RSRC2:USER_SGPR: 13
; COMPUTE_PGM_RSRC2:TRAP_HANDLER: 0
; COMPUTE_PGM_RSRC2:TGID_X_EN: 1
; COMPUTE_PGM_RSRC2:TGID_Y_EN: 1
; COMPUTE_PGM_RSRC2:TGID_Z_EN: 1
; COMPUTE_PGM_RSRC2:TIDIG_COMP_CNT: 0
	.section	.text._ZL33flash_attn_stream_k_fixup_generalILi128ELi16ELi4EEvPfPK15HIP_vector_typeIfLj2EEiiiiS1_IjLj3EES5_S5_S5_,"axG",@progbits,_ZL33flash_attn_stream_k_fixup_generalILi128ELi16ELi4EEvPfPK15HIP_vector_typeIfLj2EEiiiiS1_IjLj3EES5_S5_S5_,comdat
	.globl	_ZL33flash_attn_stream_k_fixup_generalILi128ELi16ELi4EEvPfPK15HIP_vector_typeIfLj2EEiiiiS1_IjLj3EES5_S5_S5_ ; -- Begin function _ZL33flash_attn_stream_k_fixup_generalILi128ELi16ELi4EEvPfPK15HIP_vector_typeIfLj2EEiiiiS1_IjLj3EES5_S5_S5_
	.p2align	8
	.type	_ZL33flash_attn_stream_k_fixup_generalILi128ELi16ELi4EEvPfPK15HIP_vector_typeIfLj2EEiiiiS1_IjLj3EES5_S5_S5_,@function
_ZL33flash_attn_stream_k_fixup_generalILi128ELi16ELi4EEvPfPK15HIP_vector_typeIfLj2EEiiiiS1_IjLj3EES5_S5_S5_: ; @_ZL33flash_attn_stream_k_fixup_generalILi128ELi16ELi4EEvPfPK15HIP_vector_typeIfLj2EEiiiiS1_IjLj3EES5_S5_S5_
; %bb.0:
	s_clause 0x1
	s_load_b128 s[4:7], s[0:1], 0x10
	s_load_b32 s20, s[0:1], 0x50
	s_mov_b32 s2, 0
	s_waitcnt lgkmcnt(0)
	s_mul_hi_i32 s3, s7, s13
	s_mul_i32 s12, s7, s13
	s_cmp_lg_u64 s[2:3], 0
	s_cbranch_scc0 .LBB27_21
; %bb.1:
	v_cvt_f32_ubyte0_e32 v1, 0
	v_cvt_f32_u32_e32 v2, s20
	s_sub_u32 s10, 0, s20
	s_subb_u32 s11, 0, 0
	s_delay_alu instid0(VALU_DEP_1) | instskip(NEXT) | instid1(VALU_DEP_1)
	v_fmamk_f32 v1, v1, 0x4f800000, v2
	v_rcp_f32_e32 v1, v1
	s_waitcnt_depctr 0xfff
	v_mul_f32_e32 v1, 0x5f7ffffc, v1
	s_delay_alu instid0(VALU_DEP_1) | instskip(NEXT) | instid1(VALU_DEP_1)
	v_mul_f32_e32 v2, 0x2f800000, v1
	v_trunc_f32_e32 v2, v2
	s_delay_alu instid0(VALU_DEP_1) | instskip(SKIP_1) | instid1(VALU_DEP_2)
	v_fmamk_f32 v1, v2, 0xcf800000, v1
	v_cvt_u32_f32_e32 v2, v2
	v_cvt_u32_f32_e32 v1, v1
	s_delay_alu instid0(VALU_DEP_2) | instskip(NEXT) | instid1(VALU_DEP_2)
	v_readfirstlane_b32 s8, v2
	v_readfirstlane_b32 s9, v1
	s_delay_alu instid0(VALU_DEP_2) | instskip(NEXT) | instid1(VALU_DEP_1)
	s_mul_i32 s16, s10, s8
	s_mul_hi_u32 s18, s10, s9
	s_mul_i32 s17, s11, s9
	s_add_i32 s16, s18, s16
	s_mul_i32 s19, s10, s9
	s_add_i32 s16, s16, s17
	s_mul_hi_u32 s18, s9, s19
	s_mul_hi_u32 s21, s8, s19
	s_mul_i32 s17, s8, s19
	s_mul_hi_u32 s19, s9, s16
	s_mul_i32 s9, s9, s16
	s_mul_hi_u32 s22, s8, s16
	s_add_u32 s9, s18, s9
	s_addc_u32 s18, 0, s19
	s_add_u32 s9, s9, s17
	s_mul_i32 s16, s8, s16
	s_addc_u32 s9, s18, s21
	s_addc_u32 s17, s22, 0
	s_add_u32 s9, s9, s16
	s_addc_u32 s16, 0, s17
	v_add_co_u32 v1, s9, v1, s9
	s_delay_alu instid0(VALU_DEP_1) | instskip(SKIP_1) | instid1(VALU_DEP_1)
	s_cmp_lg_u32 s9, 0
	s_addc_u32 s8, s8, s16
	v_readfirstlane_b32 s9, v1
	s_mul_i32 s16, s10, s8
	s_delay_alu instid0(VALU_DEP_1)
	s_mul_hi_u32 s17, s10, s9
	s_mul_i32 s11, s11, s9
	s_add_i32 s16, s17, s16
	s_mul_i32 s10, s10, s9
	s_add_i32 s16, s16, s11
	s_mul_hi_u32 s17, s8, s10
	s_mul_i32 s18, s8, s10
	s_mul_hi_u32 s10, s9, s10
	s_mul_hi_u32 s19, s9, s16
	s_mul_i32 s9, s9, s16
	s_mul_hi_u32 s11, s8, s16
	s_add_u32 s9, s10, s9
	s_addc_u32 s10, 0, s19
	s_add_u32 s9, s9, s18
	s_mul_i32 s16, s8, s16
	s_addc_u32 s9, s10, s17
	s_addc_u32 s10, s11, 0
	s_add_u32 s9, s9, s16
	s_addc_u32 s10, 0, s10
	v_add_co_u32 v1, s9, v1, s9
	s_delay_alu instid0(VALU_DEP_1) | instskip(SKIP_2) | instid1(SALU_CYCLE_1)
	s_cmp_lg_u32 s9, 0
	s_addc_u32 s16, s8, s10
	s_ashr_i32 s8, s3, 31
	s_add_u32 s10, s12, s8
	s_addc_u32 s11, s3, s8
	v_readfirstlane_b32 s3, v1
	s_mov_b32 s9, s8
	s_delay_alu instid0(SALU_CYCLE_1) | instskip(NEXT) | instid1(SALU_CYCLE_1)
	s_xor_b64 s[10:11], s[10:11], s[8:9]
	s_mul_i32 s18, s10, s16
	s_delay_alu instid0(VALU_DEP_1)
	s_mul_hi_u32 s19, s10, s3
	s_mul_hi_u32 s17, s10, s16
	;; [unrolled: 1-line block ×3, first 2 shown]
	s_mul_i32 s3, s11, s3
	s_add_u32 s18, s19, s18
	s_addc_u32 s17, 0, s17
	s_mul_hi_u32 s21, s11, s16
	s_add_u32 s3, s18, s3
	s_mul_i32 s16, s11, s16
	s_addc_u32 s3, s17, s22
	s_addc_u32 s17, s21, 0
	s_add_u32 s3, s3, s16
	s_addc_u32 s16, 0, s17
	s_mul_i32 s18, s20, s3
	s_add_u32 s17, s3, 1
	v_sub_co_u32 v1, s10, s10, s18
	s_mul_hi_u32 s18, s20, s3
	s_addc_u32 s19, s16, 0
	s_mul_i32 s21, s20, s16
	s_delay_alu instid0(VALU_DEP_1)
	v_sub_co_u32 v2, s22, v1, s20
	s_add_u32 s23, s3, 2
	s_addc_u32 s24, s16, 0
	s_add_i32 s18, s18, s21
	s_cmp_lg_u32 s10, 0
	v_readfirstlane_b32 s10, v2
	s_subb_u32 s11, s11, s18
	s_cmp_lg_u32 s22, 0
	s_subb_u32 s18, s11, 0
	s_delay_alu instid0(VALU_DEP_1) | instskip(SKIP_4) | instid1(SALU_CYCLE_1)
	s_cmp_ge_u32 s10, s20
	s_cselect_b32 s10, -1, 0
	s_cmp_eq_u32 s18, 0
	v_readfirstlane_b32 s18, v1
	s_cselect_b32 s10, s10, -1
	s_cmp_lg_u32 s10, 0
	s_cselect_b32 s10, s23, s17
	s_cselect_b32 s17, s24, s19
	s_cmp_ge_u32 s18, s20
	s_cselect_b32 s18, -1, 0
	s_cmp_eq_u32 s11, 0
	s_cselect_b32 s11, s18, -1
	s_delay_alu instid0(SALU_CYCLE_1) | instskip(SKIP_2) | instid1(SALU_CYCLE_1)
	s_cmp_lg_u32 s11, 0
	s_cselect_b32 s11, s17, s16
	s_cselect_b32 s10, s10, s3
	s_xor_b64 s[10:11], s[10:11], s[8:9]
	s_delay_alu instid0(SALU_CYCLE_1)
	s_sub_u32 s16, s10, s8
	s_load_b128 s[8:11], s[0:1], 0x44
	s_and_not1_b32 vcc_lo, exec_lo, s2
	s_cbranch_vccnz .LBB27_3
.LBB27_2:
	v_cvt_f32_u32_e32 v1, s20
	s_sub_i32 s3, 0, s20
	s_delay_alu instid0(VALU_DEP_1) | instskip(SKIP_2) | instid1(VALU_DEP_1)
	v_rcp_iflag_f32_e32 v1, v1
	s_waitcnt_depctr 0xfff
	v_mul_f32_e32 v1, 0x4f7ffffe, v1
	v_cvt_u32_f32_e32 v1, v1
	s_delay_alu instid0(VALU_DEP_1) | instskip(NEXT) | instid1(VALU_DEP_1)
	v_readfirstlane_b32 s2, v1
	s_mul_i32 s3, s3, s2
	s_delay_alu instid0(SALU_CYCLE_1) | instskip(NEXT) | instid1(SALU_CYCLE_1)
	s_mul_hi_u32 s3, s2, s3
	s_add_i32 s2, s2, s3
	s_delay_alu instid0(SALU_CYCLE_1) | instskip(NEXT) | instid1(SALU_CYCLE_1)
	s_mul_hi_u32 s2, s12, s2
	s_mul_i32 s3, s2, s20
	s_waitcnt lgkmcnt(0)
	s_add_i32 s11, s2, 1
	s_sub_i32 s3, s12, s3
	s_delay_alu instid0(SALU_CYCLE_1)
	s_sub_i32 s12, s3, s20
	s_cmp_ge_u32 s3, s20
	s_cselect_b32 s2, s11, s2
	s_cselect_b32 s3, s12, s3
	s_add_i32 s11, s2, 1
	s_cmp_ge_u32 s3, s20
	s_cselect_b32 s16, s11, s2
.LBB27_3:
	s_waitcnt lgkmcnt(0)
	s_add_i32 s11, s13, 1
	s_mov_b32 s2, 0
	s_mul_hi_i32 s3, s7, s11
	s_mul_i32 s11, s7, s11
	s_cmp_lg_u64 s[2:3], 0
	s_cbranch_scc0 .LBB27_22
; %bb.4:
	v_cvt_f32_ubyte0_e32 v1, 0
	v_cvt_f32_u32_e32 v2, s20
	s_sub_u32 s18, 0, s20
	s_subb_u32 s19, 0, 0
	s_delay_alu instid0(VALU_DEP_1) | instskip(NEXT) | instid1(VALU_DEP_1)
	v_fmamk_f32 v1, v1, 0x4f800000, v2
	v_rcp_f32_e32 v1, v1
	s_waitcnt_depctr 0xfff
	v_mul_f32_e32 v1, 0x5f7ffffc, v1
	s_delay_alu instid0(VALU_DEP_1) | instskip(NEXT) | instid1(VALU_DEP_1)
	v_mul_f32_e32 v2, 0x2f800000, v1
	v_trunc_f32_e32 v2, v2
	s_delay_alu instid0(VALU_DEP_1) | instskip(SKIP_1) | instid1(VALU_DEP_2)
	v_fmamk_f32 v1, v2, 0xcf800000, v1
	v_cvt_u32_f32_e32 v2, v2
	v_cvt_u32_f32_e32 v1, v1
	s_delay_alu instid0(VALU_DEP_2) | instskip(NEXT) | instid1(VALU_DEP_2)
	v_readfirstlane_b32 s12, v2
	v_readfirstlane_b32 s17, v1
	s_delay_alu instid0(VALU_DEP_2) | instskip(NEXT) | instid1(VALU_DEP_1)
	s_mul_i32 s21, s18, s12
	s_mul_hi_u32 s23, s18, s17
	s_mul_i32 s22, s19, s17
	s_add_i32 s21, s23, s21
	s_mul_i32 s24, s18, s17
	s_add_i32 s21, s21, s22
	s_mul_hi_u32 s23, s17, s24
	s_mul_hi_u32 s25, s12, s24
	s_mul_i32 s22, s12, s24
	s_mul_hi_u32 s24, s17, s21
	s_mul_i32 s17, s17, s21
	s_mul_hi_u32 s26, s12, s21
	s_add_u32 s17, s23, s17
	s_addc_u32 s23, 0, s24
	s_add_u32 s17, s17, s22
	s_mul_i32 s21, s12, s21
	s_addc_u32 s17, s23, s25
	s_addc_u32 s22, s26, 0
	s_add_u32 s17, s17, s21
	s_addc_u32 s21, 0, s22
	v_add_co_u32 v1, s17, v1, s17
	s_delay_alu instid0(VALU_DEP_1) | instskip(SKIP_1) | instid1(VALU_DEP_1)
	s_cmp_lg_u32 s17, 0
	s_addc_u32 s12, s12, s21
	v_readfirstlane_b32 s17, v1
	s_mul_i32 s21, s18, s12
	s_delay_alu instid0(VALU_DEP_1)
	s_mul_hi_u32 s22, s18, s17
	s_mul_i32 s19, s19, s17
	s_add_i32 s21, s22, s21
	s_mul_i32 s18, s18, s17
	s_add_i32 s21, s21, s19
	s_mul_hi_u32 s22, s12, s18
	s_mul_i32 s23, s12, s18
	s_mul_hi_u32 s18, s17, s18
	s_mul_hi_u32 s24, s17, s21
	s_mul_i32 s17, s17, s21
	s_mul_hi_u32 s19, s12, s21
	s_add_u32 s17, s18, s17
	s_addc_u32 s18, 0, s24
	s_add_u32 s17, s17, s23
	s_mul_i32 s21, s12, s21
	s_addc_u32 s17, s18, s22
	s_addc_u32 s18, s19, 0
	s_add_u32 s17, s17, s21
	s_addc_u32 s18, 0, s18
	v_add_co_u32 v1, s17, v1, s17
	s_delay_alu instid0(VALU_DEP_1) | instskip(SKIP_2) | instid1(SALU_CYCLE_1)
	s_cmp_lg_u32 s17, 0
	s_addc_u32 s12, s12, s18
	s_ashr_i32 s18, s3, 31
	s_add_u32 s22, s11, s18
	s_addc_u32 s23, s3, s18
	v_readfirstlane_b32 s3, v1
	s_mov_b32 s19, s18
	s_delay_alu instid0(SALU_CYCLE_1) | instskip(NEXT) | instid1(SALU_CYCLE_1)
	s_xor_b64 s[22:23], s[22:23], s[18:19]
	s_mul_i32 s21, s22, s12
	s_delay_alu instid0(VALU_DEP_1)
	s_mul_hi_u32 s24, s22, s3
	s_mul_hi_u32 s17, s22, s12
	;; [unrolled: 1-line block ×3, first 2 shown]
	s_mul_i32 s3, s23, s3
	s_add_u32 s21, s24, s21
	s_addc_u32 s17, 0, s17
	s_mul_hi_u32 s25, s23, s12
	s_add_u32 s3, s21, s3
	s_mul_i32 s12, s23, s12
	s_addc_u32 s3, s17, s26
	s_addc_u32 s17, s25, 0
	s_add_u32 s3, s3, s12
	s_addc_u32 s12, 0, s17
	s_mul_i32 s21, s20, s3
	s_add_u32 s17, s3, 1
	v_sub_co_u32 v1, s21, s22, s21
	s_mul_hi_u32 s22, s20, s3
	s_addc_u32 s24, s12, 0
	s_mul_i32 s25, s20, s12
	s_delay_alu instid0(VALU_DEP_1)
	v_sub_co_u32 v2, s26, v1, s20
	s_add_u32 s27, s3, 2
	s_addc_u32 s28, s12, 0
	s_add_i32 s22, s22, s25
	s_cmp_lg_u32 s21, 0
	v_readfirstlane_b32 s21, v2
	s_subb_u32 s22, s23, s22
	s_cmp_lg_u32 s26, 0
	s_subb_u32 s23, s22, 0
	s_delay_alu instid0(VALU_DEP_1) | instskip(SKIP_4) | instid1(SALU_CYCLE_1)
	s_cmp_ge_u32 s21, s20
	s_cselect_b32 s21, -1, 0
	s_cmp_eq_u32 s23, 0
	v_readfirstlane_b32 s23, v1
	s_cselect_b32 s21, s21, -1
	s_cmp_lg_u32 s21, 0
	s_cselect_b32 s17, s27, s17
	s_cselect_b32 s21, s28, s24
	s_cmp_ge_u32 s23, s20
	s_cselect_b32 s23, -1, 0
	s_cmp_eq_u32 s22, 0
	s_cselect_b32 s22, s23, -1
	s_delay_alu instid0(SALU_CYCLE_1) | instskip(SKIP_2) | instid1(SALU_CYCLE_1)
	s_cmp_lg_u32 s22, 0
	s_cselect_b32 s23, s21, s12
	s_cselect_b32 s22, s17, s3
	s_xor_b64 s[22:23], s[22:23], s[18:19]
	s_delay_alu instid0(SALU_CYCLE_1)
	s_sub_u32 s18, s22, s18
	s_and_not1_b32 vcc_lo, exec_lo, s2
	s_cbranch_vccnz .LBB27_6
.LBB27_5:
	v_cvt_f32_u32_e32 v1, s20
	s_sub_i32 s3, 0, s20
	s_delay_alu instid0(VALU_DEP_1) | instskip(SKIP_2) | instid1(VALU_DEP_1)
	v_rcp_iflag_f32_e32 v1, v1
	s_waitcnt_depctr 0xfff
	v_mul_f32_e32 v1, 0x4f7ffffe, v1
	v_cvt_u32_f32_e32 v1, v1
	s_delay_alu instid0(VALU_DEP_1) | instskip(NEXT) | instid1(VALU_DEP_1)
	v_readfirstlane_b32 s2, v1
	s_mul_i32 s3, s3, s2
	s_delay_alu instid0(SALU_CYCLE_1) | instskip(NEXT) | instid1(SALU_CYCLE_1)
	s_mul_hi_u32 s3, s2, s3
	s_add_i32 s2, s2, s3
	s_delay_alu instid0(SALU_CYCLE_1) | instskip(NEXT) | instid1(SALU_CYCLE_1)
	s_mul_hi_u32 s2, s11, s2
	s_mul_i32 s3, s2, s20
	s_delay_alu instid0(SALU_CYCLE_1)
	s_sub_i32 s3, s11, s3
	s_add_i32 s11, s2, 1
	s_sub_i32 s12, s3, s20
	s_cmp_ge_u32 s3, s20
	s_cselect_b32 s2, s11, s2
	s_cselect_b32 s3, s12, s3
	s_add_i32 s11, s2, 1
	s_cmp_ge_u32 s3, s20
	s_cselect_b32 s18, s11, s2
.LBB27_6:
	s_delay_alu instid0(SALU_CYCLE_1) | instskip(SKIP_3) | instid1(SALU_CYCLE_1)
	s_cmp_eq_u32 s16, s18
	s_mul_hi_u32 s2, s16, s8
	s_cselect_b32 s3, -1, 0
	s_add_i32 s2, s2, s16
	s_lshr_b32 s11, s2, s9
	s_delay_alu instid0(SALU_CYCLE_1) | instskip(NEXT) | instid1(SALU_CYCLE_1)
	s_mul_i32 s2, s11, s10
	s_cmp_eq_u32 s2, s16
	s_mul_hi_u32 s2, s18, s8
	s_cselect_b32 s12, -1, 0
	s_add_i32 s2, s2, s18
	s_delay_alu instid0(SALU_CYCLE_1) | instskip(NEXT) | instid1(SALU_CYCLE_1)
	s_lshr_b32 s2, s2, s9
	s_cmp_eq_u32 s11, s2
	s_mul_i32 s2, s2, s10
	s_cselect_b32 s17, -1, 0
	s_cmp_lg_u32 s2, s18
	s_cselect_b32 s2, -1, 0
	s_or_b32 s3, s3, s12
	s_and_b32 s2, s17, s2
	s_delay_alu instid0(SALU_CYCLE_1) | instskip(NEXT) | instid1(SALU_CYCLE_1)
	s_or_b32 s2, s3, s2
	s_and_b32 vcc_lo, exec_lo, s2
	s_cbranch_vccnz .LBB27_24
; %bb.7:
	s_load_b256 s[24:31], s[0:1], 0x20
	s_waitcnt lgkmcnt(0)
	s_mul_hi_u32 s2, s16, s24
	s_delay_alu instid0(SALU_CYCLE_1) | instskip(NEXT) | instid1(SALU_CYCLE_1)
	s_add_i32 s2, s2, s16
	s_lshr_b32 s17, s2, s25
	s_load_b32 s2, s[0:1], 0x40
	s_mul_i32 s3, s17, s26
	s_delay_alu instid0(SALU_CYCLE_1) | instskip(NEXT) | instid1(SALU_CYCLE_1)
	s_sub_i32 s3, s16, s3
	s_mul_hi_u32 s12, s3, s27
	s_delay_alu instid0(SALU_CYCLE_1) | instskip(NEXT) | instid1(SALU_CYCLE_1)
	s_add_i32 s12, s3, s12
	s_lshr_b32 s21, s12, s28
	s_delay_alu instid0(SALU_CYCLE_1) | instskip(NEXT) | instid1(SALU_CYCLE_1)
	s_mul_i32 s12, s21, s29
	s_sub_i32 s3, s3, s12
	s_delay_alu instid0(SALU_CYCLE_1) | instskip(NEXT) | instid1(SALU_CYCLE_1)
	s_mul_hi_u32 s12, s3, s30
	s_add_i32 s12, s3, s12
	s_delay_alu instid0(SALU_CYCLE_1)
	s_lshr_b32 s12, s12, s31
	s_waitcnt lgkmcnt(0)
	s_mul_i32 s2, s12, s2
	s_lshl_b32 s23, s12, 2
	s_sub_i32 s2, s3, s2
	s_mov_b32 s12, 0
	s_mul_hi_u32 s3, s2, s8
	s_delay_alu instid0(SALU_CYCLE_1) | instskip(NEXT) | instid1(SALU_CYCLE_1)
	s_add_i32 s2, s2, s3
	s_lshr_b32 s22, s2, s9
	s_delay_alu instid0(SALU_CYCLE_1) | instskip(NEXT) | instid1(SALU_CYCLE_1)
	s_lshl_b32 s2, s22, 4
	s_add_i32 s2, s2, s14
	s_delay_alu instid0(SALU_CYCLE_1) | instskip(SKIP_2) | instid1(SALU_CYCLE_1)
	s_cmp_lt_i32 s2, s4
	s_cselect_b32 s2, -1, 0
	s_add_i32 s3, s23, s15
	s_cmp_lt_i32 s3, s6
	s_cselect_b32 s3, -1, 0
	s_delay_alu instid0(SALU_CYCLE_1) | instskip(NEXT) | instid1(SALU_CYCLE_1)
	s_and_b32 s2, s2, s3
	s_and_not1_b32 vcc_lo, exec_lo, s2
	s_cbranch_vccnz .LBB27_24
; %bb.8:
	s_load_b128 s[0:3], s[0:1], 0x0
	s_lshl_b32 s18, s20, 8
	s_mov_b32 s19, s12
	s_lshl_b32 s24, s14, 2
	s_lshl_b64 s[18:19], s[18:19], 2
	s_mul_i32 s4, s17, s4
	s_add_i32 s17, s24, s15
	s_mul_i32 s21, s21, s6
	v_cvt_f32_ubyte0_e32 v4, 0
	v_cvt_f32_u32_e32 v5, s20
	s_waitcnt lgkmcnt(0)
	s_add_u32 s18, s2, s18
	s_addc_u32 s19, s3, s19
	s_add_i32 s4, s4, s14
	s_delay_alu instid0(SALU_CYCLE_1) | instskip(SKIP_4) | instid1(SALU_CYCLE_1)
	s_mul_i32 s4, s4, s5
	s_mul_i32 s5, s5, s22
	s_add_i32 s4, s4, s15
	s_lshl_b32 s5, s5, 11
	s_add_i32 s4, s4, s21
	s_add_i32 s4, s4, s23
	s_delay_alu instid0(SALU_CYCLE_1) | instskip(NEXT) | instid1(SALU_CYCLE_1)
	s_lshl_b32 s4, s4, 7
	s_add_i32 s5, s5, s4
	s_delay_alu instid0(SALU_CYCLE_1) | instskip(SKIP_1) | instid1(VALU_DEP_2)
	v_or_b32_e32 v1, s5, v0
	v_lshl_or_b32 v0, s17, 7, v0
	v_ashrrev_i32_e32 v2, 31, v1
	s_delay_alu instid0(VALU_DEP_1) | instskip(NEXT) | instid1(VALU_DEP_1)
	v_lshlrev_b64 v[1:2], 2, v[1:2]
	v_add_co_u32 v1, vcc_lo, s0, v1
	s_delay_alu instid0(VALU_DEP_2) | instskip(SKIP_1) | instid1(SALU_CYCLE_1)
	v_add_co_ci_u32_e32 v2, vcc_lo, s1, v2, vcc_lo
	s_lshl_b32 s0, s13, 6
	s_add_i32 s0, s17, s0
	global_load_b32 v3, v[1:2], off
	s_ashr_i32 s1, s0, 31
	s_delay_alu instid0(SALU_CYCLE_1) | instskip(NEXT) | instid1(SALU_CYCLE_1)
	s_lshl_b64 s[0:1], s[0:1], 3
	s_add_u32 s0, s2, s0
	s_addc_u32 s1, s3, s1
	s_add_i32 s14, s13, -1
	s_load_b64 s[0:1], s[0:1], 0x0
	v_fmac_f32_e32 v5, 0x4f800000, v4
	s_sub_i32 s6, 0, s20
	s_waitcnt lgkmcnt(0)
	v_mov_b32_e32 v8, s0
	s_delay_alu instid0(VALU_DEP_2) | instskip(SKIP_2) | instid1(VALU_DEP_2)
	v_rcp_f32_e32 v4, v5
	v_cvt_f32_u32_e32 v5, s20
	v_mov_b32_e32 v7, s1
	v_rcp_iflag_f32_e32 v5, v5
	s_waitcnt_depctr 0xfff
	v_mul_f32_e32 v4, 0x5f7ffffc, v4
	s_delay_alu instid0(VALU_DEP_1) | instskip(SKIP_1) | instid1(VALU_DEP_2)
	v_mul_f32_e32 v6, 0x2f800000, v4
	v_mul_f32_e32 v9, 0x4f7ffffe, v5
	v_trunc_f32_e32 v6, v6
	s_delay_alu instid0(VALU_DEP_1) | instskip(SKIP_1) | instid1(VALU_DEP_4)
	v_fmac_f32_e32 v4, 0xcf800000, v6
	v_cvt_u32_f32_e32 v5, v6
	v_cvt_u32_f32_e32 v6, v9
	s_delay_alu instid0(VALU_DEP_3)
	v_cvt_u32_f32_e32 v4, v4
.LBB27_9:                               ; =>This Inner Loop Header: Depth=1
	s_mul_hi_i32 s13, s14, s7
	s_mul_i32 s4, s14, s7
	s_cmp_lg_u64 s[12:13], 0
	s_mov_b32 s5, -1
                                        ; implicit-def: $sgpr0_sgpr1
	s_cbranch_scc0 .LBB27_11
; %bb.10:                               ;   in Loop: Header=BB27_9 Depth=1
	v_readfirstlane_b32 s0, v4
	v_readfirstlane_b32 s1, v5
	s_sub_u32 s5, 0, s20
	s_subb_u32 s15, 0, 0
	s_delay_alu instid0(VALU_DEP_2) | instskip(NEXT) | instid1(VALU_DEP_1)
	s_mul_hi_u32 s21, s5, s0
	s_mul_i32 s22, s5, s1
	s_mul_i32 s23, s15, s0
	s_add_i32 s21, s21, s22
	s_mul_i32 s22, s5, s0
	s_add_i32 s21, s21, s23
	s_mul_hi_u32 s23, s0, s22
	s_mul_i32 s24, s0, s21
	s_mul_hi_u32 s0, s0, s21
	s_add_u32 s23, s23, s24
	s_mul_i32 s25, s1, s22
	s_addc_u32 s0, 0, s0
	s_mul_hi_u32 s22, s1, s22
	s_mul_hi_u32 s24, s1, s21
	s_add_u32 s23, s23, s25
	s_addc_u32 s0, s0, s22
	s_mul_i32 s21, s1, s21
	s_addc_u32 s22, s24, 0
	s_add_u32 s0, s0, s21
	s_addc_u32 s21, 0, s22
	v_add_co_u32 v9, s0, v4, s0
	s_delay_alu instid0(VALU_DEP_1) | instskip(SKIP_1) | instid1(VALU_DEP_1)
	s_cmp_lg_u32 s0, 0
	s_addc_u32 s1, s1, s21
	v_readfirstlane_b32 s0, v9
	s_mul_i32 s21, s5, s1
	s_delay_alu instid0(VALU_DEP_1)
	s_mul_hi_u32 s22, s5, s0
	s_mul_i32 s15, s15, s0
	s_add_i32 s21, s22, s21
	s_mul_i32 s5, s5, s0
	s_add_i32 s21, s21, s15
	s_mul_hi_u32 s15, s1, s5
	s_mul_i32 s23, s1, s5
	s_mul_i32 s24, s0, s21
	s_mul_hi_u32 s5, s0, s5
	s_mul_hi_u32 s0, s0, s21
	s_add_u32 s5, s5, s24
	s_addc_u32 s0, 0, s0
	s_mul_hi_u32 s22, s1, s21
	s_add_u32 s5, s5, s23
	s_addc_u32 s0, s0, s15
	s_mul_i32 s5, s1, s21
	s_addc_u32 s15, s22, 0
	s_add_u32 s0, s0, s5
	s_addc_u32 s5, 0, s15
	v_add_co_u32 v9, s0, v9, s0
	s_delay_alu instid0(VALU_DEP_1) | instskip(SKIP_2) | instid1(SALU_CYCLE_1)
	s_cmp_lg_u32 s0, 0
	s_addc_u32 s5, s1, s5
	s_ashr_i32 s0, s13, 31
	s_add_u32 s22, s4, s0
	s_addc_u32 s23, s13, s0
	v_readfirstlane_b32 s13, v9
	s_mov_b32 s1, s0
	s_delay_alu instid0(SALU_CYCLE_1) | instskip(NEXT) | instid1(SALU_CYCLE_1)
	s_xor_b64 s[22:23], s[22:23], s[0:1]
	s_mul_i32 s15, s22, s5
	s_delay_alu instid0(VALU_DEP_1)
	s_mul_hi_u32 s21, s22, s13
	s_mul_hi_u32 s24, s22, s5
	s_add_u32 s15, s21, s15
	s_mul_i32 s25, s23, s13
	s_addc_u32 s21, 0, s24
	s_mul_hi_u32 s13, s23, s13
	s_mul_hi_u32 s24, s23, s5
	s_add_u32 s15, s15, s25
	s_addc_u32 s13, s21, s13
	s_mul_i32 s5, s23, s5
	s_addc_u32 s15, s24, 0
	s_add_u32 s5, s13, s5
	s_addc_u32 s13, 0, s15
	s_mul_i32 s21, s20, s5
	s_add_u32 s15, s5, 1
	v_sub_co_u32 v9, s21, s22, s21
	s_addc_u32 s22, s13, 0
	s_mul_i32 s25, s20, s13
	s_mul_hi_u32 s27, s20, s5
	s_delay_alu instid0(VALU_DEP_1)
	v_sub_co_u32 v10, s26, v9, s20
	s_add_u32 s24, s5, 2
	s_addc_u32 s28, s13, 0
	s_add_i32 s27, s27, s25
	s_cmp_lg_u32 s21, 0
	v_readfirstlane_b32 s21, v10
	s_subb_u32 s23, s23, s27
	s_cmp_lg_u32 s26, 0
	s_subb_u32 s25, s23, 0
	s_delay_alu instid0(VALU_DEP_1) | instskip(SKIP_4) | instid1(SALU_CYCLE_1)
	s_cmp_ge_u32 s21, s20
	s_cselect_b32 s21, -1, 0
	s_cmp_eq_u32 s25, 0
	v_readfirstlane_b32 s25, v9
	s_cselect_b32 s21, s21, -1
	s_cmp_lg_u32 s21, 0
	s_cselect_b32 s15, s24, s15
	s_cselect_b32 s21, s28, s22
	s_cmp_ge_u32 s25, s20
	s_cselect_b32 s22, -1, 0
	s_cmp_eq_u32 s23, 0
	s_cselect_b32 s22, s22, -1
	s_delay_alu instid0(SALU_CYCLE_1) | instskip(SKIP_4) | instid1(SALU_CYCLE_1)
	s_cmp_lg_u32 s22, 0
	s_cselect_b32 s23, s21, s13
	s_cselect_b32 s22, s15, s5
	s_mov_b32 s5, 0
	s_xor_b64 s[22:23], s[22:23], s[0:1]
	s_sub_u32 s0, s22, s0
.LBB27_11:                              ;   in Loop: Header=BB27_9 Depth=1
	s_and_not1_b32 vcc_lo, exec_lo, s5
	s_cbranch_vccnz .LBB27_13
; %bb.12:                               ;   in Loop: Header=BB27_9 Depth=1
	v_readfirstlane_b32 s0, v6
	s_delay_alu instid0(VALU_DEP_1) | instskip(NEXT) | instid1(SALU_CYCLE_1)
	s_mul_i32 s1, s6, s0
	s_mul_hi_u32 s1, s0, s1
	s_delay_alu instid0(SALU_CYCLE_1) | instskip(NEXT) | instid1(SALU_CYCLE_1)
	s_add_i32 s0, s0, s1
	s_mul_hi_u32 s0, s4, s0
	s_delay_alu instid0(SALU_CYCLE_1) | instskip(NEXT) | instid1(SALU_CYCLE_1)
	s_mul_i32 s1, s0, s20
	s_sub_i32 s1, s4, s1
	s_add_i32 s4, s0, 1
	s_sub_i32 s5, s1, s20
	s_cmp_ge_u32 s1, s20
	s_cselect_b32 s0, s4, s0
	s_cselect_b32 s1, s5, s1
	s_add_i32 s4, s0, 1
	s_cmp_ge_u32 s1, s20
	s_cselect_b32 s0, s4, s0
.LBB27_13:                              ;   in Loop: Header=BB27_9 Depth=1
	s_delay_alu instid0(SALU_CYCLE_1)
	s_cmp_lg_u32 s16, s0
	s_cbranch_scc0 .LBB27_17
; %bb.14:                               ;   in Loop: Header=BB27_9 Depth=1
	s_add_i32 s1, s14, s20
	s_mov_b32 s5, s12
	s_lshl_b32 s1, s1, 6
	s_mov_b32 s15, s16
	s_add_i32 s4, s1, s17
	s_mul_hi_u32 s1, s0, s8
	s_lshl_b64 s[4:5], s[4:5], 3
	s_delay_alu instid0(SALU_CYCLE_1) | instskip(SKIP_2) | instid1(SALU_CYCLE_1)
	s_add_u32 s4, s2, s4
	s_addc_u32 s5, s3, s5
	s_add_i32 s1, s1, s0
	s_lshr_b32 s1, s1, s9
	s_delay_alu instid0(SALU_CYCLE_1) | instskip(NEXT) | instid1(SALU_CYCLE_1)
	s_mul_i32 s13, s1, s10
	s_cmp_eq_u32 s13, s0
	s_cselect_b32 s13, -1, 0
	s_cmp_lt_u32 s1, s11
	s_cselect_b32 s1, -1, 0
	s_delay_alu instid0(SALU_CYCLE_1)
	s_or_b32 s1, s1, s13
	s_mov_b32 s13, -1
	s_and_b32 vcc_lo, exec_lo, s1
	s_mov_b32 s1, s14
	s_cbranch_vccnz .LBB27_16
; %bb.15:                               ;   in Loop: Header=BB27_9 Depth=1
	s_add_i32 s1, s14, -1
	s_mov_b32 s13, 0
	s_mov_b32 s15, s0
.LBB27_16:                              ;   in Loop: Header=BB27_9 Depth=1
	v_lshl_add_u32 v9, s14, 13, v0
	s_load_b64 s[4:5], s[4:5], 0x0
	s_delay_alu instid0(VALU_DEP_1) | instskip(NEXT) | instid1(VALU_DEP_1)
	v_ashrrev_i32_e32 v10, 31, v9
	v_lshlrev_b64 v[9:10], 2, v[9:10]
	s_delay_alu instid0(VALU_DEP_1) | instskip(NEXT) | instid1(VALU_DEP_2)
	v_add_co_u32 v9, vcc_lo, s18, v9
	v_add_co_ci_u32_e32 v10, vcc_lo, s19, v10, vcc_lo
	s_waitcnt lgkmcnt(0)
	v_max_f32_e64 v11, s4, s4
	global_load_b32 v10, v[9:10], off
	v_max_f32_e32 v9, v8, v8
	s_delay_alu instid0(VALU_DEP_1) | instskip(NEXT) | instid1(VALU_DEP_1)
	v_max_f32_e32 v9, v9, v11
	v_sub_f32_e32 v12, v8, v9
	s_delay_alu instid0(VALU_DEP_1) | instskip(NEXT) | instid1(VALU_DEP_1)
	v_dual_mul_f32 v14, 0x3fb8aa3b, v12 :: v_dual_sub_f32 v11, s4, v9
	v_rndne_f32_e32 v18, v14
	s_delay_alu instid0(VALU_DEP_2) | instskip(SKIP_2) | instid1(VALU_DEP_4)
	v_mul_f32_e32 v13, 0x3fb8aa3b, v11
	v_fma_f32 v17, 0x3fb8aa3b, v12, -v14
	v_cmp_ngt_f32_e32 vcc_lo, 0xc2ce8ed0, v11
	v_sub_f32_e32 v14, v14, v18
	s_delay_alu instid0(VALU_DEP_4) | instskip(SKIP_2) | instid1(VALU_DEP_3)
	v_fma_f32 v15, 0x3fb8aa3b, v11, -v13
	v_rndne_f32_e32 v16, v13
	v_fmac_f32_e32 v17, 0x32a5705f, v12
	v_fmac_f32_e32 v15, 0x32a5705f, v11
	s_delay_alu instid0(VALU_DEP_2) | instskip(NEXT) | instid1(VALU_DEP_1)
	v_dual_sub_f32 v13, v13, v16 :: v_dual_add_f32 v14, v14, v17
	v_add_f32_e32 v13, v13, v15
	s_delay_alu instid0(VALU_DEP_2) | instskip(SKIP_2) | instid1(VALU_DEP_3)
	v_exp_f32_e32 v14, v14
	v_cvt_i32_f32_e32 v15, v16
	v_cvt_i32_f32_e32 v16, v18
	v_exp_f32_e32 v13, v13
	s_waitcnt_depctr 0xfff
	v_ldexp_f32 v14, v14, v16
	v_ldexp_f32 v13, v13, v15
	s_delay_alu instid0(VALU_DEP_1) | instskip(SKIP_1) | instid1(VALU_DEP_4)
	v_cndmask_b32_e32 v13, 0, v13, vcc_lo
	v_cmp_ngt_f32_e32 vcc_lo, 0xc2ce8ed0, v12
	v_cndmask_b32_e32 v14, 0, v14, vcc_lo
	v_cmp_nlt_f32_e32 vcc_lo, 0x42b17218, v11
	s_delay_alu instid0(VALU_DEP_4) | instskip(SKIP_1) | instid1(VALU_DEP_4)
	v_cndmask_b32_e32 v13, 0x7f800000, v13, vcc_lo
	v_cmp_nlt_f32_e32 vcc_lo, 0x42b17218, v12
	v_cndmask_b32_e32 v14, 0x7f800000, v14, vcc_lo
	v_cmp_le_f32_e32 vcc_lo, 0xc1a00000, v11
	s_delay_alu instid0(VALU_DEP_4) | instskip(SKIP_1) | instid1(VALU_DEP_4)
	v_cndmask_b32_e32 v11, 0, v13, vcc_lo
	v_cmp_le_f32_e32 vcc_lo, 0xc1a00000, v12
	v_cndmask_b32_e32 v12, 0, v14, vcc_lo
	s_waitcnt vmcnt(0)
	s_delay_alu instid0(VALU_DEP_3) | instskip(NEXT) | instid1(VALU_DEP_1)
	v_mul_f32_e32 v10, v10, v11
	v_dual_mul_f32 v11, s5, v11 :: v_dual_fmac_f32 v10, v3, v12
	s_delay_alu instid0(VALU_DEP_1)
	v_fmac_f32_e32 v11, v7, v12
	s_cbranch_execz .LBB27_18
	s_branch .LBB27_19
.LBB27_17:                              ;   in Loop: Header=BB27_9 Depth=1
                                        ; implicit-def: $sgpr13
                                        ; implicit-def: $vgpr10
                                        ; implicit-def: $vgpr9
                                        ; implicit-def: $vgpr11
                                        ; implicit-def: $sgpr1
                                        ; implicit-def: $sgpr15
.LBB27_18:                              ;   in Loop: Header=BB27_9 Depth=1
	v_mov_b32_e32 v11, v7
	s_waitcnt vmcnt(0)
	v_dual_mov_b32 v9, v8 :: v_dual_mov_b32 v10, v3
	s_add_i32 s1, s14, -1
	s_mov_b32 s13, 0
	s_mov_b32 s15, s16
.LBB27_19:                              ;   in Loop: Header=BB27_9 Depth=1
	s_and_not1_b32 vcc_lo, exec_lo, s13
	s_cbranch_vccz .LBB27_23
; %bb.20:                               ;   in Loop: Header=BB27_9 Depth=1
	v_dual_mov_b32 v7, v11 :: v_dual_mov_b32 v8, v9
	s_waitcnt vmcnt(0)
	v_mov_b32_e32 v3, v10
	s_mov_b32 s16, s15
	s_mov_b32 s14, s1
	s_branch .LBB27_9
.LBB27_21:
                                        ; implicit-def: $sgpr16_sgpr17
	s_load_b128 s[8:11], s[0:1], 0x44
	s_branch .LBB27_2
.LBB27_22:
                                        ; implicit-def: $sgpr18_sgpr19
	s_branch .LBB27_5
.LBB27_23:
	v_div_scale_f32 v0, null, v11, v11, v10
	s_waitcnt vmcnt(0)
	s_delay_alu instid0(VALU_DEP_1) | instskip(SKIP_2) | instid1(VALU_DEP_1)
	v_rcp_f32_e32 v3, v0
	s_waitcnt_depctr 0xfff
	v_fma_f32 v4, -v0, v3, 1.0
	v_fmac_f32_e32 v3, v4, v3
	v_div_scale_f32 v4, vcc_lo, v10, v11, v10
	s_delay_alu instid0(VALU_DEP_1) | instskip(NEXT) | instid1(VALU_DEP_1)
	v_mul_f32_e32 v5, v4, v3
	v_fma_f32 v6, -v0, v5, v4
	s_delay_alu instid0(VALU_DEP_1) | instskip(NEXT) | instid1(VALU_DEP_1)
	v_fmac_f32_e32 v5, v6, v3
	v_fma_f32 v0, -v0, v5, v4
	s_delay_alu instid0(VALU_DEP_1) | instskip(NEXT) | instid1(VALU_DEP_1)
	v_div_fmas_f32 v0, v0, v3, v5
	v_div_fixup_f32 v0, v0, v11, v10
	global_store_b32 v[1:2], v0, off
.LBB27_24:
	s_nop 0
	s_sendmsg sendmsg(MSG_DEALLOC_VGPRS)
	s_endpgm
	.section	.rodata,"a",@progbits
	.p2align	6, 0x0
	.amdhsa_kernel _ZL33flash_attn_stream_k_fixup_generalILi128ELi16ELi4EEvPfPK15HIP_vector_typeIfLj2EEiiiiS1_IjLj3EES5_S5_S5_
		.amdhsa_group_segment_fixed_size 0
		.amdhsa_private_segment_fixed_size 0
		.amdhsa_kernarg_size 336
		.amdhsa_user_sgpr_count 13
		.amdhsa_user_sgpr_dispatch_ptr 0
		.amdhsa_user_sgpr_queue_ptr 0
		.amdhsa_user_sgpr_kernarg_segment_ptr 1
		.amdhsa_user_sgpr_dispatch_id 0
		.amdhsa_user_sgpr_private_segment_size 0
		.amdhsa_wavefront_size32 1
		.amdhsa_uses_dynamic_stack 0
		.amdhsa_enable_private_segment 0
		.amdhsa_system_sgpr_workgroup_id_x 1
		.amdhsa_system_sgpr_workgroup_id_y 1
		.amdhsa_system_sgpr_workgroup_id_z 1
		.amdhsa_system_sgpr_workgroup_info 0
		.amdhsa_system_vgpr_workitem_id 0
		.amdhsa_next_free_vgpr 19
		.amdhsa_next_free_sgpr 32
		.amdhsa_reserve_vcc 1
		.amdhsa_float_round_mode_32 0
		.amdhsa_float_round_mode_16_64 0
		.amdhsa_float_denorm_mode_32 3
		.amdhsa_float_denorm_mode_16_64 3
		.amdhsa_dx10_clamp 1
		.amdhsa_ieee_mode 1
		.amdhsa_fp16_overflow 0
		.amdhsa_workgroup_processor_mode 1
		.amdhsa_memory_ordered 1
		.amdhsa_forward_progress 0
		.amdhsa_shared_vgpr_count 0
		.amdhsa_exception_fp_ieee_invalid_op 0
		.amdhsa_exception_fp_denorm_src 0
		.amdhsa_exception_fp_ieee_div_zero 0
		.amdhsa_exception_fp_ieee_overflow 0
		.amdhsa_exception_fp_ieee_underflow 0
		.amdhsa_exception_fp_ieee_inexact 0
		.amdhsa_exception_int_div_zero 0
	.end_amdhsa_kernel
	.section	.text._ZL33flash_attn_stream_k_fixup_generalILi128ELi16ELi4EEvPfPK15HIP_vector_typeIfLj2EEiiiiS1_IjLj3EES5_S5_S5_,"axG",@progbits,_ZL33flash_attn_stream_k_fixup_generalILi128ELi16ELi4EEvPfPK15HIP_vector_typeIfLj2EEiiiiS1_IjLj3EES5_S5_S5_,comdat
.Lfunc_end27:
	.size	_ZL33flash_attn_stream_k_fixup_generalILi128ELi16ELi4EEvPfPK15HIP_vector_typeIfLj2EEiiiiS1_IjLj3EES5_S5_S5_, .Lfunc_end27-_ZL33flash_attn_stream_k_fixup_generalILi128ELi16ELi4EEvPfPK15HIP_vector_typeIfLj2EEiiiiS1_IjLj3EES5_S5_S5_
                                        ; -- End function
	.section	.AMDGPU.csdata,"",@progbits
; Kernel info:
; codeLenInByte = 3224
; NumSgprs: 34
; NumVgprs: 19
; ScratchSize: 0
; MemoryBound: 0
; FloatMode: 240
; IeeeMode: 1
; LDSByteSize: 0 bytes/workgroup (compile time only)
; SGPRBlocks: 4
; VGPRBlocks: 2
; NumSGPRsForWavesPerEU: 34
; NumVGPRsForWavesPerEU: 19
; Occupancy: 16
; WaveLimiterHint : 0
; COMPUTE_PGM_RSRC2:SCRATCH_EN: 0
; COMPUTE_PGM_RSRC2:USER_SGPR: 13
; COMPUTE_PGM_RSRC2:TRAP_HANDLER: 0
; COMPUTE_PGM_RSRC2:TGID_X_EN: 1
; COMPUTE_PGM_RSRC2:TGID_Y_EN: 1
; COMPUTE_PGM_RSRC2:TGID_Z_EN: 1
; COMPUTE_PGM_RSRC2:TIDIG_COMP_CNT: 0
	.section	.text._ZL26flash_attn_combine_resultsILi128EEvPKfPK15HIP_vector_typeIfLj2EEPfi,"axG",@progbits,_ZL26flash_attn_combine_resultsILi128EEvPKfPK15HIP_vector_typeIfLj2EEPfi,comdat
	.globl	_ZL26flash_attn_combine_resultsILi128EEvPKfPK15HIP_vector_typeIfLj2EEPfi ; -- Begin function _ZL26flash_attn_combine_resultsILi128EEvPKfPK15HIP_vector_typeIfLj2EEPfi
	.p2align	8
	.type	_ZL26flash_attn_combine_resultsILi128EEvPKfPK15HIP_vector_typeIfLj2EEPfi,@function
_ZL26flash_attn_combine_resultsILi128EEvPKfPK15HIP_vector_typeIfLj2EEPfi: ; @_ZL26flash_attn_combine_resultsILi128EEvPKfPK15HIP_vector_typeIfLj2EEPfi
; %bb.0:
	s_clause 0x3
	s_load_b64 s[2:3], s[0:1], 0x20
	s_load_b32 s11, s[0:1], 0x18
	s_load_b128 s[4:7], s[0:1], 0x0
	s_load_b64 s[8:9], s[0:1], 0x10
	v_lshlrev_b32_e32 v5, 2, v0
	s_mov_b32 s12, exec_lo
	s_waitcnt lgkmcnt(0)
	s_mul_i32 s0, s2, s15
	s_lshl_b32 s1, s11, 1
	s_add_i32 s0, s0, s13
	s_delay_alu instid0(SALU_CYCLE_1) | instskip(NEXT) | instid1(SALU_CYCLE_1)
	s_mul_i32 s10, s0, s3
	s_add_i32 s10, s10, s14
	s_delay_alu instid0(SALU_CYCLE_1)
	s_mul_i32 s2, s10, s11
	v_cmpx_gt_i32_e64 s1, v0
	s_cbranch_execz .LBB28_3
; %bb.1:
	s_ashr_i32 s3, s2, 31
	v_dual_mov_b32 v4, v0 :: v_dual_add_nc_u32 v3, 0, v5
	s_lshl_b64 s[14:15], s[2:3], 3
	s_delay_alu instid0(SALU_CYCLE_1) | instskip(SKIP_2) | instid1(VALU_DEP_1)
	s_add_u32 s0, s6, s14
	s_addc_u32 s3, s7, s15
	v_add_co_u32 v1, s0, s0, v5
	v_add_co_ci_u32_e64 v2, null, s3, 0, s0
	s_mov_b32 s3, 0
	.p2align	6
.LBB28_2:                               ; =>This Inner Loop Header: Depth=1
	global_load_b32 v6, v[1:2], off
	v_add_nc_u32_e32 v4, 0x80, v4
	v_add_co_u32 v1, vcc_lo, 0x200, v1
	v_add_co_ci_u32_e32 v2, vcc_lo, 0, v2, vcc_lo
	s_delay_alu instid0(VALU_DEP_3) | instskip(NEXT) | instid1(VALU_DEP_1)
	v_cmp_le_i32_e64 s0, s1, v4
	s_or_b32 s3, s0, s3
	s_waitcnt vmcnt(0)
	ds_store_b32 v3, v6
	v_add_nc_u32_e32 v3, 0x200, v3
	s_and_not1_b32 exec_lo, exec_lo, s3
	s_cbranch_execnz .LBB28_2
.LBB28_3:
	s_or_b32 exec_lo, exec_lo, s12
	v_mov_b32_e32 v1, 0
	s_waitcnt lgkmcnt(0)
	s_barrier
	buffer_gl0_inv
	s_cmp_lt_i32 s11, 2
	ds_load_b32 v6, v1
	s_cbranch_scc1 .LBB28_11
; %bb.4:
	s_add_i32 s1, s11, -2
	s_add_i32 s0, s11, -1
	s_cmp_lt_u32 s1, 7
	s_cbranch_scc1 .LBB28_8
; %bb.5:
	s_mov_b32 s3, 0
	s_add_i32 s1, 0, 8
	s_and_b32 s6, s0, -8
	.p2align	6
.LBB28_6:                               ; =>This Inner Loop Header: Depth=1
	v_mov_b32_e32 v9, s1
	s_mov_b32 s7, s3
	s_add_i32 s3, s3, 8
	s_add_i32 s1, s1, 64
	s_cmp_eq_u32 s6, s3
	ds_load_2addr_b32 v[1:2], v9 offset1:2
	ds_load_2addr_b32 v[3:4], v9 offset0:4 offset1:6
	ds_load_2addr_b32 v[7:8], v9 offset0:8 offset1:10
	;; [unrolled: 1-line block ×3, first 2 shown]
	s_waitcnt lgkmcnt(3)
	v_max3_f32 v1, v6, v1, v2
	s_waitcnt lgkmcnt(2)
	s_delay_alu instid0(VALU_DEP_1) | instskip(SKIP_1) | instid1(VALU_DEP_1)
	v_max3_f32 v1, v1, v3, v4
	s_waitcnt lgkmcnt(1)
	v_max3_f32 v1, v1, v7, v8
	s_waitcnt lgkmcnt(0)
	s_delay_alu instid0(VALU_DEP_1)
	v_max3_f32 v6, v1, v9, v10
	s_cbranch_scc0 .LBB28_6
; %bb.7:
	s_add_i32 s1, s7, 9
	s_and_b32 s0, s0, 7
	s_delay_alu instid0(SALU_CYCLE_1)
	s_cmp_eq_u32 s0, 0
	s_cbranch_scc0 .LBB28_9
	s_branch .LBB28_11
.LBB28_8:
	s_mov_b32 s1, 1
	s_and_b32 s0, s0, 7
	s_delay_alu instid0(SALU_CYCLE_1)
	s_cmp_eq_u32 s0, 0
	s_cbranch_scc1 .LBB28_11
.LBB28_9:
	s_lshl_b32 s1, s1, 3
	s_delay_alu instid0(SALU_CYCLE_1)
	s_add_i32 s1, s1, 0
.LBB28_10:                              ; =>This Inner Loop Header: Depth=1
	s_waitcnt lgkmcnt(0)
	s_delay_alu instid0(VALU_DEP_1)
	v_dual_mov_b32 v1, s1 :: v_dual_max_f32 v2, v6, v6
	s_add_i32 s0, s0, -1
	s_add_i32 s1, s1, 8
	s_cmp_lg_u32 s0, 0
	ds_load_b32 v1, v1
	s_waitcnt lgkmcnt(0)
	v_max_f32_e32 v1, v1, v1
	s_delay_alu instid0(VALU_DEP_1)
	v_max_f32_e32 v6, v2, v1
	s_cbranch_scc1 .LBB28_10
.LBB28_11:
	s_cmp_lt_i32 s11, 1
	s_cbranch_scc1 .LBB28_16
; %bb.12:
	s_lshl_b32 s0, s2, 7
	v_mov_b32_e32 v7, 0
	s_ashr_i32 s1, s0, 31
	s_mov_b32 s13, 0
	s_lshl_b64 s[0:1], s[0:1], 2
	s_delay_alu instid0(SALU_CYCLE_1)
	s_add_u32 s6, s4, s0
	s_addc_u32 s7, s5, s1
	s_cmp_lt_u32 s11, 8
	s_cbranch_scc1 .LBB28_17
; %bb.13:
	v_or_b32_e32 v1, 0x380, v0
	v_dual_mov_b32 v4, 0 :: v_dual_mov_b32 v7, 0
	v_mov_b32_e32 v8, 0
	s_and_b32 s12, s11, 0x7ffffff8
	s_mov_b32 s14, 0
.LBB28_14:                              ; =>This Inner Loop Header: Depth=1
	s_delay_alu instid0(VALU_DEP_2) | instskip(SKIP_3) | instid1(VALU_DEP_2)
	v_dual_mov_b32 v2, v4 :: v_dual_add_nc_u32 v3, 0xfffffc80, v1
	v_mov_b32_e32 v21, s13
	s_add_i32 s14, s14, 8
	s_add_i32 s13, s13, 64
	v_lshlrev_b64 v[9:10], 2, v[3:4]
	v_add_nc_u32_e32 v3, 0xfffffd00, v1
	v_lshlrev_b64 v[11:12], 2, v[1:2]
	s_cmp_eq_u32 s12, s14
	s_delay_alu instid0(VALU_DEP_2) | instskip(NEXT) | instid1(VALU_DEP_4)
	v_lshlrev_b64 v[13:14], 2, v[3:4]
	v_add_co_u32 v9, vcc_lo, s6, v9
	v_add_co_ci_u32_e32 v10, vcc_lo, s7, v10, vcc_lo
	v_add_nc_u32_e32 v3, 0xfffffd80, v1
	s_delay_alu instid0(VALU_DEP_4)
	v_add_co_u32 v13, vcc_lo, s6, v13
	global_load_b32 v25, v[9:10], off
	v_add_co_ci_u32_e32 v14, vcc_lo, s7, v14, vcc_lo
	v_lshlrev_b64 v[15:16], 2, v[3:4]
	v_add_nc_u32_e32 v3, 0xfffffe00, v1
	global_load_b32 v26, v[13:14], off
	v_add_co_u32 v13, vcc_lo, s6, v15
	v_add_co_ci_u32_e32 v14, vcc_lo, s7, v16, vcc_lo
	v_lshlrev_b64 v[9:10], 2, v[3:4]
	v_add_nc_u32_e32 v3, 0xfffffe80, v1
	global_load_b32 v27, v[13:14], off
	v_add_co_u32 v9, vcc_lo, s6, v9
	v_lshlrev_b64 v[15:16], 2, v[3:4]
	v_add_nc_u32_e32 v3, 0xffffff00, v1
	v_add_co_ci_u32_e32 v10, vcc_lo, s7, v10, vcc_lo
	global_load_b32 v28, v[9:10], off
	v_lshlrev_b64 v[13:14], 2, v[3:4]
	v_add_nc_u32_e32 v3, 0xffffff80, v1
	v_add_co_u32 v9, vcc_lo, s6, v15
	v_add_co_ci_u32_e32 v10, vcc_lo, s7, v16, vcc_lo
	s_delay_alu instid0(VALU_DEP_4) | instskip(NEXT) | instid1(VALU_DEP_4)
	v_add_co_u32 v13, vcc_lo, s6, v13
	v_lshlrev_b64 v[2:3], 2, v[3:4]
	v_add_co_ci_u32_e32 v14, vcc_lo, s7, v14, vcc_lo
	s_clause 0x1
	global_load_b32 v29, v[9:10], off
	global_load_b32 v30, v[13:14], off
	v_add_co_u32 v2, vcc_lo, s6, v2
	v_add_co_ci_u32_e32 v3, vcc_lo, s7, v3, vcc_lo
	v_add_co_u32 v9, vcc_lo, s6, v11
	v_add_co_ci_u32_e32 v10, vcc_lo, s7, v12, vcc_lo
	s_clause 0x1
	global_load_b32 v2, v[2:3], off
	global_load_b32 v3, v[9:10], off
	ds_load_2addr_b64 v[9:12], v21 offset1:1
	ds_load_2addr_b64 v[13:16], v21 offset0:2 offset1:3
	ds_load_2addr_b64 v[17:20], v21 offset0:4 offset1:5
	;; [unrolled: 1-line block ×3, first 2 shown]
	v_add_nc_u32_e32 v1, 0x400, v1
	s_waitcnt lgkmcnt(1)
	v_sub_f32_e32 v19, v19, v6
	v_sub_f32_e32 v11, v11, v6
	s_waitcnt lgkmcnt(0)
	v_sub_f32_e32 v23, v23, v6
	s_delay_alu instid0(VALU_DEP_3) | instskip(NEXT) | instid1(VALU_DEP_3)
	v_dual_sub_f32 v13, v13, v6 :: v_dual_mul_f32 v36, 0x3fb8aa3b, v19
	v_mul_f32_e32 v32, 0x3fb8aa3b, v11
	s_delay_alu instid0(VALU_DEP_2) | instskip(SKIP_1) | instid1(VALU_DEP_4)
	v_dual_mul_f32 v38, 0x3fb8aa3b, v23 :: v_dual_mul_f32 v33, 0x3fb8aa3b, v13
	v_cmp_ngt_f32_e32 vcc_lo, 0xc2ce8ed0, v13
	v_fma_f32 v49, 0x3fb8aa3b, v19, -v36
	s_delay_alu instid0(VALU_DEP_4) | instskip(SKIP_4) | instid1(VALU_DEP_4)
	v_fma_f32 v41, 0x3fb8aa3b, v11, -v32
	v_rndne_f32_e32 v42, v32
	v_fma_f32 v43, 0x3fb8aa3b, v13, -v33
	v_rndne_f32_e32 v44, v33
	v_rndne_f32_e32 v50, v36
	v_dual_fmac_f32 v41, 0x32a5705f, v11 :: v_dual_sub_f32 v32, v32, v42
	v_sub_f32_e32 v15, v15, v6
	v_fmac_f32_e32 v43, 0x32a5705f, v13
	v_sub_f32_e32 v33, v33, v44
	v_cvt_i32_f32_e32 v42, v42
	v_dual_add_f32 v32, v32, v41 :: v_dual_sub_f32 v9, v9, v6
	v_mul_f32_e32 v34, 0x3fb8aa3b, v15
	s_delay_alu instid0(VALU_DEP_4) | instskip(SKIP_1) | instid1(VALU_DEP_4)
	v_add_f32_e32 v33, v33, v43
	v_cvt_i32_f32_e32 v44, v44
	v_exp_f32_e32 v32, v32
	v_mul_f32_e32 v31, 0x3fb8aa3b, v9
	v_fma_f32 v45, 0x3fb8aa3b, v15, -v34
	v_rndne_f32_e32 v46, v34
	v_exp_f32_e32 v33, v33
	v_cmp_ngt_f32_e64 s5, 0xc2ce8ed0, v9
	v_fma_f32 v39, 0x3fb8aa3b, v9, -v31
	v_rndne_f32_e32 v40, v31
	v_dual_fmac_f32 v45, 0x32a5705f, v15 :: v_dual_sub_f32 v34, v34, v46
	v_sub_f32_e32 v17, v17, v6
	s_delay_alu instid0(VALU_DEP_4) | instskip(NEXT) | instid1(VALU_DEP_4)
	v_fmac_f32_e32 v39, 0x32a5705f, v9
	v_sub_f32_e32 v31, v31, v40
	v_cvt_i32_f32_e32 v40, v40
	v_add_f32_e32 v34, v34, v45
	v_ldexp_f32 v32, v32, v42
	v_ldexp_f32 v33, v33, v44
	v_add_f32_e32 v31, v31, v39
	v_cvt_i32_f32_e32 v46, v46
	v_exp_f32_e32 v34, v34
	v_cmp_ngt_f32_e64 s0, 0xc2ce8ed0, v15
	v_fmac_f32_e32 v49, 0x32a5705f, v19
	v_exp_f32_e32 v31, v31
	v_sub_f32_e32 v36, v36, v50
	v_cvt_i32_f32_e32 v50, v50
	v_cmp_ngt_f32_e64 s1, 0xc2ce8ed0, v17
	v_rndne_f32_e32 v54, v38
	s_delay_alu instid0(VALU_DEP_4) | instskip(NEXT) | instid1(TRANS32_DEP_2)
	v_add_f32_e32 v36, v36, v49
	v_ldexp_f32 v34, v34, v46
	v_cmp_ngt_f32_e64 s2, 0xc2ce8ed0, v19
	s_delay_alu instid0(TRANS32_DEP_1) | instskip(NEXT) | instid1(VALU_DEP_4)
	v_ldexp_f32 v31, v31, v40
	v_exp_f32_e32 v36, v36
	s_delay_alu instid0(VALU_DEP_1) | instskip(SKIP_1) | instid1(VALU_DEP_1)
	v_cndmask_b32_e64 v31, 0, v31, s5
	v_cmp_ngt_f32_e64 s5, 0xc2ce8ed0, v11
	v_cndmask_b32_e64 v32, 0, v32, s5
	v_cmp_nlt_f32_e64 s5, 0x42b17218, v9
	s_waitcnt_depctr 0xfff
	v_ldexp_f32 v36, v36, v50
	v_cndmask_b32_e64 v9, 0x7f800000, v31, s5
	v_cndmask_b32_e32 v31, 0, v33, vcc_lo
	v_cmp_nlt_f32_e32 vcc_lo, 0x42b17218, v11
	s_delay_alu instid0(VALU_DEP_3) | instskip(SKIP_1) | instid1(VALU_DEP_2)
	v_dual_fmac_f32 v8, v9, v10 :: v_dual_cndmask_b32 v11, 0x7f800000, v32
	v_cmp_nlt_f32_e32 vcc_lo, 0x42b17218, v13
	v_fmac_f32_e32 v8, v11, v12
	v_cndmask_b32_e32 v10, 0x7f800000, v31, vcc_lo
	v_cmp_nlt_f32_e32 vcc_lo, 0x42b17218, v15
	v_fma_f32 v53, 0x3fb8aa3b, v23, -v38
	v_sub_f32_e32 v38, v38, v54
	v_cvt_i32_f32_e32 v54, v54
	v_fmac_f32_e32 v8, v10, v14
	v_cmp_ngt_f32_e64 s4, 0xc2ce8ed0, v23
	v_fmac_f32_e32 v53, 0x32a5705f, v23
	s_delay_alu instid0(VALU_DEP_1) | instskip(NEXT) | instid1(VALU_DEP_1)
	v_dual_sub_f32 v21, v21, v6 :: v_dual_add_f32 v38, v38, v53
	v_cmp_ngt_f32_e64 s3, 0xc2ce8ed0, v21
	s_delay_alu instid0(VALU_DEP_2)
	v_exp_f32_e32 v38, v38
	s_waitcnt_depctr 0xfff
	v_ldexp_f32 v38, v38, v54
	s_waitcnt vmcnt(7)
	v_fmac_f32_e32 v7, v25, v9
	v_cndmask_b32_e64 v9, 0, v34, s0
	s_delay_alu instid0(VALU_DEP_1) | instskip(SKIP_1) | instid1(VALU_DEP_3)
	v_cndmask_b32_e32 v9, 0x7f800000, v9, vcc_lo
	s_waitcnt vmcnt(6)
	v_fmac_f32_e32 v7, v26, v11
	v_cmp_nlt_f32_e32 vcc_lo, 0x42b17218, v17
	s_delay_alu instid0(VALU_DEP_3) | instskip(SKIP_1) | instid1(VALU_DEP_3)
	v_dual_fmac_f32 v8, v9, v16 :: v_dual_mul_f32 v35, 0x3fb8aa3b, v17
	s_waitcnt vmcnt(5)
	v_fmac_f32_e32 v7, v27, v10
	s_delay_alu instid0(VALU_DEP_2) | instskip(SKIP_2) | instid1(VALU_DEP_3)
	v_fma_f32 v47, 0x3fb8aa3b, v17, -v35
	v_rndne_f32_e32 v48, v35
	v_cndmask_b32_e64 v10, 0, v36, s2
	v_fmac_f32_e32 v47, 0x32a5705f, v17
	s_delay_alu instid0(VALU_DEP_3) | instskip(SKIP_1) | instid1(VALU_DEP_2)
	v_sub_f32_e32 v35, v35, v48
	v_cvt_i32_f32_e32 v48, v48
	v_add_f32_e32 v35, v35, v47
	s_waitcnt vmcnt(4)
	v_fmac_f32_e32 v7, v28, v9
	s_delay_alu instid0(VALU_DEP_2) | instskip(SKIP_2) | instid1(VALU_DEP_1)
	v_exp_f32_e32 v35, v35
	s_waitcnt_depctr 0xfff
	v_ldexp_f32 v35, v35, v48
	v_cndmask_b32_e64 v11, 0, v35, s1
	s_delay_alu instid0(VALU_DEP_1) | instskip(SKIP_1) | instid1(VALU_DEP_2)
	v_cndmask_b32_e32 v11, 0x7f800000, v11, vcc_lo
	v_cmp_nlt_f32_e32 vcc_lo, 0x42b17218, v19
	v_fmac_f32_e32 v8, v11, v18
	v_cndmask_b32_e32 v10, 0x7f800000, v10, vcc_lo
	v_mul_f32_e32 v37, 0x3fb8aa3b, v21
	s_waitcnt vmcnt(3)
	v_fmac_f32_e32 v7, v29, v11
	v_cmp_nlt_f32_e32 vcc_lo, 0x42b17218, v21
	v_cndmask_b32_e64 v11, 0, v38, s4
	v_fmac_f32_e32 v8, v10, v20
	v_fma_f32 v51, 0x3fb8aa3b, v21, -v37
	v_rndne_f32_e32 v52, v37
	s_waitcnt vmcnt(2)
	v_fmac_f32_e32 v7, v30, v10
	s_delay_alu instid0(VALU_DEP_3) | instskip(NEXT) | instid1(VALU_DEP_3)
	v_fmac_f32_e32 v51, 0x32a5705f, v21
	v_sub_f32_e32 v37, v37, v52
	v_cvt_i32_f32_e32 v52, v52
	s_delay_alu instid0(VALU_DEP_2) | instskip(NEXT) | instid1(VALU_DEP_1)
	v_add_f32_e32 v37, v37, v51
	v_exp_f32_e32 v37, v37
	s_waitcnt_depctr 0xfff
	v_ldexp_f32 v37, v37, v52
	s_delay_alu instid0(VALU_DEP_1) | instskip(NEXT) | instid1(VALU_DEP_1)
	v_cndmask_b32_e64 v9, 0, v37, s3
	v_cndmask_b32_e32 v9, 0x7f800000, v9, vcc_lo
	v_cmp_nlt_f32_e32 vcc_lo, 0x42b17218, v23
	s_delay_alu instid0(VALU_DEP_2) | instskip(SKIP_3) | instid1(VALU_DEP_1)
	v_fmac_f32_e32 v8, v9, v22
	s_waitcnt vmcnt(1)
	v_dual_cndmask_b32 v10, 0x7f800000, v11 :: v_dual_fmac_f32 v7, v2, v9
	s_waitcnt vmcnt(0)
	v_dual_fmac_f32 v8, v10, v24 :: v_dual_fmac_f32 v7, v3, v10
	s_cbranch_scc0 .LBB28_14
; %bb.15:
	s_and_b32 s0, s11, 7
	s_delay_alu instid0(SALU_CYCLE_1)
	s_cmp_eq_u32 s0, 0
	s_cbranch_scc0 .LBB28_18
	s_branch .LBB28_20
.LBB28_16:
	v_mov_b32_e32 v0, 0x7fc00000
	s_branch .LBB28_21
.LBB28_17:
	v_mov_b32_e32 v8, 0
	s_mov_b32 s12, 0
	s_and_b32 s0, s11, 7
	s_delay_alu instid0(SALU_CYCLE_1)
	s_cmp_eq_u32 s0, 0
	s_cbranch_scc1 .LBB28_20
.LBB28_18:
	v_lshl_or_b32 v0, s12, 7, v0
	v_mov_b32_e32 v1, 0
	s_lshl_b32 s1, s12, 3
	s_delay_alu instid0(SALU_CYCLE_1)
	s_add_i32 s1, s1, 0
	s_set_inst_prefetch_distance 0x1
	.p2align	6
.LBB28_19:                              ; =>This Inner Loop Header: Depth=1
	s_delay_alu instid0(VALU_DEP_1) | instskip(SKIP_2) | instid1(VALU_DEP_2)
	v_lshlrev_b64 v[2:3], 2, v[0:1]
	s_add_i32 s0, s0, -1
	v_add_nc_u32_e32 v0, 0x80, v0
	v_add_co_u32 v2, vcc_lo, s6, v2
	s_delay_alu instid0(VALU_DEP_3)
	v_add_co_ci_u32_e32 v3, vcc_lo, s7, v3, vcc_lo
	global_load_b32 v4, v[2:3], off
	v_mov_b32_e32 v2, s1
	s_add_i32 s1, s1, 8
	s_cmp_lg_u32 s0, 0
	ds_load_b64 v[2:3], v2
	s_waitcnt lgkmcnt(0)
	v_sub_f32_e32 v2, v2, v6
	s_delay_alu instid0(VALU_DEP_1) | instskip(SKIP_1) | instid1(VALU_DEP_2)
	v_mul_f32_e32 v9, 0x3fb8aa3b, v2
	v_cmp_ngt_f32_e32 vcc_lo, 0xc2ce8ed0, v2
	v_fma_f32 v10, 0x3fb8aa3b, v2, -v9
	v_rndne_f32_e32 v11, v9
	s_delay_alu instid0(VALU_DEP_1) | instskip(NEXT) | instid1(VALU_DEP_1)
	v_dual_fmac_f32 v10, 0x32a5705f, v2 :: v_dual_sub_f32 v9, v9, v11
	v_add_f32_e32 v9, v9, v10
	v_cvt_i32_f32_e32 v10, v11
	s_delay_alu instid0(VALU_DEP_2) | instskip(SKIP_2) | instid1(VALU_DEP_1)
	v_exp_f32_e32 v9, v9
	s_waitcnt_depctr 0xfff
	v_ldexp_f32 v9, v9, v10
	v_cndmask_b32_e32 v9, 0, v9, vcc_lo
	v_cmp_nlt_f32_e32 vcc_lo, 0x42b17218, v2
	s_delay_alu instid0(VALU_DEP_2) | instskip(SKIP_1) | instid1(VALU_DEP_1)
	v_cndmask_b32_e32 v2, 0x7f800000, v9, vcc_lo
	s_waitcnt vmcnt(0)
	v_dual_fmac_f32 v8, v2, v3 :: v_dual_fmac_f32 v7, v4, v2
	s_cbranch_scc1 .LBB28_19
.LBB28_20:
	s_set_inst_prefetch_distance 0x2
	s_delay_alu instid0(VALU_DEP_1) | instskip(NEXT) | instid1(VALU_DEP_1)
	v_div_scale_f32 v0, null, v8, v8, v7
	v_rcp_f32_e32 v1, v0
	s_waitcnt_depctr 0xfff
	v_fma_f32 v2, -v0, v1, 1.0
	s_delay_alu instid0(VALU_DEP_1) | instskip(SKIP_1) | instid1(VALU_DEP_1)
	v_fmac_f32_e32 v1, v2, v1
	v_div_scale_f32 v2, vcc_lo, v7, v8, v7
	v_mul_f32_e32 v3, v2, v1
	s_delay_alu instid0(VALU_DEP_1) | instskip(NEXT) | instid1(VALU_DEP_1)
	v_fma_f32 v4, -v0, v3, v2
	v_fmac_f32_e32 v3, v4, v1
	s_delay_alu instid0(VALU_DEP_1) | instskip(NEXT) | instid1(VALU_DEP_1)
	v_fma_f32 v0, -v0, v3, v2
	v_div_fmas_f32 v0, v0, v1, v3
	s_delay_alu instid0(VALU_DEP_1)
	v_div_fixup_f32 v0, v0, v8, v7
.LBB28_21:
	s_lshl_b32 s0, s10, 7
	s_delay_alu instid0(SALU_CYCLE_1) | instskip(NEXT) | instid1(SALU_CYCLE_1)
	s_ashr_i32 s1, s0, 31
	s_lshl_b64 s[0:1], s[0:1], 2
	s_delay_alu instid0(SALU_CYCLE_1)
	s_add_u32 s0, s8, s0
	s_addc_u32 s1, s9, s1
	global_store_b32 v5, v0, s[0:1]
	s_nop 0
	s_sendmsg sendmsg(MSG_DEALLOC_VGPRS)
	s_endpgm
	.section	.rodata,"a",@progbits
	.p2align	6, 0x0
	.amdhsa_kernel _ZL26flash_attn_combine_resultsILi128EEvPKfPK15HIP_vector_typeIfLj2EEPfi
		.amdhsa_group_segment_fixed_size 0
		.amdhsa_private_segment_fixed_size 0
		.amdhsa_kernarg_size 288
		.amdhsa_user_sgpr_count 13
		.amdhsa_user_sgpr_dispatch_ptr 0
		.amdhsa_user_sgpr_queue_ptr 0
		.amdhsa_user_sgpr_kernarg_segment_ptr 1
		.amdhsa_user_sgpr_dispatch_id 0
		.amdhsa_user_sgpr_private_segment_size 0
		.amdhsa_wavefront_size32 1
		.amdhsa_uses_dynamic_stack 0
		.amdhsa_enable_private_segment 0
		.amdhsa_system_sgpr_workgroup_id_x 1
		.amdhsa_system_sgpr_workgroup_id_y 1
		.amdhsa_system_sgpr_workgroup_id_z 1
		.amdhsa_system_sgpr_workgroup_info 0
		.amdhsa_system_vgpr_workitem_id 0
		.amdhsa_next_free_vgpr 55
		.amdhsa_next_free_sgpr 16
		.amdhsa_reserve_vcc 1
		.amdhsa_float_round_mode_32 0
		.amdhsa_float_round_mode_16_64 0
		.amdhsa_float_denorm_mode_32 3
		.amdhsa_float_denorm_mode_16_64 3
		.amdhsa_dx10_clamp 1
		.amdhsa_ieee_mode 1
		.amdhsa_fp16_overflow 0
		.amdhsa_workgroup_processor_mode 1
		.amdhsa_memory_ordered 1
		.amdhsa_forward_progress 0
		.amdhsa_shared_vgpr_count 0
		.amdhsa_exception_fp_ieee_invalid_op 0
		.amdhsa_exception_fp_denorm_src 0
		.amdhsa_exception_fp_ieee_div_zero 0
		.amdhsa_exception_fp_ieee_overflow 0
		.amdhsa_exception_fp_ieee_underflow 0
		.amdhsa_exception_fp_ieee_inexact 0
		.amdhsa_exception_int_div_zero 0
	.end_amdhsa_kernel
	.section	.text._ZL26flash_attn_combine_resultsILi128EEvPKfPK15HIP_vector_typeIfLj2EEPfi,"axG",@progbits,_ZL26flash_attn_combine_resultsILi128EEvPKfPK15HIP_vector_typeIfLj2EEPfi,comdat
.Lfunc_end28:
	.size	_ZL26flash_attn_combine_resultsILi128EEvPKfPK15HIP_vector_typeIfLj2EEPfi, .Lfunc_end28-_ZL26flash_attn_combine_resultsILi128EEvPKfPK15HIP_vector_typeIfLj2EEPfi
                                        ; -- End function
	.section	.AMDGPU.csdata,"",@progbits
; Kernel info:
; codeLenInByte = 2352
; NumSgprs: 18
; NumVgprs: 55
; ScratchSize: 0
; MemoryBound: 0
; FloatMode: 240
; IeeeMode: 1
; LDSByteSize: 0 bytes/workgroup (compile time only)
; SGPRBlocks: 2
; VGPRBlocks: 6
; NumSGPRsForWavesPerEU: 18
; NumVGPRsForWavesPerEU: 55
; Occupancy: 16
; WaveLimiterHint : 0
; COMPUTE_PGM_RSRC2:SCRATCH_EN: 0
; COMPUTE_PGM_RSRC2:USER_SGPR: 13
; COMPUTE_PGM_RSRC2:TRAP_HANDLER: 0
; COMPUTE_PGM_RSRC2:TGID_X_EN: 1
; COMPUTE_PGM_RSRC2:TGID_Y_EN: 1
; COMPUTE_PGM_RSRC2:TGID_Z_EN: 1
; COMPUTE_PGM_RSRC2:TIDIG_COMP_CNT: 0
	.section	.text._ZL18flash_attn_ext_f16ILi256ELi256ELi16ELi4ELb0ELb0EEvPKcS1_S1_S1_S1_PKiPfP15HIP_vector_typeIfLj2EEffffjfiS5_IjLj3EEiiiiiiiiiiiliiliiiiil,"axG",@progbits,_ZL18flash_attn_ext_f16ILi256ELi256ELi16ELi4ELb0ELb0EEvPKcS1_S1_S1_S1_PKiPfP15HIP_vector_typeIfLj2EEffffjfiS5_IjLj3EEiiiiiiiiiiiliiliiiiil,comdat
	.globl	_ZL18flash_attn_ext_f16ILi256ELi256ELi16ELi4ELb0ELb0EEvPKcS1_S1_S1_S1_PKiPfP15HIP_vector_typeIfLj2EEffffjfiS5_IjLj3EEiiiiiiiiiiiliiliiiiil ; -- Begin function _ZL18flash_attn_ext_f16ILi256ELi256ELi16ELi4ELb0ELb0EEvPKcS1_S1_S1_S1_PKiPfP15HIP_vector_typeIfLj2EEffffjfiS5_IjLj3EEiiiiiiiiiiiliiliiiiil
	.p2align	8
	.type	_ZL18flash_attn_ext_f16ILi256ELi256ELi16ELi4ELb0ELb0EEvPKcS1_S1_S1_S1_PKiPfP15HIP_vector_typeIfLj2EEffffjfiS5_IjLj3EEiiiiiiiiiiiliiliiiiil,@function
_ZL18flash_attn_ext_f16ILi256ELi256ELi16ELi4ELb0ELb0EEvPKcS1_S1_S1_S1_PKiPfP15HIP_vector_typeIfLj2EEffffjfiS5_IjLj3EEiiiiiiiiiiiliiliiiiil: ; @_ZL18flash_attn_ext_f16ILi256ELi256ELi16ELi4ELb0ELb0EEvPKcS1_S1_S1_S1_PKiPfP15HIP_vector_typeIfLj2EEffffjfiS5_IjLj3EEiiiiiiiiiiiliiliiiiil
; %bb.0:
	v_mov_b32_e32 v0, 0x6e3
	s_add_u32 s8, s0, 0xd0
	s_addc_u32 s9, s1, 0
	s_mov_b32 s32, 0
	s_getpc_b64 s[0:1]
	s_add_u32 s0, s0, _ZL14no_device_codePKciS0_iS0_@rel32@lo+4
	s_addc_u32 s1, s1, _ZL14no_device_codePKciS0_iS0_@rel32@hi+12
	s_delay_alu instid0(SALU_CYCLE_1)
	s_swappc_b64 s[30:31], s[0:1]
	.section	.rodata,"a",@progbits
	.p2align	6, 0x0
	.amdhsa_kernel _ZL18flash_attn_ext_f16ILi256ELi256ELi16ELi4ELb0ELb0EEvPKcS1_S1_S1_S1_PKiPfP15HIP_vector_typeIfLj2EEffffjfiS5_IjLj3EEiiiiiiiiiiiliiliiiiil
		.amdhsa_group_segment_fixed_size 0
		.amdhsa_private_segment_fixed_size 16
		.amdhsa_kernarg_size 464
		.amdhsa_user_sgpr_count 15
		.amdhsa_user_sgpr_dispatch_ptr 0
		.amdhsa_user_sgpr_queue_ptr 0
		.amdhsa_user_sgpr_kernarg_segment_ptr 1
		.amdhsa_user_sgpr_dispatch_id 0
		.amdhsa_user_sgpr_private_segment_size 0
		.amdhsa_wavefront_size32 1
		.amdhsa_uses_dynamic_stack 0
		.amdhsa_enable_private_segment 1
		.amdhsa_system_sgpr_workgroup_id_x 1
		.amdhsa_system_sgpr_workgroup_id_y 0
		.amdhsa_system_sgpr_workgroup_id_z 0
		.amdhsa_system_sgpr_workgroup_info 0
		.amdhsa_system_vgpr_workitem_id 0
		.amdhsa_next_free_vgpr 37
		.amdhsa_next_free_sgpr 34
		.amdhsa_reserve_vcc 1
		.amdhsa_float_round_mode_32 0
		.amdhsa_float_round_mode_16_64 0
		.amdhsa_float_denorm_mode_32 3
		.amdhsa_float_denorm_mode_16_64 3
		.amdhsa_dx10_clamp 1
		.amdhsa_ieee_mode 1
		.amdhsa_fp16_overflow 0
		.amdhsa_workgroup_processor_mode 1
		.amdhsa_memory_ordered 1
		.amdhsa_forward_progress 0
		.amdhsa_shared_vgpr_count 0
		.amdhsa_exception_fp_ieee_invalid_op 0
		.amdhsa_exception_fp_denorm_src 0
		.amdhsa_exception_fp_ieee_div_zero 0
		.amdhsa_exception_fp_ieee_overflow 0
		.amdhsa_exception_fp_ieee_underflow 0
		.amdhsa_exception_fp_ieee_inexact 0
		.amdhsa_exception_int_div_zero 0
	.end_amdhsa_kernel
	.section	.text._ZL18flash_attn_ext_f16ILi256ELi256ELi16ELi4ELb0ELb0EEvPKcS1_S1_S1_S1_PKiPfP15HIP_vector_typeIfLj2EEffffjfiS5_IjLj3EEiiiiiiiiiiiliiliiiiil,"axG",@progbits,_ZL18flash_attn_ext_f16ILi256ELi256ELi16ELi4ELb0ELb0EEvPKcS1_S1_S1_S1_PKiPfP15HIP_vector_typeIfLj2EEffffjfiS5_IjLj3EEiiiiiiiiiiiliiliiiiil,comdat
.Lfunc_end29:
	.size	_ZL18flash_attn_ext_f16ILi256ELi256ELi16ELi4ELb0ELb0EEvPKcS1_S1_S1_S1_PKiPfP15HIP_vector_typeIfLj2EEffffjfiS5_IjLj3EEiiiiiiiiiiiliiliiiiil, .Lfunc_end29-_ZL18flash_attn_ext_f16ILi256ELi256ELi16ELi4ELb0ELb0EEvPKcS1_S1_S1_S1_PKiPfP15HIP_vector_typeIfLj2EEffffjfiS5_IjLj3EEiiiiiiiiiiiliiliiiiil
                                        ; -- End function
	.section	.AMDGPU.csdata,"",@progbits
; Kernel info:
; codeLenInByte = 52
; NumSgprs: 36
; NumVgprs: 37
; ScratchSize: 16
; MemoryBound: 0
; FloatMode: 240
; IeeeMode: 1
; LDSByteSize: 0 bytes/workgroup (compile time only)
; SGPRBlocks: 4
; VGPRBlocks: 4
; NumSGPRsForWavesPerEU: 36
; NumVGPRsForWavesPerEU: 37
; Occupancy: 16
; WaveLimiterHint : 1
; COMPUTE_PGM_RSRC2:SCRATCH_EN: 1
; COMPUTE_PGM_RSRC2:USER_SGPR: 15
; COMPUTE_PGM_RSRC2:TRAP_HANDLER: 0
; COMPUTE_PGM_RSRC2:TGID_X_EN: 1
; COMPUTE_PGM_RSRC2:TGID_Y_EN: 0
; COMPUTE_PGM_RSRC2:TGID_Z_EN: 0
; COMPUTE_PGM_RSRC2:TIDIG_COMP_CNT: 0
	.section	.text._ZL18flash_attn_ext_f16ILi256ELi256ELi16ELi4ELb1ELb0EEvPKcS1_S1_S1_S1_PKiPfP15HIP_vector_typeIfLj2EEffffjfiS5_IjLj3EEiiiiiiiiiiiliiliiiiil,"axG",@progbits,_ZL18flash_attn_ext_f16ILi256ELi256ELi16ELi4ELb1ELb0EEvPKcS1_S1_S1_S1_PKiPfP15HIP_vector_typeIfLj2EEffffjfiS5_IjLj3EEiiiiiiiiiiiliiliiiiil,comdat
	.globl	_ZL18flash_attn_ext_f16ILi256ELi256ELi16ELi4ELb1ELb0EEvPKcS1_S1_S1_S1_PKiPfP15HIP_vector_typeIfLj2EEffffjfiS5_IjLj3EEiiiiiiiiiiiliiliiiiil ; -- Begin function _ZL18flash_attn_ext_f16ILi256ELi256ELi16ELi4ELb1ELb0EEvPKcS1_S1_S1_S1_PKiPfP15HIP_vector_typeIfLj2EEffffjfiS5_IjLj3EEiiiiiiiiiiiliiliiiiil
	.p2align	8
	.type	_ZL18flash_attn_ext_f16ILi256ELi256ELi16ELi4ELb1ELb0EEvPKcS1_S1_S1_S1_PKiPfP15HIP_vector_typeIfLj2EEffffjfiS5_IjLj3EEiiiiiiiiiiiliiliiiiil,@function
_ZL18flash_attn_ext_f16ILi256ELi256ELi16ELi4ELb1ELb0EEvPKcS1_S1_S1_S1_PKiPfP15HIP_vector_typeIfLj2EEffffjfiS5_IjLj3EEiiiiiiiiiiiliiliiiiil: ; @_ZL18flash_attn_ext_f16ILi256ELi256ELi16ELi4ELb1ELb0EEvPKcS1_S1_S1_S1_PKiPfP15HIP_vector_typeIfLj2EEffffjfiS5_IjLj3EEiiiiiiiiiiiliiliiiiil
; %bb.0:
	v_mov_b32_e32 v0, 0x6e3
	s_add_u32 s8, s0, 0xd0
	s_addc_u32 s9, s1, 0
	s_mov_b32 s32, 0
	s_getpc_b64 s[0:1]
	s_add_u32 s0, s0, _ZL14no_device_codePKciS0_iS0_@rel32@lo+4
	s_addc_u32 s1, s1, _ZL14no_device_codePKciS0_iS0_@rel32@hi+12
	s_delay_alu instid0(SALU_CYCLE_1)
	s_swappc_b64 s[30:31], s[0:1]
	.section	.rodata,"a",@progbits
	.p2align	6, 0x0
	.amdhsa_kernel _ZL18flash_attn_ext_f16ILi256ELi256ELi16ELi4ELb1ELb0EEvPKcS1_S1_S1_S1_PKiPfP15HIP_vector_typeIfLj2EEffffjfiS5_IjLj3EEiiiiiiiiiiiliiliiiiil
		.amdhsa_group_segment_fixed_size 0
		.amdhsa_private_segment_fixed_size 16
		.amdhsa_kernarg_size 464
		.amdhsa_user_sgpr_count 15
		.amdhsa_user_sgpr_dispatch_ptr 0
		.amdhsa_user_sgpr_queue_ptr 0
		.amdhsa_user_sgpr_kernarg_segment_ptr 1
		.amdhsa_user_sgpr_dispatch_id 0
		.amdhsa_user_sgpr_private_segment_size 0
		.amdhsa_wavefront_size32 1
		.amdhsa_uses_dynamic_stack 0
		.amdhsa_enable_private_segment 1
		.amdhsa_system_sgpr_workgroup_id_x 1
		.amdhsa_system_sgpr_workgroup_id_y 0
		.amdhsa_system_sgpr_workgroup_id_z 0
		.amdhsa_system_sgpr_workgroup_info 0
		.amdhsa_system_vgpr_workitem_id 0
		.amdhsa_next_free_vgpr 37
		.amdhsa_next_free_sgpr 34
		.amdhsa_reserve_vcc 1
		.amdhsa_float_round_mode_32 0
		.amdhsa_float_round_mode_16_64 0
		.amdhsa_float_denorm_mode_32 3
		.amdhsa_float_denorm_mode_16_64 3
		.amdhsa_dx10_clamp 1
		.amdhsa_ieee_mode 1
		.amdhsa_fp16_overflow 0
		.amdhsa_workgroup_processor_mode 1
		.amdhsa_memory_ordered 1
		.amdhsa_forward_progress 0
		.amdhsa_shared_vgpr_count 0
		.amdhsa_exception_fp_ieee_invalid_op 0
		.amdhsa_exception_fp_denorm_src 0
		.amdhsa_exception_fp_ieee_div_zero 0
		.amdhsa_exception_fp_ieee_overflow 0
		.amdhsa_exception_fp_ieee_underflow 0
		.amdhsa_exception_fp_ieee_inexact 0
		.amdhsa_exception_int_div_zero 0
	.end_amdhsa_kernel
	.section	.text._ZL18flash_attn_ext_f16ILi256ELi256ELi16ELi4ELb1ELb0EEvPKcS1_S1_S1_S1_PKiPfP15HIP_vector_typeIfLj2EEffffjfiS5_IjLj3EEiiiiiiiiiiiliiliiiiil,"axG",@progbits,_ZL18flash_attn_ext_f16ILi256ELi256ELi16ELi4ELb1ELb0EEvPKcS1_S1_S1_S1_PKiPfP15HIP_vector_typeIfLj2EEffffjfiS5_IjLj3EEiiiiiiiiiiiliiliiiiil,comdat
.Lfunc_end30:
	.size	_ZL18flash_attn_ext_f16ILi256ELi256ELi16ELi4ELb1ELb0EEvPKcS1_S1_S1_S1_PKiPfP15HIP_vector_typeIfLj2EEffffjfiS5_IjLj3EEiiiiiiiiiiiliiliiiiil, .Lfunc_end30-_ZL18flash_attn_ext_f16ILi256ELi256ELi16ELi4ELb1ELb0EEvPKcS1_S1_S1_S1_PKiPfP15HIP_vector_typeIfLj2EEffffjfiS5_IjLj3EEiiiiiiiiiiiliiliiiiil
                                        ; -- End function
	.section	.AMDGPU.csdata,"",@progbits
; Kernel info:
; codeLenInByte = 52
; NumSgprs: 36
; NumVgprs: 37
; ScratchSize: 16
; MemoryBound: 0
; FloatMode: 240
; IeeeMode: 1
; LDSByteSize: 0 bytes/workgroup (compile time only)
; SGPRBlocks: 4
; VGPRBlocks: 4
; NumSGPRsForWavesPerEU: 36
; NumVGPRsForWavesPerEU: 37
; Occupancy: 16
; WaveLimiterHint : 1
; COMPUTE_PGM_RSRC2:SCRATCH_EN: 1
; COMPUTE_PGM_RSRC2:USER_SGPR: 15
; COMPUTE_PGM_RSRC2:TRAP_HANDLER: 0
; COMPUTE_PGM_RSRC2:TGID_X_EN: 1
; COMPUTE_PGM_RSRC2:TGID_Y_EN: 0
; COMPUTE_PGM_RSRC2:TGID_Z_EN: 0
; COMPUTE_PGM_RSRC2:TIDIG_COMP_CNT: 0
	.section	.text._ZL33flash_attn_stream_k_fixup_uniformILi256ELi16ELi4EEvPfPK15HIP_vector_typeIfLj2EEiiiiiiS1_IjLj3EES5_S5_,"axG",@progbits,_ZL33flash_attn_stream_k_fixup_uniformILi256ELi16ELi4EEvPfPK15HIP_vector_typeIfLj2EEiiiiiiS1_IjLj3EES5_S5_,comdat
	.globl	_ZL33flash_attn_stream_k_fixup_uniformILi256ELi16ELi4EEvPfPK15HIP_vector_typeIfLj2EEiiiiiiS1_IjLj3EES5_S5_ ; -- Begin function _ZL33flash_attn_stream_k_fixup_uniformILi256ELi16ELi4EEvPfPK15HIP_vector_typeIfLj2EEiiiiiiS1_IjLj3EES5_S5_
	.p2align	8
	.type	_ZL33flash_attn_stream_k_fixup_uniformILi256ELi16ELi4EEvPfPK15HIP_vector_typeIfLj2EEiiiiiiS1_IjLj3EES5_S5_,@function
_ZL33flash_attn_stream_k_fixup_uniformILi256ELi16ELi4EEvPfPK15HIP_vector_typeIfLj2EEiiiiiiS1_IjLj3EES5_S5_: ; @_ZL33flash_attn_stream_k_fixup_uniformILi256ELi16ELi4EEvPfPK15HIP_vector_typeIfLj2EEiiiiiiS1_IjLj3EES5_S5_
; %bb.0:
	s_clause 0x1
	s_load_b256 s[4:11], s[0:1], 0x1c
	s_load_b128 s[16:19], s[0:1], 0x3c
	s_waitcnt lgkmcnt(0)
	s_mul_hi_u32 s2, s7, s13
	s_delay_alu instid0(SALU_CYCLE_1) | instskip(NEXT) | instid1(SALU_CYCLE_1)
	s_add_i32 s2, s13, s2
	s_lshr_b32 s2, s2, s8
	s_delay_alu instid0(SALU_CYCLE_1) | instskip(SKIP_2) | instid1(SALU_CYCLE_1)
	s_mul_i32 s3, s2, s9
	s_load_b64 s[8:9], s[0:1], 0x10
	s_sub_i32 s7, s13, s3
	s_mul_hi_u32 s3, s7, s10
	s_delay_alu instid0(SALU_CYCLE_1) | instskip(NEXT) | instid1(SALU_CYCLE_1)
	s_add_i32 s3, s7, s3
	s_lshr_b32 s3, s3, s11
	s_delay_alu instid0(SALU_CYCLE_1) | instskip(NEXT) | instid1(SALU_CYCLE_1)
	s_mul_i32 s10, s3, s16
	s_sub_i32 s7, s7, s10
	s_delay_alu instid0(SALU_CYCLE_1) | instskip(NEXT) | instid1(SALU_CYCLE_1)
	s_mul_hi_u32 s10, s7, s17
	s_add_i32 s10, s7, s10
	s_delay_alu instid0(SALU_CYCLE_1) | instskip(NEXT) | instid1(SALU_CYCLE_1)
	s_lshr_b32 s10, s10, s18
	s_mul_i32 s11, s10, s19
	s_lshl_b32 s10, s10, 2
	s_sub_i32 s7, s7, s11
	s_delay_alu instid0(SALU_CYCLE_1) | instskip(NEXT) | instid1(SALU_CYCLE_1)
	s_lshl_b32 s11, s7, 4
	s_add_i32 s11, s11, s14
	s_waitcnt lgkmcnt(0)
	s_cmp_lt_i32 s11, s8
	s_cselect_b32 s11, -1, 0
	s_add_i32 s12, s10, s15
	s_delay_alu instid0(SALU_CYCLE_1) | instskip(SKIP_1) | instid1(SALU_CYCLE_1)
	s_cmp_lt_i32 s12, s5
	s_cselect_b32 s12, -1, 0
	s_and_b32 s11, s11, s12
	s_delay_alu instid0(SALU_CYCLE_1)
	s_and_not1_b32 vcc_lo, exec_lo, s11
	s_cbranch_vccnz .LBB31_6
; %bb.1:
	s_mul_i32 s2, s2, s8
	s_mul_i32 s5, s3, s5
	s_add_i32 s2, s2, s14
	s_mul_i32 s7, s9, s7
	s_mul_i32 s2, s2, s9
	s_lshl_b32 s7, s7, 12
	s_add_i32 s8, s2, s15
	s_load_b128 s[0:3], s[0:1], 0x0
	s_add_i32 s5, s8, s5
	s_lshl_b32 s9, s14, 2
	s_add_i32 s5, s5, s10
	s_delay_alu instid0(SALU_CYCLE_1) | instskip(NEXT) | instid1(SALU_CYCLE_1)
	s_lshl_b32 s5, s5, 8
	s_add_i32 s7, s7, s5
	s_mul_i32 s5, s13, s6
	v_or_b32_e32 v1, s7, v0
	s_add_i32 s10, s5, s6
	s_delay_alu instid0(VALU_DEP_1) | instskip(NEXT) | instid1(VALU_DEP_1)
	v_ashrrev_i32_e32 v2, 31, v1
	v_lshlrev_b64 v[1:2], 2, v[1:2]
	s_waitcnt lgkmcnt(0)
	s_delay_alu instid0(VALU_DEP_1) | instskip(NEXT) | instid1(VALU_DEP_2)
	v_add_co_u32 v1, vcc_lo, s0, v1
	v_add_co_ci_u32_e32 v2, vcc_lo, s1, v2, vcc_lo
	s_add_i32 s0, s9, s15
	s_lshl_b32 s1, s10, 6
	s_delay_alu instid0(SALU_CYCLE_1) | instskip(SKIP_2) | instid1(SALU_CYCLE_1)
	s_add_i32 s0, s0, s1
	global_load_b32 v5, v[1:2], off
	s_sub_i32 s0, s0, 64
	s_ashr_i32 s1, s0, 31
	s_delay_alu instid0(SALU_CYCLE_1) | instskip(NEXT) | instid1(SALU_CYCLE_1)
	s_lshl_b64 s[0:1], s[0:1], 3
	s_add_u32 s0, s2, s0
	s_addc_u32 s1, s3, s1
	s_add_i32 s7, s10, -2
	s_load_b32 s11, s[0:1], 0x4
	s_cmp_lt_i32 s7, s5
	s_cbranch_scc1 .LBB31_4
; %bb.2:
	s_lshl_b32 s16, s4, 8
	s_load_b32 s12, s[0:1], 0x0
	s_ashr_i32 s17, s16, 31
	s_delay_alu instid0(SALU_CYCLE_1) | instskip(NEXT) | instid1(SALU_CYCLE_1)
	s_lshl_b64 s[0:1], s[16:17], 2
	s_add_u32 s7, s2, s0
	s_addc_u32 s8, s3, s1
	s_add_i32 s13, s13, 1
	s_lshl_b32 s0, s14, 10
	s_lshl_b32 s1, s15, 8
	s_mul_i32 s6, s6, s13
	s_add_i32 s0, s1, s0
	s_lshl_b32 s1, s6, 14
	s_delay_alu instid0(SALU_CYCLE_1)
	s_add_i32 s0, s0, s1
	s_lshl_b32 s1, s6, 6
	v_or_b32_e32 v0, s0, v0
	s_lshl_b32 s0, s4, 6
	s_add_i32 s1, s15, s1
	s_waitcnt lgkmcnt(0)
	v_mov_b32_e32 v6, s11
	s_add_i32 s0, s1, s0
	v_dual_mov_b32 v0, s12 :: v_dual_add_nc_u32 v3, 0xffff8000, v0
	s_add_i32 s0, s0, s9
	s_add_i32 s4, s10, -1
	s_addk_i32 s0, 0xff80
.LBB31_3:                               ; =>This Inner Loop Header: Depth=1
	s_delay_alu instid0(VALU_DEP_1) | instskip(SKIP_1) | instid1(SALU_CYCLE_1)
	v_ashrrev_i32_e32 v4, 31, v3
	s_ashr_i32 s1, s0, 31
	s_lshl_b64 s[10:11], s[0:1], 3
	s_delay_alu instid0(SALU_CYCLE_1) | instskip(NEXT) | instid1(VALU_DEP_1)
	s_add_u32 s10, s2, s10
	v_lshlrev_b64 v[7:8], 2, v[3:4]
	s_addc_u32 s11, s3, s11
	s_add_i32 s4, s4, -1
	s_sub_i32 s0, s0, 64
	s_cmp_le_i32 s4, s5
	s_load_b64 s[10:11], s[10:11], 0x0
	v_add_co_u32 v7, vcc_lo, s7, v7
	v_add_co_ci_u32_e32 v8, vcc_lo, s8, v8, vcc_lo
	global_load_b32 v4, v[7:8], off
	v_max_f32_e32 v7, v0, v0
	s_waitcnt lgkmcnt(0)
	v_max_f32_e64 v8, s10, s10
	s_delay_alu instid0(VALU_DEP_1) | instskip(NEXT) | instid1(VALU_DEP_1)
	v_max_f32_e32 v7, v7, v8
	v_sub_f32_e32 v8, s10, v7
	s_delay_alu instid0(VALU_DEP_1) | instskip(NEXT) | instid1(VALU_DEP_1)
	v_dual_sub_f32 v0, v0, v7 :: v_dual_mul_f32 v9, 0x3fb8aa3b, v8
	v_fma_f32 v10, 0x3fb8aa3b, v8, -v9
	v_rndne_f32_e32 v11, v9
	s_delay_alu instid0(VALU_DEP_3) | instskip(NEXT) | instid1(VALU_DEP_2)
	v_mul_f32_e32 v12, 0x3fb8aa3b, v0
	v_dual_fmac_f32 v10, 0x32a5705f, v8 :: v_dual_sub_f32 v9, v9, v11
	v_cvt_i32_f32_e32 v11, v11
	s_delay_alu instid0(VALU_DEP_3) | instskip(SKIP_1) | instid1(VALU_DEP_4)
	v_fma_f32 v13, 0x3fb8aa3b, v0, -v12
	v_rndne_f32_e32 v14, v12
	v_add_f32_e32 v9, v9, v10
	v_cmp_ngt_f32_e32 vcc_lo, 0xc2ce8ed0, v8
	s_delay_alu instid0(VALU_DEP_3) | instskip(NEXT) | instid1(VALU_DEP_3)
	v_sub_f32_e32 v10, v12, v14
	v_exp_f32_e32 v9, v9
	s_waitcnt_depctr 0xfff
	v_ldexp_f32 v9, v9, v11
	v_cvt_i32_f32_e32 v11, v14
	s_delay_alu instid0(VALU_DEP_2) | instskip(SKIP_1) | instid1(VALU_DEP_2)
	v_cndmask_b32_e32 v9, 0, v9, vcc_lo
	v_cmp_nlt_f32_e32 vcc_lo, 0x42b17218, v8
	v_cndmask_b32_e32 v9, 0x7f800000, v9, vcc_lo
	v_cmp_ngt_f32_e32 vcc_lo, 0xc2ce8ed0, v0
	v_fmac_f32_e32 v13, 0x32a5705f, v0
	s_delay_alu instid0(VALU_DEP_1) | instskip(NEXT) | instid1(VALU_DEP_1)
	v_add_f32_e32 v10, v10, v13
	v_exp_f32_e32 v10, v10
	s_waitcnt_depctr 0xfff
	v_ldexp_f32 v10, v10, v11
	s_delay_alu instid0(VALU_DEP_1)
	v_dual_mov_b32 v11, v6 :: v_dual_cndmask_b32 v10, 0, v10
	v_cmp_le_f32_e32 vcc_lo, 0xc1a00000, v8
	s_waitcnt vmcnt(1)
	v_dual_cndmask_b32 v8, 0, v9 :: v_dual_mov_b32 v9, v5
	v_cmp_nlt_f32_e32 vcc_lo, 0x42b17218, v0
	v_cndmask_b32_e32 v5, 0x7f800000, v10, vcc_lo
	s_delay_alu instid0(VALU_DEP_3) | instskip(SKIP_2) | instid1(VALU_DEP_3)
	v_mul_f32_e32 v10, s11, v8
	v_cmp_le_f32_e32 vcc_lo, 0xc1a00000, v0
	v_mov_b32_e32 v0, v7
	v_mov_b32_e32 v6, v10
	s_waitcnt vmcnt(0)
	v_dual_cndmask_b32 v12, 0, v5 :: v_dual_mul_f32 v5, v4, v8
	s_delay_alu instid0(VALU_DEP_1) | instskip(NEXT) | instid1(VALU_DEP_2)
	v_dual_fmac_f32 v6, v11, v12 :: v_dual_add_nc_u32 v3, 0xffffc000, v3
	v_fmac_f32_e32 v5, v9, v12
	s_cbranch_scc0 .LBB31_3
	s_branch .LBB31_5
.LBB31_4:
	s_waitcnt lgkmcnt(0)
	v_mov_b32_e32 v6, s11
.LBB31_5:
	s_waitcnt vmcnt(0)
	s_delay_alu instid0(VALU_DEP_1) | instskip(NEXT) | instid1(VALU_DEP_1)
	v_div_scale_f32 v0, null, v6, v6, v5
	v_rcp_f32_e32 v3, v0
	s_waitcnt_depctr 0xfff
	v_fma_f32 v4, -v0, v3, 1.0
	s_delay_alu instid0(VALU_DEP_1) | instskip(SKIP_1) | instid1(VALU_DEP_1)
	v_fmac_f32_e32 v3, v4, v3
	v_div_scale_f32 v4, vcc_lo, v5, v6, v5
	v_mul_f32_e32 v7, v4, v3
	s_delay_alu instid0(VALU_DEP_1) | instskip(NEXT) | instid1(VALU_DEP_1)
	v_fma_f32 v8, -v0, v7, v4
	v_fmac_f32_e32 v7, v8, v3
	s_delay_alu instid0(VALU_DEP_1) | instskip(NEXT) | instid1(VALU_DEP_1)
	v_fma_f32 v0, -v0, v7, v4
	v_div_fmas_f32 v0, v0, v3, v7
	s_delay_alu instid0(VALU_DEP_1)
	v_div_fixup_f32 v0, v0, v6, v5
	global_store_b32 v[1:2], v0, off
.LBB31_6:
	s_nop 0
	s_sendmsg sendmsg(MSG_DEALLOC_VGPRS)
	s_endpgm
	.section	.rodata,"a",@progbits
	.p2align	6, 0x0
	.amdhsa_kernel _ZL33flash_attn_stream_k_fixup_uniformILi256ELi16ELi4EEvPfPK15HIP_vector_typeIfLj2EEiiiiiiS1_IjLj3EES5_S5_
		.amdhsa_group_segment_fixed_size 0
		.amdhsa_private_segment_fixed_size 0
		.amdhsa_kernarg_size 76
		.amdhsa_user_sgpr_count 13
		.amdhsa_user_sgpr_dispatch_ptr 0
		.amdhsa_user_sgpr_queue_ptr 0
		.amdhsa_user_sgpr_kernarg_segment_ptr 1
		.amdhsa_user_sgpr_dispatch_id 0
		.amdhsa_user_sgpr_private_segment_size 0
		.amdhsa_wavefront_size32 1
		.amdhsa_uses_dynamic_stack 0
		.amdhsa_enable_private_segment 0
		.amdhsa_system_sgpr_workgroup_id_x 1
		.amdhsa_system_sgpr_workgroup_id_y 1
		.amdhsa_system_sgpr_workgroup_id_z 1
		.amdhsa_system_sgpr_workgroup_info 0
		.amdhsa_system_vgpr_workitem_id 0
		.amdhsa_next_free_vgpr 15
		.amdhsa_next_free_sgpr 20
		.amdhsa_reserve_vcc 1
		.amdhsa_float_round_mode_32 0
		.amdhsa_float_round_mode_16_64 0
		.amdhsa_float_denorm_mode_32 3
		.amdhsa_float_denorm_mode_16_64 3
		.amdhsa_dx10_clamp 1
		.amdhsa_ieee_mode 1
		.amdhsa_fp16_overflow 0
		.amdhsa_workgroup_processor_mode 1
		.amdhsa_memory_ordered 1
		.amdhsa_forward_progress 0
		.amdhsa_shared_vgpr_count 0
		.amdhsa_exception_fp_ieee_invalid_op 0
		.amdhsa_exception_fp_denorm_src 0
		.amdhsa_exception_fp_ieee_div_zero 0
		.amdhsa_exception_fp_ieee_overflow 0
		.amdhsa_exception_fp_ieee_underflow 0
		.amdhsa_exception_fp_ieee_inexact 0
		.amdhsa_exception_int_div_zero 0
	.end_amdhsa_kernel
	.section	.text._ZL33flash_attn_stream_k_fixup_uniformILi256ELi16ELi4EEvPfPK15HIP_vector_typeIfLj2EEiiiiiiS1_IjLj3EES5_S5_,"axG",@progbits,_ZL33flash_attn_stream_k_fixup_uniformILi256ELi16ELi4EEvPfPK15HIP_vector_typeIfLj2EEiiiiiiS1_IjLj3EES5_S5_,comdat
.Lfunc_end31:
	.size	_ZL33flash_attn_stream_k_fixup_uniformILi256ELi16ELi4EEvPfPK15HIP_vector_typeIfLj2EEiiiiiiS1_IjLj3EES5_S5_, .Lfunc_end31-_ZL33flash_attn_stream_k_fixup_uniformILi256ELi16ELi4EEvPfPK15HIP_vector_typeIfLj2EEiiiiiiS1_IjLj3EES5_S5_
                                        ; -- End function
	.section	.AMDGPU.csdata,"",@progbits
; Kernel info:
; codeLenInByte = 996
; NumSgprs: 22
; NumVgprs: 15
; ScratchSize: 0
; MemoryBound: 0
; FloatMode: 240
; IeeeMode: 1
; LDSByteSize: 0 bytes/workgroup (compile time only)
; SGPRBlocks: 2
; VGPRBlocks: 1
; NumSGPRsForWavesPerEU: 22
; NumVGPRsForWavesPerEU: 15
; Occupancy: 16
; WaveLimiterHint : 0
; COMPUTE_PGM_RSRC2:SCRATCH_EN: 0
; COMPUTE_PGM_RSRC2:USER_SGPR: 13
; COMPUTE_PGM_RSRC2:TRAP_HANDLER: 0
; COMPUTE_PGM_RSRC2:TGID_X_EN: 1
; COMPUTE_PGM_RSRC2:TGID_Y_EN: 1
; COMPUTE_PGM_RSRC2:TGID_Z_EN: 1
; COMPUTE_PGM_RSRC2:TIDIG_COMP_CNT: 0
	.section	.text._ZL33flash_attn_stream_k_fixup_generalILi256ELi16ELi4EEvPfPK15HIP_vector_typeIfLj2EEiiiiS1_IjLj3EES5_S5_S5_,"axG",@progbits,_ZL33flash_attn_stream_k_fixup_generalILi256ELi16ELi4EEvPfPK15HIP_vector_typeIfLj2EEiiiiS1_IjLj3EES5_S5_S5_,comdat
	.globl	_ZL33flash_attn_stream_k_fixup_generalILi256ELi16ELi4EEvPfPK15HIP_vector_typeIfLj2EEiiiiS1_IjLj3EES5_S5_S5_ ; -- Begin function _ZL33flash_attn_stream_k_fixup_generalILi256ELi16ELi4EEvPfPK15HIP_vector_typeIfLj2EEiiiiS1_IjLj3EES5_S5_S5_
	.p2align	8
	.type	_ZL33flash_attn_stream_k_fixup_generalILi256ELi16ELi4EEvPfPK15HIP_vector_typeIfLj2EEiiiiS1_IjLj3EES5_S5_S5_,@function
_ZL33flash_attn_stream_k_fixup_generalILi256ELi16ELi4EEvPfPK15HIP_vector_typeIfLj2EEiiiiS1_IjLj3EES5_S5_S5_: ; @_ZL33flash_attn_stream_k_fixup_generalILi256ELi16ELi4EEvPfPK15HIP_vector_typeIfLj2EEiiiiS1_IjLj3EES5_S5_S5_
; %bb.0:
	s_clause 0x1
	s_load_b128 s[4:7], s[0:1], 0x10
	s_load_b32 s20, s[0:1], 0x50
	s_mov_b32 s2, 0
	s_waitcnt lgkmcnt(0)
	s_mul_hi_i32 s3, s7, s13
	s_mul_i32 s12, s7, s13
	s_cmp_lg_u64 s[2:3], 0
	s_cbranch_scc0 .LBB32_21
; %bb.1:
	v_cvt_f32_ubyte0_e32 v1, 0
	v_cvt_f32_u32_e32 v2, s20
	s_sub_u32 s10, 0, s20
	s_subb_u32 s11, 0, 0
	s_delay_alu instid0(VALU_DEP_1) | instskip(NEXT) | instid1(VALU_DEP_1)
	v_fmamk_f32 v1, v1, 0x4f800000, v2
	v_rcp_f32_e32 v1, v1
	s_waitcnt_depctr 0xfff
	v_mul_f32_e32 v1, 0x5f7ffffc, v1
	s_delay_alu instid0(VALU_DEP_1) | instskip(NEXT) | instid1(VALU_DEP_1)
	v_mul_f32_e32 v2, 0x2f800000, v1
	v_trunc_f32_e32 v2, v2
	s_delay_alu instid0(VALU_DEP_1) | instskip(SKIP_1) | instid1(VALU_DEP_2)
	v_fmamk_f32 v1, v2, 0xcf800000, v1
	v_cvt_u32_f32_e32 v2, v2
	v_cvt_u32_f32_e32 v1, v1
	s_delay_alu instid0(VALU_DEP_2) | instskip(NEXT) | instid1(VALU_DEP_2)
	v_readfirstlane_b32 s8, v2
	v_readfirstlane_b32 s9, v1
	s_delay_alu instid0(VALU_DEP_2) | instskip(NEXT) | instid1(VALU_DEP_1)
	s_mul_i32 s16, s10, s8
	s_mul_hi_u32 s18, s10, s9
	s_mul_i32 s17, s11, s9
	s_add_i32 s16, s18, s16
	s_mul_i32 s19, s10, s9
	s_add_i32 s16, s16, s17
	s_mul_hi_u32 s18, s9, s19
	s_mul_hi_u32 s21, s8, s19
	s_mul_i32 s17, s8, s19
	s_mul_hi_u32 s19, s9, s16
	s_mul_i32 s9, s9, s16
	s_mul_hi_u32 s22, s8, s16
	s_add_u32 s9, s18, s9
	s_addc_u32 s18, 0, s19
	s_add_u32 s9, s9, s17
	s_mul_i32 s16, s8, s16
	s_addc_u32 s9, s18, s21
	s_addc_u32 s17, s22, 0
	s_add_u32 s9, s9, s16
	s_addc_u32 s16, 0, s17
	v_add_co_u32 v1, s9, v1, s9
	s_delay_alu instid0(VALU_DEP_1) | instskip(SKIP_1) | instid1(VALU_DEP_1)
	s_cmp_lg_u32 s9, 0
	s_addc_u32 s8, s8, s16
	v_readfirstlane_b32 s9, v1
	s_mul_i32 s16, s10, s8
	s_delay_alu instid0(VALU_DEP_1)
	s_mul_hi_u32 s17, s10, s9
	s_mul_i32 s11, s11, s9
	s_add_i32 s16, s17, s16
	s_mul_i32 s10, s10, s9
	s_add_i32 s16, s16, s11
	s_mul_hi_u32 s17, s8, s10
	s_mul_i32 s18, s8, s10
	s_mul_hi_u32 s10, s9, s10
	s_mul_hi_u32 s19, s9, s16
	s_mul_i32 s9, s9, s16
	s_mul_hi_u32 s11, s8, s16
	s_add_u32 s9, s10, s9
	s_addc_u32 s10, 0, s19
	s_add_u32 s9, s9, s18
	s_mul_i32 s16, s8, s16
	s_addc_u32 s9, s10, s17
	s_addc_u32 s10, s11, 0
	s_add_u32 s9, s9, s16
	s_addc_u32 s10, 0, s10
	v_add_co_u32 v1, s9, v1, s9
	s_delay_alu instid0(VALU_DEP_1) | instskip(SKIP_2) | instid1(SALU_CYCLE_1)
	s_cmp_lg_u32 s9, 0
	s_addc_u32 s16, s8, s10
	s_ashr_i32 s8, s3, 31
	s_add_u32 s10, s12, s8
	s_addc_u32 s11, s3, s8
	v_readfirstlane_b32 s3, v1
	s_mov_b32 s9, s8
	s_delay_alu instid0(SALU_CYCLE_1) | instskip(NEXT) | instid1(SALU_CYCLE_1)
	s_xor_b64 s[10:11], s[10:11], s[8:9]
	s_mul_i32 s18, s10, s16
	s_delay_alu instid0(VALU_DEP_1)
	s_mul_hi_u32 s19, s10, s3
	s_mul_hi_u32 s17, s10, s16
	;; [unrolled: 1-line block ×3, first 2 shown]
	s_mul_i32 s3, s11, s3
	s_add_u32 s18, s19, s18
	s_addc_u32 s17, 0, s17
	s_mul_hi_u32 s21, s11, s16
	s_add_u32 s3, s18, s3
	s_mul_i32 s16, s11, s16
	s_addc_u32 s3, s17, s22
	s_addc_u32 s17, s21, 0
	s_add_u32 s3, s3, s16
	s_addc_u32 s16, 0, s17
	s_mul_i32 s18, s20, s3
	s_add_u32 s17, s3, 1
	v_sub_co_u32 v1, s10, s10, s18
	s_mul_hi_u32 s18, s20, s3
	s_addc_u32 s19, s16, 0
	s_mul_i32 s21, s20, s16
	s_delay_alu instid0(VALU_DEP_1)
	v_sub_co_u32 v2, s22, v1, s20
	s_add_u32 s23, s3, 2
	s_addc_u32 s24, s16, 0
	s_add_i32 s18, s18, s21
	s_cmp_lg_u32 s10, 0
	v_readfirstlane_b32 s10, v2
	s_subb_u32 s11, s11, s18
	s_cmp_lg_u32 s22, 0
	s_subb_u32 s18, s11, 0
	s_delay_alu instid0(VALU_DEP_1) | instskip(SKIP_4) | instid1(SALU_CYCLE_1)
	s_cmp_ge_u32 s10, s20
	s_cselect_b32 s10, -1, 0
	s_cmp_eq_u32 s18, 0
	v_readfirstlane_b32 s18, v1
	s_cselect_b32 s10, s10, -1
	s_cmp_lg_u32 s10, 0
	s_cselect_b32 s10, s23, s17
	s_cselect_b32 s17, s24, s19
	s_cmp_ge_u32 s18, s20
	s_cselect_b32 s18, -1, 0
	s_cmp_eq_u32 s11, 0
	s_cselect_b32 s11, s18, -1
	s_delay_alu instid0(SALU_CYCLE_1) | instskip(SKIP_2) | instid1(SALU_CYCLE_1)
	s_cmp_lg_u32 s11, 0
	s_cselect_b32 s11, s17, s16
	s_cselect_b32 s10, s10, s3
	s_xor_b64 s[10:11], s[10:11], s[8:9]
	s_delay_alu instid0(SALU_CYCLE_1)
	s_sub_u32 s16, s10, s8
	s_load_b128 s[8:11], s[0:1], 0x44
	s_and_not1_b32 vcc_lo, exec_lo, s2
	s_cbranch_vccnz .LBB32_3
.LBB32_2:
	v_cvt_f32_u32_e32 v1, s20
	s_sub_i32 s3, 0, s20
	s_delay_alu instid0(VALU_DEP_1) | instskip(SKIP_2) | instid1(VALU_DEP_1)
	v_rcp_iflag_f32_e32 v1, v1
	s_waitcnt_depctr 0xfff
	v_mul_f32_e32 v1, 0x4f7ffffe, v1
	v_cvt_u32_f32_e32 v1, v1
	s_delay_alu instid0(VALU_DEP_1) | instskip(NEXT) | instid1(VALU_DEP_1)
	v_readfirstlane_b32 s2, v1
	s_mul_i32 s3, s3, s2
	s_delay_alu instid0(SALU_CYCLE_1) | instskip(NEXT) | instid1(SALU_CYCLE_1)
	s_mul_hi_u32 s3, s2, s3
	s_add_i32 s2, s2, s3
	s_delay_alu instid0(SALU_CYCLE_1) | instskip(NEXT) | instid1(SALU_CYCLE_1)
	s_mul_hi_u32 s2, s12, s2
	s_mul_i32 s3, s2, s20
	s_waitcnt lgkmcnt(0)
	s_add_i32 s11, s2, 1
	s_sub_i32 s3, s12, s3
	s_delay_alu instid0(SALU_CYCLE_1)
	s_sub_i32 s12, s3, s20
	s_cmp_ge_u32 s3, s20
	s_cselect_b32 s2, s11, s2
	s_cselect_b32 s3, s12, s3
	s_add_i32 s11, s2, 1
	s_cmp_ge_u32 s3, s20
	s_cselect_b32 s16, s11, s2
.LBB32_3:
	s_waitcnt lgkmcnt(0)
	s_add_i32 s11, s13, 1
	s_mov_b32 s2, 0
	s_mul_hi_i32 s3, s7, s11
	s_mul_i32 s11, s7, s11
	s_cmp_lg_u64 s[2:3], 0
	s_cbranch_scc0 .LBB32_22
; %bb.4:
	v_cvt_f32_ubyte0_e32 v1, 0
	v_cvt_f32_u32_e32 v2, s20
	s_sub_u32 s18, 0, s20
	s_subb_u32 s19, 0, 0
	s_delay_alu instid0(VALU_DEP_1) | instskip(NEXT) | instid1(VALU_DEP_1)
	v_fmamk_f32 v1, v1, 0x4f800000, v2
	v_rcp_f32_e32 v1, v1
	s_waitcnt_depctr 0xfff
	v_mul_f32_e32 v1, 0x5f7ffffc, v1
	s_delay_alu instid0(VALU_DEP_1) | instskip(NEXT) | instid1(VALU_DEP_1)
	v_mul_f32_e32 v2, 0x2f800000, v1
	v_trunc_f32_e32 v2, v2
	s_delay_alu instid0(VALU_DEP_1) | instskip(SKIP_1) | instid1(VALU_DEP_2)
	v_fmamk_f32 v1, v2, 0xcf800000, v1
	v_cvt_u32_f32_e32 v2, v2
	v_cvt_u32_f32_e32 v1, v1
	s_delay_alu instid0(VALU_DEP_2) | instskip(NEXT) | instid1(VALU_DEP_2)
	v_readfirstlane_b32 s12, v2
	v_readfirstlane_b32 s17, v1
	s_delay_alu instid0(VALU_DEP_2) | instskip(NEXT) | instid1(VALU_DEP_1)
	s_mul_i32 s21, s18, s12
	s_mul_hi_u32 s23, s18, s17
	s_mul_i32 s22, s19, s17
	s_add_i32 s21, s23, s21
	s_mul_i32 s24, s18, s17
	s_add_i32 s21, s21, s22
	s_mul_hi_u32 s23, s17, s24
	s_mul_hi_u32 s25, s12, s24
	s_mul_i32 s22, s12, s24
	s_mul_hi_u32 s24, s17, s21
	s_mul_i32 s17, s17, s21
	s_mul_hi_u32 s26, s12, s21
	s_add_u32 s17, s23, s17
	s_addc_u32 s23, 0, s24
	s_add_u32 s17, s17, s22
	s_mul_i32 s21, s12, s21
	s_addc_u32 s17, s23, s25
	s_addc_u32 s22, s26, 0
	s_add_u32 s17, s17, s21
	s_addc_u32 s21, 0, s22
	v_add_co_u32 v1, s17, v1, s17
	s_delay_alu instid0(VALU_DEP_1) | instskip(SKIP_1) | instid1(VALU_DEP_1)
	s_cmp_lg_u32 s17, 0
	s_addc_u32 s12, s12, s21
	v_readfirstlane_b32 s17, v1
	s_mul_i32 s21, s18, s12
	s_delay_alu instid0(VALU_DEP_1)
	s_mul_hi_u32 s22, s18, s17
	s_mul_i32 s19, s19, s17
	s_add_i32 s21, s22, s21
	s_mul_i32 s18, s18, s17
	s_add_i32 s21, s21, s19
	s_mul_hi_u32 s22, s12, s18
	s_mul_i32 s23, s12, s18
	s_mul_hi_u32 s18, s17, s18
	s_mul_hi_u32 s24, s17, s21
	s_mul_i32 s17, s17, s21
	s_mul_hi_u32 s19, s12, s21
	s_add_u32 s17, s18, s17
	s_addc_u32 s18, 0, s24
	s_add_u32 s17, s17, s23
	s_mul_i32 s21, s12, s21
	s_addc_u32 s17, s18, s22
	s_addc_u32 s18, s19, 0
	s_add_u32 s17, s17, s21
	s_addc_u32 s18, 0, s18
	v_add_co_u32 v1, s17, v1, s17
	s_delay_alu instid0(VALU_DEP_1) | instskip(SKIP_2) | instid1(SALU_CYCLE_1)
	s_cmp_lg_u32 s17, 0
	s_addc_u32 s12, s12, s18
	s_ashr_i32 s18, s3, 31
	s_add_u32 s22, s11, s18
	s_addc_u32 s23, s3, s18
	v_readfirstlane_b32 s3, v1
	s_mov_b32 s19, s18
	s_delay_alu instid0(SALU_CYCLE_1) | instskip(NEXT) | instid1(SALU_CYCLE_1)
	s_xor_b64 s[22:23], s[22:23], s[18:19]
	s_mul_i32 s21, s22, s12
	s_delay_alu instid0(VALU_DEP_1)
	s_mul_hi_u32 s24, s22, s3
	s_mul_hi_u32 s17, s22, s12
	;; [unrolled: 1-line block ×3, first 2 shown]
	s_mul_i32 s3, s23, s3
	s_add_u32 s21, s24, s21
	s_addc_u32 s17, 0, s17
	s_mul_hi_u32 s25, s23, s12
	s_add_u32 s3, s21, s3
	s_mul_i32 s12, s23, s12
	s_addc_u32 s3, s17, s26
	s_addc_u32 s17, s25, 0
	s_add_u32 s3, s3, s12
	s_addc_u32 s12, 0, s17
	s_mul_i32 s21, s20, s3
	s_add_u32 s17, s3, 1
	v_sub_co_u32 v1, s21, s22, s21
	s_mul_hi_u32 s22, s20, s3
	s_addc_u32 s24, s12, 0
	s_mul_i32 s25, s20, s12
	s_delay_alu instid0(VALU_DEP_1)
	v_sub_co_u32 v2, s26, v1, s20
	s_add_u32 s27, s3, 2
	s_addc_u32 s28, s12, 0
	s_add_i32 s22, s22, s25
	s_cmp_lg_u32 s21, 0
	v_readfirstlane_b32 s21, v2
	s_subb_u32 s22, s23, s22
	s_cmp_lg_u32 s26, 0
	s_subb_u32 s23, s22, 0
	s_delay_alu instid0(VALU_DEP_1) | instskip(SKIP_4) | instid1(SALU_CYCLE_1)
	s_cmp_ge_u32 s21, s20
	s_cselect_b32 s21, -1, 0
	s_cmp_eq_u32 s23, 0
	v_readfirstlane_b32 s23, v1
	s_cselect_b32 s21, s21, -1
	s_cmp_lg_u32 s21, 0
	s_cselect_b32 s17, s27, s17
	s_cselect_b32 s21, s28, s24
	s_cmp_ge_u32 s23, s20
	s_cselect_b32 s23, -1, 0
	s_cmp_eq_u32 s22, 0
	s_cselect_b32 s22, s23, -1
	s_delay_alu instid0(SALU_CYCLE_1) | instskip(SKIP_2) | instid1(SALU_CYCLE_1)
	s_cmp_lg_u32 s22, 0
	s_cselect_b32 s23, s21, s12
	s_cselect_b32 s22, s17, s3
	s_xor_b64 s[22:23], s[22:23], s[18:19]
	s_delay_alu instid0(SALU_CYCLE_1)
	s_sub_u32 s18, s22, s18
	s_and_not1_b32 vcc_lo, exec_lo, s2
	s_cbranch_vccnz .LBB32_6
.LBB32_5:
	v_cvt_f32_u32_e32 v1, s20
	s_sub_i32 s3, 0, s20
	s_delay_alu instid0(VALU_DEP_1) | instskip(SKIP_2) | instid1(VALU_DEP_1)
	v_rcp_iflag_f32_e32 v1, v1
	s_waitcnt_depctr 0xfff
	v_mul_f32_e32 v1, 0x4f7ffffe, v1
	v_cvt_u32_f32_e32 v1, v1
	s_delay_alu instid0(VALU_DEP_1) | instskip(NEXT) | instid1(VALU_DEP_1)
	v_readfirstlane_b32 s2, v1
	s_mul_i32 s3, s3, s2
	s_delay_alu instid0(SALU_CYCLE_1) | instskip(NEXT) | instid1(SALU_CYCLE_1)
	s_mul_hi_u32 s3, s2, s3
	s_add_i32 s2, s2, s3
	s_delay_alu instid0(SALU_CYCLE_1) | instskip(NEXT) | instid1(SALU_CYCLE_1)
	s_mul_hi_u32 s2, s11, s2
	s_mul_i32 s3, s2, s20
	s_delay_alu instid0(SALU_CYCLE_1)
	s_sub_i32 s3, s11, s3
	s_add_i32 s11, s2, 1
	s_sub_i32 s12, s3, s20
	s_cmp_ge_u32 s3, s20
	s_cselect_b32 s2, s11, s2
	s_cselect_b32 s3, s12, s3
	s_add_i32 s11, s2, 1
	s_cmp_ge_u32 s3, s20
	s_cselect_b32 s18, s11, s2
.LBB32_6:
	s_delay_alu instid0(SALU_CYCLE_1) | instskip(SKIP_3) | instid1(SALU_CYCLE_1)
	s_cmp_eq_u32 s16, s18
	s_mul_hi_u32 s2, s16, s8
	s_cselect_b32 s3, -1, 0
	s_add_i32 s2, s2, s16
	s_lshr_b32 s11, s2, s9
	s_delay_alu instid0(SALU_CYCLE_1) | instskip(NEXT) | instid1(SALU_CYCLE_1)
	s_mul_i32 s2, s11, s10
	s_cmp_eq_u32 s2, s16
	s_mul_hi_u32 s2, s18, s8
	s_cselect_b32 s12, -1, 0
	s_add_i32 s2, s2, s18
	s_delay_alu instid0(SALU_CYCLE_1) | instskip(NEXT) | instid1(SALU_CYCLE_1)
	s_lshr_b32 s2, s2, s9
	s_cmp_eq_u32 s11, s2
	s_mul_i32 s2, s2, s10
	s_cselect_b32 s17, -1, 0
	s_cmp_lg_u32 s2, s18
	s_cselect_b32 s2, -1, 0
	s_or_b32 s3, s3, s12
	s_and_b32 s2, s17, s2
	s_delay_alu instid0(SALU_CYCLE_1) | instskip(NEXT) | instid1(SALU_CYCLE_1)
	s_or_b32 s2, s3, s2
	s_and_b32 vcc_lo, exec_lo, s2
	s_cbranch_vccnz .LBB32_24
; %bb.7:
	s_load_b256 s[24:31], s[0:1], 0x20
	s_waitcnt lgkmcnt(0)
	s_mul_hi_u32 s2, s16, s24
	s_delay_alu instid0(SALU_CYCLE_1) | instskip(NEXT) | instid1(SALU_CYCLE_1)
	s_add_i32 s2, s2, s16
	s_lshr_b32 s17, s2, s25
	s_load_b32 s2, s[0:1], 0x40
	s_mul_i32 s3, s17, s26
	s_delay_alu instid0(SALU_CYCLE_1) | instskip(NEXT) | instid1(SALU_CYCLE_1)
	s_sub_i32 s3, s16, s3
	s_mul_hi_u32 s12, s3, s27
	s_delay_alu instid0(SALU_CYCLE_1) | instskip(NEXT) | instid1(SALU_CYCLE_1)
	s_add_i32 s12, s3, s12
	s_lshr_b32 s21, s12, s28
	s_delay_alu instid0(SALU_CYCLE_1) | instskip(NEXT) | instid1(SALU_CYCLE_1)
	s_mul_i32 s12, s21, s29
	s_sub_i32 s3, s3, s12
	s_delay_alu instid0(SALU_CYCLE_1) | instskip(NEXT) | instid1(SALU_CYCLE_1)
	s_mul_hi_u32 s12, s3, s30
	s_add_i32 s12, s3, s12
	s_delay_alu instid0(SALU_CYCLE_1)
	s_lshr_b32 s12, s12, s31
	s_waitcnt lgkmcnt(0)
	s_mul_i32 s2, s12, s2
	s_lshl_b32 s23, s12, 2
	s_sub_i32 s2, s3, s2
	s_mov_b32 s12, 0
	s_mul_hi_u32 s3, s2, s8
	s_delay_alu instid0(SALU_CYCLE_1) | instskip(NEXT) | instid1(SALU_CYCLE_1)
	s_add_i32 s2, s2, s3
	s_lshr_b32 s22, s2, s9
	s_delay_alu instid0(SALU_CYCLE_1) | instskip(NEXT) | instid1(SALU_CYCLE_1)
	s_lshl_b32 s2, s22, 4
	s_add_i32 s2, s2, s14
	s_delay_alu instid0(SALU_CYCLE_1) | instskip(SKIP_2) | instid1(SALU_CYCLE_1)
	s_cmp_lt_i32 s2, s4
	s_cselect_b32 s2, -1, 0
	s_add_i32 s3, s23, s15
	s_cmp_lt_i32 s3, s6
	s_cselect_b32 s3, -1, 0
	s_delay_alu instid0(SALU_CYCLE_1) | instskip(NEXT) | instid1(SALU_CYCLE_1)
	s_and_b32 s2, s2, s3
	s_and_not1_b32 vcc_lo, exec_lo, s2
	s_cbranch_vccnz .LBB32_24
; %bb.8:
	s_load_b128 s[0:3], s[0:1], 0x0
	s_lshl_b32 s18, s20, 8
	s_mov_b32 s19, s12
	s_lshl_b32 s24, s14, 2
	s_lshl_b64 s[18:19], s[18:19], 2
	s_mul_i32 s4, s17, s4
	s_add_i32 s17, s24, s15
	s_mul_i32 s21, s21, s6
	v_cvt_f32_ubyte0_e32 v4, 0
	v_cvt_f32_u32_e32 v5, s20
	s_waitcnt lgkmcnt(0)
	s_add_u32 s18, s2, s18
	s_addc_u32 s19, s3, s19
	s_add_i32 s4, s4, s14
	s_delay_alu instid0(SALU_CYCLE_1) | instskip(SKIP_4) | instid1(SALU_CYCLE_1)
	s_mul_i32 s4, s4, s5
	s_mul_i32 s5, s5, s22
	s_add_i32 s4, s4, s15
	s_lshl_b32 s5, s5, 12
	s_add_i32 s4, s4, s21
	s_add_i32 s4, s4, s23
	s_delay_alu instid0(SALU_CYCLE_1) | instskip(NEXT) | instid1(SALU_CYCLE_1)
	s_lshl_b32 s4, s4, 8
	s_add_i32 s5, s5, s4
	s_delay_alu instid0(SALU_CYCLE_1) | instskip(SKIP_1) | instid1(VALU_DEP_2)
	v_or_b32_e32 v1, s5, v0
	v_lshl_or_b32 v0, s17, 8, v0
	v_ashrrev_i32_e32 v2, 31, v1
	s_delay_alu instid0(VALU_DEP_1) | instskip(NEXT) | instid1(VALU_DEP_1)
	v_lshlrev_b64 v[1:2], 2, v[1:2]
	v_add_co_u32 v1, vcc_lo, s0, v1
	s_delay_alu instid0(VALU_DEP_2) | instskip(SKIP_1) | instid1(SALU_CYCLE_1)
	v_add_co_ci_u32_e32 v2, vcc_lo, s1, v2, vcc_lo
	s_lshl_b32 s0, s13, 6
	s_add_i32 s0, s17, s0
	global_load_b32 v3, v[1:2], off
	s_ashr_i32 s1, s0, 31
	s_delay_alu instid0(SALU_CYCLE_1) | instskip(NEXT) | instid1(SALU_CYCLE_1)
	s_lshl_b64 s[0:1], s[0:1], 3
	s_add_u32 s0, s2, s0
	s_addc_u32 s1, s3, s1
	s_add_i32 s14, s13, -1
	s_load_b64 s[0:1], s[0:1], 0x0
	v_fmac_f32_e32 v5, 0x4f800000, v4
	s_sub_i32 s6, 0, s20
	s_waitcnt lgkmcnt(0)
	v_mov_b32_e32 v8, s0
	s_delay_alu instid0(VALU_DEP_2) | instskip(SKIP_2) | instid1(VALU_DEP_2)
	v_rcp_f32_e32 v4, v5
	v_cvt_f32_u32_e32 v5, s20
	v_mov_b32_e32 v7, s1
	v_rcp_iflag_f32_e32 v5, v5
	s_waitcnt_depctr 0xfff
	v_mul_f32_e32 v4, 0x5f7ffffc, v4
	s_delay_alu instid0(VALU_DEP_1) | instskip(SKIP_1) | instid1(VALU_DEP_2)
	v_mul_f32_e32 v6, 0x2f800000, v4
	v_mul_f32_e32 v9, 0x4f7ffffe, v5
	v_trunc_f32_e32 v6, v6
	s_delay_alu instid0(VALU_DEP_1) | instskip(SKIP_1) | instid1(VALU_DEP_4)
	v_fmac_f32_e32 v4, 0xcf800000, v6
	v_cvt_u32_f32_e32 v5, v6
	v_cvt_u32_f32_e32 v6, v9
	s_delay_alu instid0(VALU_DEP_3)
	v_cvt_u32_f32_e32 v4, v4
.LBB32_9:                               ; =>This Inner Loop Header: Depth=1
	s_mul_hi_i32 s13, s14, s7
	s_mul_i32 s4, s14, s7
	s_cmp_lg_u64 s[12:13], 0
	s_mov_b32 s5, -1
                                        ; implicit-def: $sgpr0_sgpr1
	s_cbranch_scc0 .LBB32_11
; %bb.10:                               ;   in Loop: Header=BB32_9 Depth=1
	v_readfirstlane_b32 s0, v4
	v_readfirstlane_b32 s1, v5
	s_sub_u32 s5, 0, s20
	s_subb_u32 s15, 0, 0
	s_delay_alu instid0(VALU_DEP_2) | instskip(NEXT) | instid1(VALU_DEP_1)
	s_mul_hi_u32 s21, s5, s0
	s_mul_i32 s22, s5, s1
	s_mul_i32 s23, s15, s0
	s_add_i32 s21, s21, s22
	s_mul_i32 s22, s5, s0
	s_add_i32 s21, s21, s23
	s_mul_hi_u32 s23, s0, s22
	s_mul_i32 s24, s0, s21
	s_mul_hi_u32 s0, s0, s21
	s_add_u32 s23, s23, s24
	s_mul_i32 s25, s1, s22
	s_addc_u32 s0, 0, s0
	s_mul_hi_u32 s22, s1, s22
	s_mul_hi_u32 s24, s1, s21
	s_add_u32 s23, s23, s25
	s_addc_u32 s0, s0, s22
	s_mul_i32 s21, s1, s21
	s_addc_u32 s22, s24, 0
	s_add_u32 s0, s0, s21
	s_addc_u32 s21, 0, s22
	v_add_co_u32 v9, s0, v4, s0
	s_delay_alu instid0(VALU_DEP_1) | instskip(SKIP_1) | instid1(VALU_DEP_1)
	s_cmp_lg_u32 s0, 0
	s_addc_u32 s1, s1, s21
	v_readfirstlane_b32 s0, v9
	s_mul_i32 s21, s5, s1
	s_delay_alu instid0(VALU_DEP_1)
	s_mul_hi_u32 s22, s5, s0
	s_mul_i32 s15, s15, s0
	s_add_i32 s21, s22, s21
	s_mul_i32 s5, s5, s0
	s_add_i32 s21, s21, s15
	s_mul_hi_u32 s15, s1, s5
	s_mul_i32 s23, s1, s5
	s_mul_i32 s24, s0, s21
	s_mul_hi_u32 s5, s0, s5
	s_mul_hi_u32 s0, s0, s21
	s_add_u32 s5, s5, s24
	s_addc_u32 s0, 0, s0
	s_mul_hi_u32 s22, s1, s21
	s_add_u32 s5, s5, s23
	s_addc_u32 s0, s0, s15
	s_mul_i32 s5, s1, s21
	s_addc_u32 s15, s22, 0
	s_add_u32 s0, s0, s5
	s_addc_u32 s5, 0, s15
	v_add_co_u32 v9, s0, v9, s0
	s_delay_alu instid0(VALU_DEP_1) | instskip(SKIP_2) | instid1(SALU_CYCLE_1)
	s_cmp_lg_u32 s0, 0
	s_addc_u32 s5, s1, s5
	s_ashr_i32 s0, s13, 31
	s_add_u32 s22, s4, s0
	s_addc_u32 s23, s13, s0
	v_readfirstlane_b32 s13, v9
	s_mov_b32 s1, s0
	s_delay_alu instid0(SALU_CYCLE_1) | instskip(NEXT) | instid1(SALU_CYCLE_1)
	s_xor_b64 s[22:23], s[22:23], s[0:1]
	s_mul_i32 s15, s22, s5
	s_delay_alu instid0(VALU_DEP_1)
	s_mul_hi_u32 s21, s22, s13
	s_mul_hi_u32 s24, s22, s5
	s_add_u32 s15, s21, s15
	s_mul_i32 s25, s23, s13
	s_addc_u32 s21, 0, s24
	s_mul_hi_u32 s13, s23, s13
	s_mul_hi_u32 s24, s23, s5
	s_add_u32 s15, s15, s25
	s_addc_u32 s13, s21, s13
	s_mul_i32 s5, s23, s5
	s_addc_u32 s15, s24, 0
	s_add_u32 s5, s13, s5
	s_addc_u32 s13, 0, s15
	s_mul_i32 s21, s20, s5
	s_add_u32 s15, s5, 1
	v_sub_co_u32 v9, s21, s22, s21
	s_addc_u32 s22, s13, 0
	s_mul_i32 s25, s20, s13
	s_mul_hi_u32 s27, s20, s5
	s_delay_alu instid0(VALU_DEP_1)
	v_sub_co_u32 v10, s26, v9, s20
	s_add_u32 s24, s5, 2
	s_addc_u32 s28, s13, 0
	s_add_i32 s27, s27, s25
	s_cmp_lg_u32 s21, 0
	v_readfirstlane_b32 s21, v10
	s_subb_u32 s23, s23, s27
	s_cmp_lg_u32 s26, 0
	s_subb_u32 s25, s23, 0
	s_delay_alu instid0(VALU_DEP_1) | instskip(SKIP_4) | instid1(SALU_CYCLE_1)
	s_cmp_ge_u32 s21, s20
	s_cselect_b32 s21, -1, 0
	s_cmp_eq_u32 s25, 0
	v_readfirstlane_b32 s25, v9
	s_cselect_b32 s21, s21, -1
	s_cmp_lg_u32 s21, 0
	s_cselect_b32 s15, s24, s15
	s_cselect_b32 s21, s28, s22
	s_cmp_ge_u32 s25, s20
	s_cselect_b32 s22, -1, 0
	s_cmp_eq_u32 s23, 0
	s_cselect_b32 s22, s22, -1
	s_delay_alu instid0(SALU_CYCLE_1) | instskip(SKIP_4) | instid1(SALU_CYCLE_1)
	s_cmp_lg_u32 s22, 0
	s_cselect_b32 s23, s21, s13
	s_cselect_b32 s22, s15, s5
	s_mov_b32 s5, 0
	s_xor_b64 s[22:23], s[22:23], s[0:1]
	s_sub_u32 s0, s22, s0
.LBB32_11:                              ;   in Loop: Header=BB32_9 Depth=1
	s_and_not1_b32 vcc_lo, exec_lo, s5
	s_cbranch_vccnz .LBB32_13
; %bb.12:                               ;   in Loop: Header=BB32_9 Depth=1
	v_readfirstlane_b32 s0, v6
	s_delay_alu instid0(VALU_DEP_1) | instskip(NEXT) | instid1(SALU_CYCLE_1)
	s_mul_i32 s1, s6, s0
	s_mul_hi_u32 s1, s0, s1
	s_delay_alu instid0(SALU_CYCLE_1) | instskip(NEXT) | instid1(SALU_CYCLE_1)
	s_add_i32 s0, s0, s1
	s_mul_hi_u32 s0, s4, s0
	s_delay_alu instid0(SALU_CYCLE_1) | instskip(NEXT) | instid1(SALU_CYCLE_1)
	s_mul_i32 s1, s0, s20
	s_sub_i32 s1, s4, s1
	s_add_i32 s4, s0, 1
	s_sub_i32 s5, s1, s20
	s_cmp_ge_u32 s1, s20
	s_cselect_b32 s0, s4, s0
	s_cselect_b32 s1, s5, s1
	s_add_i32 s4, s0, 1
	s_cmp_ge_u32 s1, s20
	s_cselect_b32 s0, s4, s0
.LBB32_13:                              ;   in Loop: Header=BB32_9 Depth=1
	s_delay_alu instid0(SALU_CYCLE_1)
	s_cmp_lg_u32 s16, s0
	s_cbranch_scc0 .LBB32_17
; %bb.14:                               ;   in Loop: Header=BB32_9 Depth=1
	s_add_i32 s1, s14, s20
	s_mov_b32 s5, s12
	s_lshl_b32 s1, s1, 6
	s_mov_b32 s15, s16
	s_add_i32 s4, s1, s17
	s_mul_hi_u32 s1, s0, s8
	s_lshl_b64 s[4:5], s[4:5], 3
	s_delay_alu instid0(SALU_CYCLE_1) | instskip(SKIP_2) | instid1(SALU_CYCLE_1)
	s_add_u32 s4, s2, s4
	s_addc_u32 s5, s3, s5
	s_add_i32 s1, s1, s0
	s_lshr_b32 s1, s1, s9
	s_delay_alu instid0(SALU_CYCLE_1) | instskip(NEXT) | instid1(SALU_CYCLE_1)
	s_mul_i32 s13, s1, s10
	s_cmp_eq_u32 s13, s0
	s_cselect_b32 s13, -1, 0
	s_cmp_lt_u32 s1, s11
	s_cselect_b32 s1, -1, 0
	s_delay_alu instid0(SALU_CYCLE_1)
	s_or_b32 s1, s1, s13
	s_mov_b32 s13, -1
	s_and_b32 vcc_lo, exec_lo, s1
	s_mov_b32 s1, s14
	s_cbranch_vccnz .LBB32_16
; %bb.15:                               ;   in Loop: Header=BB32_9 Depth=1
	s_add_i32 s1, s14, -1
	s_mov_b32 s13, 0
	s_mov_b32 s15, s0
.LBB32_16:                              ;   in Loop: Header=BB32_9 Depth=1
	v_lshl_add_u32 v9, s14, 14, v0
	s_load_b64 s[4:5], s[4:5], 0x0
	s_delay_alu instid0(VALU_DEP_1) | instskip(NEXT) | instid1(VALU_DEP_1)
	v_ashrrev_i32_e32 v10, 31, v9
	v_lshlrev_b64 v[9:10], 2, v[9:10]
	s_delay_alu instid0(VALU_DEP_1) | instskip(NEXT) | instid1(VALU_DEP_2)
	v_add_co_u32 v9, vcc_lo, s18, v9
	v_add_co_ci_u32_e32 v10, vcc_lo, s19, v10, vcc_lo
	s_waitcnt lgkmcnt(0)
	v_max_f32_e64 v11, s4, s4
	global_load_b32 v10, v[9:10], off
	v_max_f32_e32 v9, v8, v8
	s_delay_alu instid0(VALU_DEP_1) | instskip(NEXT) | instid1(VALU_DEP_1)
	v_max_f32_e32 v9, v9, v11
	v_sub_f32_e32 v12, v8, v9
	s_delay_alu instid0(VALU_DEP_1) | instskip(NEXT) | instid1(VALU_DEP_1)
	v_dual_mul_f32 v14, 0x3fb8aa3b, v12 :: v_dual_sub_f32 v11, s4, v9
	v_rndne_f32_e32 v18, v14
	s_delay_alu instid0(VALU_DEP_2) | instskip(SKIP_2) | instid1(VALU_DEP_4)
	v_mul_f32_e32 v13, 0x3fb8aa3b, v11
	v_fma_f32 v17, 0x3fb8aa3b, v12, -v14
	v_cmp_ngt_f32_e32 vcc_lo, 0xc2ce8ed0, v11
	v_sub_f32_e32 v14, v14, v18
	s_delay_alu instid0(VALU_DEP_4) | instskip(SKIP_2) | instid1(VALU_DEP_3)
	v_fma_f32 v15, 0x3fb8aa3b, v11, -v13
	v_rndne_f32_e32 v16, v13
	v_fmac_f32_e32 v17, 0x32a5705f, v12
	v_fmac_f32_e32 v15, 0x32a5705f, v11
	s_delay_alu instid0(VALU_DEP_2) | instskip(NEXT) | instid1(VALU_DEP_1)
	v_dual_sub_f32 v13, v13, v16 :: v_dual_add_f32 v14, v14, v17
	v_add_f32_e32 v13, v13, v15
	s_delay_alu instid0(VALU_DEP_2) | instskip(SKIP_2) | instid1(VALU_DEP_3)
	v_exp_f32_e32 v14, v14
	v_cvt_i32_f32_e32 v15, v16
	v_cvt_i32_f32_e32 v16, v18
	v_exp_f32_e32 v13, v13
	s_waitcnt_depctr 0xfff
	v_ldexp_f32 v14, v14, v16
	v_ldexp_f32 v13, v13, v15
	s_delay_alu instid0(VALU_DEP_1) | instskip(SKIP_1) | instid1(VALU_DEP_4)
	v_cndmask_b32_e32 v13, 0, v13, vcc_lo
	v_cmp_ngt_f32_e32 vcc_lo, 0xc2ce8ed0, v12
	v_cndmask_b32_e32 v14, 0, v14, vcc_lo
	v_cmp_nlt_f32_e32 vcc_lo, 0x42b17218, v11
	s_delay_alu instid0(VALU_DEP_4) | instskip(SKIP_1) | instid1(VALU_DEP_4)
	v_cndmask_b32_e32 v13, 0x7f800000, v13, vcc_lo
	v_cmp_nlt_f32_e32 vcc_lo, 0x42b17218, v12
	v_cndmask_b32_e32 v14, 0x7f800000, v14, vcc_lo
	v_cmp_le_f32_e32 vcc_lo, 0xc1a00000, v11
	s_delay_alu instid0(VALU_DEP_4) | instskip(SKIP_1) | instid1(VALU_DEP_4)
	v_cndmask_b32_e32 v11, 0, v13, vcc_lo
	v_cmp_le_f32_e32 vcc_lo, 0xc1a00000, v12
	v_cndmask_b32_e32 v12, 0, v14, vcc_lo
	s_waitcnt vmcnt(0)
	s_delay_alu instid0(VALU_DEP_3) | instskip(NEXT) | instid1(VALU_DEP_1)
	v_mul_f32_e32 v10, v10, v11
	v_dual_mul_f32 v11, s5, v11 :: v_dual_fmac_f32 v10, v3, v12
	s_delay_alu instid0(VALU_DEP_1)
	v_fmac_f32_e32 v11, v7, v12
	s_cbranch_execz .LBB32_18
	s_branch .LBB32_19
.LBB32_17:                              ;   in Loop: Header=BB32_9 Depth=1
                                        ; implicit-def: $sgpr13
                                        ; implicit-def: $vgpr10
                                        ; implicit-def: $vgpr9
                                        ; implicit-def: $vgpr11
                                        ; implicit-def: $sgpr1
                                        ; implicit-def: $sgpr15
.LBB32_18:                              ;   in Loop: Header=BB32_9 Depth=1
	v_mov_b32_e32 v11, v7
	s_waitcnt vmcnt(0)
	v_dual_mov_b32 v9, v8 :: v_dual_mov_b32 v10, v3
	s_add_i32 s1, s14, -1
	s_mov_b32 s13, 0
	s_mov_b32 s15, s16
.LBB32_19:                              ;   in Loop: Header=BB32_9 Depth=1
	s_and_not1_b32 vcc_lo, exec_lo, s13
	s_cbranch_vccz .LBB32_23
; %bb.20:                               ;   in Loop: Header=BB32_9 Depth=1
	v_dual_mov_b32 v7, v11 :: v_dual_mov_b32 v8, v9
	s_waitcnt vmcnt(0)
	v_mov_b32_e32 v3, v10
	s_mov_b32 s16, s15
	s_mov_b32 s14, s1
	s_branch .LBB32_9
.LBB32_21:
                                        ; implicit-def: $sgpr16_sgpr17
	s_load_b128 s[8:11], s[0:1], 0x44
	s_branch .LBB32_2
.LBB32_22:
                                        ; implicit-def: $sgpr18_sgpr19
	s_branch .LBB32_5
.LBB32_23:
	v_div_scale_f32 v0, null, v11, v11, v10
	s_waitcnt vmcnt(0)
	s_delay_alu instid0(VALU_DEP_1) | instskip(SKIP_2) | instid1(VALU_DEP_1)
	v_rcp_f32_e32 v3, v0
	s_waitcnt_depctr 0xfff
	v_fma_f32 v4, -v0, v3, 1.0
	v_fmac_f32_e32 v3, v4, v3
	v_div_scale_f32 v4, vcc_lo, v10, v11, v10
	s_delay_alu instid0(VALU_DEP_1) | instskip(NEXT) | instid1(VALU_DEP_1)
	v_mul_f32_e32 v5, v4, v3
	v_fma_f32 v6, -v0, v5, v4
	s_delay_alu instid0(VALU_DEP_1) | instskip(NEXT) | instid1(VALU_DEP_1)
	v_fmac_f32_e32 v5, v6, v3
	v_fma_f32 v0, -v0, v5, v4
	s_delay_alu instid0(VALU_DEP_1) | instskip(NEXT) | instid1(VALU_DEP_1)
	v_div_fmas_f32 v0, v0, v3, v5
	v_div_fixup_f32 v0, v0, v11, v10
	global_store_b32 v[1:2], v0, off
.LBB32_24:
	s_nop 0
	s_sendmsg sendmsg(MSG_DEALLOC_VGPRS)
	s_endpgm
	.section	.rodata,"a",@progbits
	.p2align	6, 0x0
	.amdhsa_kernel _ZL33flash_attn_stream_k_fixup_generalILi256ELi16ELi4EEvPfPK15HIP_vector_typeIfLj2EEiiiiS1_IjLj3EES5_S5_S5_
		.amdhsa_group_segment_fixed_size 0
		.amdhsa_private_segment_fixed_size 0
		.amdhsa_kernarg_size 336
		.amdhsa_user_sgpr_count 13
		.amdhsa_user_sgpr_dispatch_ptr 0
		.amdhsa_user_sgpr_queue_ptr 0
		.amdhsa_user_sgpr_kernarg_segment_ptr 1
		.amdhsa_user_sgpr_dispatch_id 0
		.amdhsa_user_sgpr_private_segment_size 0
		.amdhsa_wavefront_size32 1
		.amdhsa_uses_dynamic_stack 0
		.amdhsa_enable_private_segment 0
		.amdhsa_system_sgpr_workgroup_id_x 1
		.amdhsa_system_sgpr_workgroup_id_y 1
		.amdhsa_system_sgpr_workgroup_id_z 1
		.amdhsa_system_sgpr_workgroup_info 0
		.amdhsa_system_vgpr_workitem_id 0
		.amdhsa_next_free_vgpr 19
		.amdhsa_next_free_sgpr 32
		.amdhsa_reserve_vcc 1
		.amdhsa_float_round_mode_32 0
		.amdhsa_float_round_mode_16_64 0
		.amdhsa_float_denorm_mode_32 3
		.amdhsa_float_denorm_mode_16_64 3
		.amdhsa_dx10_clamp 1
		.amdhsa_ieee_mode 1
		.amdhsa_fp16_overflow 0
		.amdhsa_workgroup_processor_mode 1
		.amdhsa_memory_ordered 1
		.amdhsa_forward_progress 0
		.amdhsa_shared_vgpr_count 0
		.amdhsa_exception_fp_ieee_invalid_op 0
		.amdhsa_exception_fp_denorm_src 0
		.amdhsa_exception_fp_ieee_div_zero 0
		.amdhsa_exception_fp_ieee_overflow 0
		.amdhsa_exception_fp_ieee_underflow 0
		.amdhsa_exception_fp_ieee_inexact 0
		.amdhsa_exception_int_div_zero 0
	.end_amdhsa_kernel
	.section	.text._ZL33flash_attn_stream_k_fixup_generalILi256ELi16ELi4EEvPfPK15HIP_vector_typeIfLj2EEiiiiS1_IjLj3EES5_S5_S5_,"axG",@progbits,_ZL33flash_attn_stream_k_fixup_generalILi256ELi16ELi4EEvPfPK15HIP_vector_typeIfLj2EEiiiiS1_IjLj3EES5_S5_S5_,comdat
.Lfunc_end32:
	.size	_ZL33flash_attn_stream_k_fixup_generalILi256ELi16ELi4EEvPfPK15HIP_vector_typeIfLj2EEiiiiS1_IjLj3EES5_S5_S5_, .Lfunc_end32-_ZL33flash_attn_stream_k_fixup_generalILi256ELi16ELi4EEvPfPK15HIP_vector_typeIfLj2EEiiiiS1_IjLj3EES5_S5_S5_
                                        ; -- End function
	.section	.AMDGPU.csdata,"",@progbits
; Kernel info:
; codeLenInByte = 3224
; NumSgprs: 34
; NumVgprs: 19
; ScratchSize: 0
; MemoryBound: 0
; FloatMode: 240
; IeeeMode: 1
; LDSByteSize: 0 bytes/workgroup (compile time only)
; SGPRBlocks: 4
; VGPRBlocks: 2
; NumSGPRsForWavesPerEU: 34
; NumVGPRsForWavesPerEU: 19
; Occupancy: 16
; WaveLimiterHint : 0
; COMPUTE_PGM_RSRC2:SCRATCH_EN: 0
; COMPUTE_PGM_RSRC2:USER_SGPR: 13
; COMPUTE_PGM_RSRC2:TRAP_HANDLER: 0
; COMPUTE_PGM_RSRC2:TGID_X_EN: 1
; COMPUTE_PGM_RSRC2:TGID_Y_EN: 1
; COMPUTE_PGM_RSRC2:TGID_Z_EN: 1
; COMPUTE_PGM_RSRC2:TIDIG_COMP_CNT: 0
	.section	.text._ZL26flash_attn_combine_resultsILi256EEvPKfPK15HIP_vector_typeIfLj2EEPfi,"axG",@progbits,_ZL26flash_attn_combine_resultsILi256EEvPKfPK15HIP_vector_typeIfLj2EEPfi,comdat
	.globl	_ZL26flash_attn_combine_resultsILi256EEvPKfPK15HIP_vector_typeIfLj2EEPfi ; -- Begin function _ZL26flash_attn_combine_resultsILi256EEvPKfPK15HIP_vector_typeIfLj2EEPfi
	.p2align	8
	.type	_ZL26flash_attn_combine_resultsILi256EEvPKfPK15HIP_vector_typeIfLj2EEPfi,@function
_ZL26flash_attn_combine_resultsILi256EEvPKfPK15HIP_vector_typeIfLj2EEPfi: ; @_ZL26flash_attn_combine_resultsILi256EEvPKfPK15HIP_vector_typeIfLj2EEPfi
; %bb.0:
	s_clause 0x3
	s_load_b64 s[2:3], s[0:1], 0x20
	s_load_b32 s11, s[0:1], 0x18
	s_load_b128 s[4:7], s[0:1], 0x0
	s_load_b64 s[8:9], s[0:1], 0x10
	v_lshlrev_b32_e32 v5, 2, v0
	s_mov_b32 s12, exec_lo
	s_waitcnt lgkmcnt(0)
	s_mul_i32 s0, s2, s15
	s_lshl_b32 s1, s11, 1
	s_add_i32 s0, s0, s13
	s_delay_alu instid0(SALU_CYCLE_1) | instskip(NEXT) | instid1(SALU_CYCLE_1)
	s_mul_i32 s10, s0, s3
	s_add_i32 s10, s10, s14
	s_delay_alu instid0(SALU_CYCLE_1)
	s_mul_i32 s2, s10, s11
	v_cmpx_gt_i32_e64 s1, v0
	s_cbranch_execz .LBB33_3
; %bb.1:
	s_ashr_i32 s3, s2, 31
	v_dual_mov_b32 v4, v0 :: v_dual_add_nc_u32 v3, 0, v5
	s_lshl_b64 s[14:15], s[2:3], 3
	s_delay_alu instid0(SALU_CYCLE_1) | instskip(SKIP_2) | instid1(VALU_DEP_1)
	s_add_u32 s0, s6, s14
	s_addc_u32 s3, s7, s15
	v_add_co_u32 v1, s0, s0, v5
	v_add_co_ci_u32_e64 v2, null, s3, 0, s0
	s_mov_b32 s3, 0
	.p2align	6
.LBB33_2:                               ; =>This Inner Loop Header: Depth=1
	global_load_b32 v6, v[1:2], off
	v_add_nc_u32_e32 v4, 0x100, v4
	v_add_co_u32 v1, vcc_lo, 0x400, v1
	v_add_co_ci_u32_e32 v2, vcc_lo, 0, v2, vcc_lo
	s_delay_alu instid0(VALU_DEP_3) | instskip(NEXT) | instid1(VALU_DEP_1)
	v_cmp_le_i32_e64 s0, s1, v4
	s_or_b32 s3, s0, s3
	s_waitcnt vmcnt(0)
	ds_store_b32 v3, v6
	v_add_nc_u32_e32 v3, 0x400, v3
	s_and_not1_b32 exec_lo, exec_lo, s3
	s_cbranch_execnz .LBB33_2
.LBB33_3:
	s_or_b32 exec_lo, exec_lo, s12
	v_mov_b32_e32 v1, 0
	s_waitcnt lgkmcnt(0)
	s_barrier
	buffer_gl0_inv
	s_cmp_lt_i32 s11, 2
	ds_load_b32 v6, v1
	s_cbranch_scc1 .LBB33_11
; %bb.4:
	s_add_i32 s1, s11, -2
	s_add_i32 s0, s11, -1
	s_cmp_lt_u32 s1, 7
	s_cbranch_scc1 .LBB33_8
; %bb.5:
	s_mov_b32 s3, 0
	s_add_i32 s1, 0, 8
	s_and_b32 s6, s0, -8
	.p2align	6
.LBB33_6:                               ; =>This Inner Loop Header: Depth=1
	v_mov_b32_e32 v9, s1
	s_mov_b32 s7, s3
	s_add_i32 s3, s3, 8
	s_add_i32 s1, s1, 64
	s_cmp_eq_u32 s6, s3
	ds_load_2addr_b32 v[1:2], v9 offset1:2
	ds_load_2addr_b32 v[3:4], v9 offset0:4 offset1:6
	ds_load_2addr_b32 v[7:8], v9 offset0:8 offset1:10
	ds_load_2addr_b32 v[9:10], v9 offset0:12 offset1:14
	s_waitcnt lgkmcnt(3)
	v_max3_f32 v1, v6, v1, v2
	s_waitcnt lgkmcnt(2)
	s_delay_alu instid0(VALU_DEP_1) | instskip(SKIP_1) | instid1(VALU_DEP_1)
	v_max3_f32 v1, v1, v3, v4
	s_waitcnt lgkmcnt(1)
	v_max3_f32 v1, v1, v7, v8
	s_waitcnt lgkmcnt(0)
	s_delay_alu instid0(VALU_DEP_1)
	v_max3_f32 v6, v1, v9, v10
	s_cbranch_scc0 .LBB33_6
; %bb.7:
	s_add_i32 s1, s7, 9
	s_and_b32 s0, s0, 7
	s_delay_alu instid0(SALU_CYCLE_1)
	s_cmp_eq_u32 s0, 0
	s_cbranch_scc0 .LBB33_9
	s_branch .LBB33_11
.LBB33_8:
	s_mov_b32 s1, 1
	s_and_b32 s0, s0, 7
	s_delay_alu instid0(SALU_CYCLE_1)
	s_cmp_eq_u32 s0, 0
	s_cbranch_scc1 .LBB33_11
.LBB33_9:
	s_lshl_b32 s1, s1, 3
	s_delay_alu instid0(SALU_CYCLE_1)
	s_add_i32 s1, s1, 0
.LBB33_10:                              ; =>This Inner Loop Header: Depth=1
	s_waitcnt lgkmcnt(0)
	s_delay_alu instid0(VALU_DEP_1)
	v_dual_mov_b32 v1, s1 :: v_dual_max_f32 v2, v6, v6
	s_add_i32 s0, s0, -1
	s_add_i32 s1, s1, 8
	s_cmp_lg_u32 s0, 0
	ds_load_b32 v1, v1
	s_waitcnt lgkmcnt(0)
	v_max_f32_e32 v1, v1, v1
	s_delay_alu instid0(VALU_DEP_1)
	v_max_f32_e32 v6, v2, v1
	s_cbranch_scc1 .LBB33_10
.LBB33_11:
	s_cmp_lt_i32 s11, 1
	s_cbranch_scc1 .LBB33_16
; %bb.12:
	s_lshl_b32 s0, s2, 8
	v_mov_b32_e32 v7, 0
	s_ashr_i32 s1, s0, 31
	s_mov_b32 s13, 0
	s_lshl_b64 s[0:1], s[0:1], 2
	s_delay_alu instid0(SALU_CYCLE_1)
	s_add_u32 s6, s4, s0
	s_addc_u32 s7, s5, s1
	s_cmp_lt_u32 s11, 8
	s_cbranch_scc1 .LBB33_17
; %bb.13:
	v_or_b32_e32 v1, 0x700, v0
	v_dual_mov_b32 v4, 0 :: v_dual_mov_b32 v7, 0
	v_mov_b32_e32 v8, 0
	s_and_b32 s12, s11, 0x7ffffff8
	s_mov_b32 s14, 0
.LBB33_14:                              ; =>This Inner Loop Header: Depth=1
	s_delay_alu instid0(VALU_DEP_2) | instskip(SKIP_3) | instid1(VALU_DEP_2)
	v_dual_mov_b32 v2, v4 :: v_dual_add_nc_u32 v3, 0xfffff900, v1
	v_mov_b32_e32 v21, s13
	s_add_i32 s14, s14, 8
	s_add_i32 s13, s13, 64
	v_lshlrev_b64 v[9:10], 2, v[3:4]
	v_add_nc_u32_e32 v3, 0xfffffa00, v1
	v_lshlrev_b64 v[11:12], 2, v[1:2]
	s_cmp_eq_u32 s12, s14
	s_delay_alu instid0(VALU_DEP_2) | instskip(NEXT) | instid1(VALU_DEP_4)
	v_lshlrev_b64 v[13:14], 2, v[3:4]
	v_add_co_u32 v9, vcc_lo, s6, v9
	v_add_co_ci_u32_e32 v10, vcc_lo, s7, v10, vcc_lo
	v_add_nc_u32_e32 v3, 0xfffffb00, v1
	s_delay_alu instid0(VALU_DEP_4)
	v_add_co_u32 v13, vcc_lo, s6, v13
	global_load_b32 v25, v[9:10], off
	v_add_co_ci_u32_e32 v14, vcc_lo, s7, v14, vcc_lo
	v_lshlrev_b64 v[15:16], 2, v[3:4]
	v_add_nc_u32_e32 v3, 0xfffffc00, v1
	global_load_b32 v26, v[13:14], off
	v_add_co_u32 v13, vcc_lo, s6, v15
	v_add_co_ci_u32_e32 v14, vcc_lo, s7, v16, vcc_lo
	v_lshlrev_b64 v[9:10], 2, v[3:4]
	v_add_nc_u32_e32 v3, 0xfffffd00, v1
	global_load_b32 v27, v[13:14], off
	v_add_co_u32 v9, vcc_lo, s6, v9
	v_lshlrev_b64 v[15:16], 2, v[3:4]
	v_add_nc_u32_e32 v3, 0xfffffe00, v1
	v_add_co_ci_u32_e32 v10, vcc_lo, s7, v10, vcc_lo
	global_load_b32 v28, v[9:10], off
	v_lshlrev_b64 v[13:14], 2, v[3:4]
	v_add_nc_u32_e32 v3, 0xffffff00, v1
	v_add_co_u32 v9, vcc_lo, s6, v15
	v_add_co_ci_u32_e32 v10, vcc_lo, s7, v16, vcc_lo
	s_delay_alu instid0(VALU_DEP_4) | instskip(NEXT) | instid1(VALU_DEP_4)
	v_add_co_u32 v13, vcc_lo, s6, v13
	v_lshlrev_b64 v[2:3], 2, v[3:4]
	v_add_co_ci_u32_e32 v14, vcc_lo, s7, v14, vcc_lo
	s_clause 0x1
	global_load_b32 v29, v[9:10], off
	global_load_b32 v30, v[13:14], off
	v_add_co_u32 v2, vcc_lo, s6, v2
	v_add_co_ci_u32_e32 v3, vcc_lo, s7, v3, vcc_lo
	v_add_co_u32 v9, vcc_lo, s6, v11
	v_add_co_ci_u32_e32 v10, vcc_lo, s7, v12, vcc_lo
	s_clause 0x1
	global_load_b32 v2, v[2:3], off
	global_load_b32 v3, v[9:10], off
	ds_load_2addr_b64 v[9:12], v21 offset1:1
	ds_load_2addr_b64 v[13:16], v21 offset0:2 offset1:3
	ds_load_2addr_b64 v[17:20], v21 offset0:4 offset1:5
	;; [unrolled: 1-line block ×3, first 2 shown]
	v_add_nc_u32_e32 v1, 0x800, v1
	s_waitcnt lgkmcnt(1)
	v_sub_f32_e32 v19, v19, v6
	v_sub_f32_e32 v11, v11, v6
	s_waitcnt lgkmcnt(0)
	v_sub_f32_e32 v23, v23, v6
	s_delay_alu instid0(VALU_DEP_3) | instskip(NEXT) | instid1(VALU_DEP_3)
	v_dual_sub_f32 v13, v13, v6 :: v_dual_mul_f32 v36, 0x3fb8aa3b, v19
	v_mul_f32_e32 v32, 0x3fb8aa3b, v11
	s_delay_alu instid0(VALU_DEP_2) | instskip(SKIP_1) | instid1(VALU_DEP_4)
	v_dual_mul_f32 v38, 0x3fb8aa3b, v23 :: v_dual_mul_f32 v33, 0x3fb8aa3b, v13
	v_cmp_ngt_f32_e32 vcc_lo, 0xc2ce8ed0, v13
	v_fma_f32 v49, 0x3fb8aa3b, v19, -v36
	s_delay_alu instid0(VALU_DEP_4) | instskip(SKIP_4) | instid1(VALU_DEP_4)
	v_fma_f32 v41, 0x3fb8aa3b, v11, -v32
	v_rndne_f32_e32 v42, v32
	v_fma_f32 v43, 0x3fb8aa3b, v13, -v33
	v_rndne_f32_e32 v44, v33
	v_rndne_f32_e32 v50, v36
	v_dual_fmac_f32 v41, 0x32a5705f, v11 :: v_dual_sub_f32 v32, v32, v42
	v_sub_f32_e32 v15, v15, v6
	v_fmac_f32_e32 v43, 0x32a5705f, v13
	v_sub_f32_e32 v33, v33, v44
	v_cvt_i32_f32_e32 v42, v42
	v_dual_add_f32 v32, v32, v41 :: v_dual_sub_f32 v9, v9, v6
	v_mul_f32_e32 v34, 0x3fb8aa3b, v15
	s_delay_alu instid0(VALU_DEP_4) | instskip(SKIP_1) | instid1(VALU_DEP_4)
	v_add_f32_e32 v33, v33, v43
	v_cvt_i32_f32_e32 v44, v44
	v_exp_f32_e32 v32, v32
	v_mul_f32_e32 v31, 0x3fb8aa3b, v9
	v_fma_f32 v45, 0x3fb8aa3b, v15, -v34
	v_rndne_f32_e32 v46, v34
	v_exp_f32_e32 v33, v33
	v_cmp_ngt_f32_e64 s5, 0xc2ce8ed0, v9
	v_fma_f32 v39, 0x3fb8aa3b, v9, -v31
	v_rndne_f32_e32 v40, v31
	v_dual_fmac_f32 v45, 0x32a5705f, v15 :: v_dual_sub_f32 v34, v34, v46
	v_sub_f32_e32 v17, v17, v6
	s_delay_alu instid0(VALU_DEP_4) | instskip(NEXT) | instid1(VALU_DEP_4)
	v_fmac_f32_e32 v39, 0x32a5705f, v9
	v_sub_f32_e32 v31, v31, v40
	v_cvt_i32_f32_e32 v40, v40
	v_add_f32_e32 v34, v34, v45
	v_ldexp_f32 v32, v32, v42
	v_ldexp_f32 v33, v33, v44
	v_add_f32_e32 v31, v31, v39
	v_cvt_i32_f32_e32 v46, v46
	v_exp_f32_e32 v34, v34
	v_cmp_ngt_f32_e64 s0, 0xc2ce8ed0, v15
	v_fmac_f32_e32 v49, 0x32a5705f, v19
	v_exp_f32_e32 v31, v31
	v_sub_f32_e32 v36, v36, v50
	v_cvt_i32_f32_e32 v50, v50
	v_cmp_ngt_f32_e64 s1, 0xc2ce8ed0, v17
	v_rndne_f32_e32 v54, v38
	s_delay_alu instid0(VALU_DEP_4) | instskip(NEXT) | instid1(TRANS32_DEP_2)
	v_add_f32_e32 v36, v36, v49
	v_ldexp_f32 v34, v34, v46
	v_cmp_ngt_f32_e64 s2, 0xc2ce8ed0, v19
	s_delay_alu instid0(TRANS32_DEP_1) | instskip(NEXT) | instid1(VALU_DEP_4)
	v_ldexp_f32 v31, v31, v40
	v_exp_f32_e32 v36, v36
	s_delay_alu instid0(VALU_DEP_1) | instskip(SKIP_1) | instid1(VALU_DEP_1)
	v_cndmask_b32_e64 v31, 0, v31, s5
	v_cmp_ngt_f32_e64 s5, 0xc2ce8ed0, v11
	v_cndmask_b32_e64 v32, 0, v32, s5
	v_cmp_nlt_f32_e64 s5, 0x42b17218, v9
	s_waitcnt_depctr 0xfff
	v_ldexp_f32 v36, v36, v50
	v_cndmask_b32_e64 v9, 0x7f800000, v31, s5
	v_cndmask_b32_e32 v31, 0, v33, vcc_lo
	v_cmp_nlt_f32_e32 vcc_lo, 0x42b17218, v11
	s_delay_alu instid0(VALU_DEP_3) | instskip(SKIP_1) | instid1(VALU_DEP_2)
	v_dual_fmac_f32 v8, v9, v10 :: v_dual_cndmask_b32 v11, 0x7f800000, v32
	v_cmp_nlt_f32_e32 vcc_lo, 0x42b17218, v13
	v_fmac_f32_e32 v8, v11, v12
	v_cndmask_b32_e32 v10, 0x7f800000, v31, vcc_lo
	v_cmp_nlt_f32_e32 vcc_lo, 0x42b17218, v15
	v_fma_f32 v53, 0x3fb8aa3b, v23, -v38
	v_sub_f32_e32 v38, v38, v54
	v_cvt_i32_f32_e32 v54, v54
	v_fmac_f32_e32 v8, v10, v14
	v_cmp_ngt_f32_e64 s4, 0xc2ce8ed0, v23
	v_fmac_f32_e32 v53, 0x32a5705f, v23
	s_delay_alu instid0(VALU_DEP_1) | instskip(NEXT) | instid1(VALU_DEP_1)
	v_dual_sub_f32 v21, v21, v6 :: v_dual_add_f32 v38, v38, v53
	v_cmp_ngt_f32_e64 s3, 0xc2ce8ed0, v21
	s_delay_alu instid0(VALU_DEP_2)
	v_exp_f32_e32 v38, v38
	s_waitcnt_depctr 0xfff
	v_ldexp_f32 v38, v38, v54
	s_waitcnt vmcnt(7)
	v_fmac_f32_e32 v7, v25, v9
	v_cndmask_b32_e64 v9, 0, v34, s0
	s_delay_alu instid0(VALU_DEP_1) | instskip(SKIP_1) | instid1(VALU_DEP_3)
	v_cndmask_b32_e32 v9, 0x7f800000, v9, vcc_lo
	s_waitcnt vmcnt(6)
	v_fmac_f32_e32 v7, v26, v11
	v_cmp_nlt_f32_e32 vcc_lo, 0x42b17218, v17
	s_delay_alu instid0(VALU_DEP_3) | instskip(SKIP_1) | instid1(VALU_DEP_3)
	v_dual_fmac_f32 v8, v9, v16 :: v_dual_mul_f32 v35, 0x3fb8aa3b, v17
	s_waitcnt vmcnt(5)
	v_fmac_f32_e32 v7, v27, v10
	s_delay_alu instid0(VALU_DEP_2) | instskip(SKIP_2) | instid1(VALU_DEP_3)
	v_fma_f32 v47, 0x3fb8aa3b, v17, -v35
	v_rndne_f32_e32 v48, v35
	v_cndmask_b32_e64 v10, 0, v36, s2
	v_fmac_f32_e32 v47, 0x32a5705f, v17
	s_delay_alu instid0(VALU_DEP_3) | instskip(SKIP_1) | instid1(VALU_DEP_2)
	v_sub_f32_e32 v35, v35, v48
	v_cvt_i32_f32_e32 v48, v48
	v_add_f32_e32 v35, v35, v47
	s_waitcnt vmcnt(4)
	v_fmac_f32_e32 v7, v28, v9
	s_delay_alu instid0(VALU_DEP_2) | instskip(SKIP_2) | instid1(VALU_DEP_1)
	v_exp_f32_e32 v35, v35
	s_waitcnt_depctr 0xfff
	v_ldexp_f32 v35, v35, v48
	v_cndmask_b32_e64 v11, 0, v35, s1
	s_delay_alu instid0(VALU_DEP_1) | instskip(SKIP_1) | instid1(VALU_DEP_2)
	v_cndmask_b32_e32 v11, 0x7f800000, v11, vcc_lo
	v_cmp_nlt_f32_e32 vcc_lo, 0x42b17218, v19
	v_fmac_f32_e32 v8, v11, v18
	v_cndmask_b32_e32 v10, 0x7f800000, v10, vcc_lo
	v_mul_f32_e32 v37, 0x3fb8aa3b, v21
	s_waitcnt vmcnt(3)
	v_fmac_f32_e32 v7, v29, v11
	v_cmp_nlt_f32_e32 vcc_lo, 0x42b17218, v21
	v_cndmask_b32_e64 v11, 0, v38, s4
	v_fmac_f32_e32 v8, v10, v20
	v_fma_f32 v51, 0x3fb8aa3b, v21, -v37
	v_rndne_f32_e32 v52, v37
	s_waitcnt vmcnt(2)
	v_fmac_f32_e32 v7, v30, v10
	s_delay_alu instid0(VALU_DEP_3) | instskip(NEXT) | instid1(VALU_DEP_3)
	v_fmac_f32_e32 v51, 0x32a5705f, v21
	v_sub_f32_e32 v37, v37, v52
	v_cvt_i32_f32_e32 v52, v52
	s_delay_alu instid0(VALU_DEP_2) | instskip(NEXT) | instid1(VALU_DEP_1)
	v_add_f32_e32 v37, v37, v51
	v_exp_f32_e32 v37, v37
	s_waitcnt_depctr 0xfff
	v_ldexp_f32 v37, v37, v52
	s_delay_alu instid0(VALU_DEP_1) | instskip(NEXT) | instid1(VALU_DEP_1)
	v_cndmask_b32_e64 v9, 0, v37, s3
	v_cndmask_b32_e32 v9, 0x7f800000, v9, vcc_lo
	v_cmp_nlt_f32_e32 vcc_lo, 0x42b17218, v23
	s_delay_alu instid0(VALU_DEP_2) | instskip(SKIP_3) | instid1(VALU_DEP_1)
	v_fmac_f32_e32 v8, v9, v22
	s_waitcnt vmcnt(1)
	v_dual_cndmask_b32 v10, 0x7f800000, v11 :: v_dual_fmac_f32 v7, v2, v9
	s_waitcnt vmcnt(0)
	v_dual_fmac_f32 v8, v10, v24 :: v_dual_fmac_f32 v7, v3, v10
	s_cbranch_scc0 .LBB33_14
; %bb.15:
	s_and_b32 s0, s11, 7
	s_delay_alu instid0(SALU_CYCLE_1)
	s_cmp_eq_u32 s0, 0
	s_cbranch_scc0 .LBB33_18
	s_branch .LBB33_20
.LBB33_16:
	v_mov_b32_e32 v0, 0x7fc00000
	s_branch .LBB33_21
.LBB33_17:
	v_mov_b32_e32 v8, 0
	s_mov_b32 s12, 0
	s_and_b32 s0, s11, 7
	s_delay_alu instid0(SALU_CYCLE_1)
	s_cmp_eq_u32 s0, 0
	s_cbranch_scc1 .LBB33_20
.LBB33_18:
	v_lshl_or_b32 v0, s12, 8, v0
	v_mov_b32_e32 v1, 0
	s_lshl_b32 s1, s12, 3
	s_delay_alu instid0(SALU_CYCLE_1)
	s_add_i32 s1, s1, 0
	s_set_inst_prefetch_distance 0x1
	.p2align	6
.LBB33_19:                              ; =>This Inner Loop Header: Depth=1
	s_delay_alu instid0(VALU_DEP_1) | instskip(SKIP_2) | instid1(VALU_DEP_2)
	v_lshlrev_b64 v[2:3], 2, v[0:1]
	s_add_i32 s0, s0, -1
	v_add_nc_u32_e32 v0, 0x100, v0
	v_add_co_u32 v2, vcc_lo, s6, v2
	s_delay_alu instid0(VALU_DEP_3)
	v_add_co_ci_u32_e32 v3, vcc_lo, s7, v3, vcc_lo
	global_load_b32 v4, v[2:3], off
	v_mov_b32_e32 v2, s1
	s_add_i32 s1, s1, 8
	s_cmp_lg_u32 s0, 0
	ds_load_b64 v[2:3], v2
	s_waitcnt lgkmcnt(0)
	v_sub_f32_e32 v2, v2, v6
	s_delay_alu instid0(VALU_DEP_1) | instskip(SKIP_1) | instid1(VALU_DEP_2)
	v_mul_f32_e32 v9, 0x3fb8aa3b, v2
	v_cmp_ngt_f32_e32 vcc_lo, 0xc2ce8ed0, v2
	v_fma_f32 v10, 0x3fb8aa3b, v2, -v9
	v_rndne_f32_e32 v11, v9
	s_delay_alu instid0(VALU_DEP_1) | instskip(NEXT) | instid1(VALU_DEP_1)
	v_dual_fmac_f32 v10, 0x32a5705f, v2 :: v_dual_sub_f32 v9, v9, v11
	v_add_f32_e32 v9, v9, v10
	v_cvt_i32_f32_e32 v10, v11
	s_delay_alu instid0(VALU_DEP_2) | instskip(SKIP_2) | instid1(VALU_DEP_1)
	v_exp_f32_e32 v9, v9
	s_waitcnt_depctr 0xfff
	v_ldexp_f32 v9, v9, v10
	v_cndmask_b32_e32 v9, 0, v9, vcc_lo
	v_cmp_nlt_f32_e32 vcc_lo, 0x42b17218, v2
	s_delay_alu instid0(VALU_DEP_2) | instskip(SKIP_1) | instid1(VALU_DEP_1)
	v_cndmask_b32_e32 v2, 0x7f800000, v9, vcc_lo
	s_waitcnt vmcnt(0)
	v_dual_fmac_f32 v8, v2, v3 :: v_dual_fmac_f32 v7, v4, v2
	s_cbranch_scc1 .LBB33_19
.LBB33_20:
	s_set_inst_prefetch_distance 0x2
	s_delay_alu instid0(VALU_DEP_1) | instskip(NEXT) | instid1(VALU_DEP_1)
	v_div_scale_f32 v0, null, v8, v8, v7
	v_rcp_f32_e32 v1, v0
	s_waitcnt_depctr 0xfff
	v_fma_f32 v2, -v0, v1, 1.0
	s_delay_alu instid0(VALU_DEP_1) | instskip(SKIP_1) | instid1(VALU_DEP_1)
	v_fmac_f32_e32 v1, v2, v1
	v_div_scale_f32 v2, vcc_lo, v7, v8, v7
	v_mul_f32_e32 v3, v2, v1
	s_delay_alu instid0(VALU_DEP_1) | instskip(NEXT) | instid1(VALU_DEP_1)
	v_fma_f32 v4, -v0, v3, v2
	v_fmac_f32_e32 v3, v4, v1
	s_delay_alu instid0(VALU_DEP_1) | instskip(NEXT) | instid1(VALU_DEP_1)
	v_fma_f32 v0, -v0, v3, v2
	v_div_fmas_f32 v0, v0, v1, v3
	s_delay_alu instid0(VALU_DEP_1)
	v_div_fixup_f32 v0, v0, v8, v7
.LBB33_21:
	s_lshl_b32 s0, s10, 8
	s_delay_alu instid0(SALU_CYCLE_1) | instskip(NEXT) | instid1(SALU_CYCLE_1)
	s_ashr_i32 s1, s0, 31
	s_lshl_b64 s[0:1], s[0:1], 2
	s_delay_alu instid0(SALU_CYCLE_1)
	s_add_u32 s0, s8, s0
	s_addc_u32 s1, s9, s1
	global_store_b32 v5, v0, s[0:1]
	s_nop 0
	s_sendmsg sendmsg(MSG_DEALLOC_VGPRS)
	s_endpgm
	.section	.rodata,"a",@progbits
	.p2align	6, 0x0
	.amdhsa_kernel _ZL26flash_attn_combine_resultsILi256EEvPKfPK15HIP_vector_typeIfLj2EEPfi
		.amdhsa_group_segment_fixed_size 0
		.amdhsa_private_segment_fixed_size 0
		.amdhsa_kernarg_size 288
		.amdhsa_user_sgpr_count 13
		.amdhsa_user_sgpr_dispatch_ptr 0
		.amdhsa_user_sgpr_queue_ptr 0
		.amdhsa_user_sgpr_kernarg_segment_ptr 1
		.amdhsa_user_sgpr_dispatch_id 0
		.amdhsa_user_sgpr_private_segment_size 0
		.amdhsa_wavefront_size32 1
		.amdhsa_uses_dynamic_stack 0
		.amdhsa_enable_private_segment 0
		.amdhsa_system_sgpr_workgroup_id_x 1
		.amdhsa_system_sgpr_workgroup_id_y 1
		.amdhsa_system_sgpr_workgroup_id_z 1
		.amdhsa_system_sgpr_workgroup_info 0
		.amdhsa_system_vgpr_workitem_id 0
		.amdhsa_next_free_vgpr 55
		.amdhsa_next_free_sgpr 16
		.amdhsa_reserve_vcc 1
		.amdhsa_float_round_mode_32 0
		.amdhsa_float_round_mode_16_64 0
		.amdhsa_float_denorm_mode_32 3
		.amdhsa_float_denorm_mode_16_64 3
		.amdhsa_dx10_clamp 1
		.amdhsa_ieee_mode 1
		.amdhsa_fp16_overflow 0
		.amdhsa_workgroup_processor_mode 1
		.amdhsa_memory_ordered 1
		.amdhsa_forward_progress 0
		.amdhsa_shared_vgpr_count 0
		.amdhsa_exception_fp_ieee_invalid_op 0
		.amdhsa_exception_fp_denorm_src 0
		.amdhsa_exception_fp_ieee_div_zero 0
		.amdhsa_exception_fp_ieee_overflow 0
		.amdhsa_exception_fp_ieee_underflow 0
		.amdhsa_exception_fp_ieee_inexact 0
		.amdhsa_exception_int_div_zero 0
	.end_amdhsa_kernel
	.section	.text._ZL26flash_attn_combine_resultsILi256EEvPKfPK15HIP_vector_typeIfLj2EEPfi,"axG",@progbits,_ZL26flash_attn_combine_resultsILi256EEvPKfPK15HIP_vector_typeIfLj2EEPfi,comdat
.Lfunc_end33:
	.size	_ZL26flash_attn_combine_resultsILi256EEvPKfPK15HIP_vector_typeIfLj2EEPfi, .Lfunc_end33-_ZL26flash_attn_combine_resultsILi256EEvPKfPK15HIP_vector_typeIfLj2EEPfi
                                        ; -- End function
	.section	.AMDGPU.csdata,"",@progbits
; Kernel info:
; codeLenInByte = 2352
; NumSgprs: 18
; NumVgprs: 55
; ScratchSize: 0
; MemoryBound: 0
; FloatMode: 240
; IeeeMode: 1
; LDSByteSize: 0 bytes/workgroup (compile time only)
; SGPRBlocks: 2
; VGPRBlocks: 6
; NumSGPRsForWavesPerEU: 18
; NumVGPRsForWavesPerEU: 55
; Occupancy: 16
; WaveLimiterHint : 0
; COMPUTE_PGM_RSRC2:SCRATCH_EN: 0
; COMPUTE_PGM_RSRC2:USER_SGPR: 13
; COMPUTE_PGM_RSRC2:TRAP_HANDLER: 0
; COMPUTE_PGM_RSRC2:TGID_X_EN: 1
; COMPUTE_PGM_RSRC2:TGID_Y_EN: 1
; COMPUTE_PGM_RSRC2:TGID_Z_EN: 1
; COMPUTE_PGM_RSRC2:TIDIG_COMP_CNT: 0
	.section	.text._ZL18flash_attn_ext_f16ILi512ELi512ELi16ELi4ELb0ELb0EEvPKcS1_S1_S1_S1_PKiPfP15HIP_vector_typeIfLj2EEffffjfiS5_IjLj3EEiiiiiiiiiiiliiliiiiil,"axG",@progbits,_ZL18flash_attn_ext_f16ILi512ELi512ELi16ELi4ELb0ELb0EEvPKcS1_S1_S1_S1_PKiPfP15HIP_vector_typeIfLj2EEffffjfiS5_IjLj3EEiiiiiiiiiiiliiliiiiil,comdat
	.globl	_ZL18flash_attn_ext_f16ILi512ELi512ELi16ELi4ELb0ELb0EEvPKcS1_S1_S1_S1_PKiPfP15HIP_vector_typeIfLj2EEffffjfiS5_IjLj3EEiiiiiiiiiiiliiliiiiil ; -- Begin function _ZL18flash_attn_ext_f16ILi512ELi512ELi16ELi4ELb0ELb0EEvPKcS1_S1_S1_S1_PKiPfP15HIP_vector_typeIfLj2EEffffjfiS5_IjLj3EEiiiiiiiiiiiliiliiiiil
	.p2align	8
	.type	_ZL18flash_attn_ext_f16ILi512ELi512ELi16ELi4ELb0ELb0EEvPKcS1_S1_S1_S1_PKiPfP15HIP_vector_typeIfLj2EEffffjfiS5_IjLj3EEiiiiiiiiiiiliiliiiiil,@function
_ZL18flash_attn_ext_f16ILi512ELi512ELi16ELi4ELb0ELb0EEvPKcS1_S1_S1_S1_PKiPfP15HIP_vector_typeIfLj2EEffffjfiS5_IjLj3EEiiiiiiiiiiiliiliiiiil: ; @_ZL18flash_attn_ext_f16ILi512ELi512ELi16ELi4ELb0ELb0EEvPKcS1_S1_S1_S1_PKiPfP15HIP_vector_typeIfLj2EEffffjfiS5_IjLj3EEiiiiiiiiiiiliiliiiiil
; %bb.0:
	v_mov_b32_e32 v0, 0x6e3
	s_add_u32 s8, s0, 0xd0
	s_addc_u32 s9, s1, 0
	s_mov_b32 s32, 0
	s_getpc_b64 s[0:1]
	s_add_u32 s0, s0, _ZL14no_device_codePKciS0_iS0_@rel32@lo+4
	s_addc_u32 s1, s1, _ZL14no_device_codePKciS0_iS0_@rel32@hi+12
	s_delay_alu instid0(SALU_CYCLE_1)
	s_swappc_b64 s[30:31], s[0:1]
	.section	.rodata,"a",@progbits
	.p2align	6, 0x0
	.amdhsa_kernel _ZL18flash_attn_ext_f16ILi512ELi512ELi16ELi4ELb0ELb0EEvPKcS1_S1_S1_S1_PKiPfP15HIP_vector_typeIfLj2EEffffjfiS5_IjLj3EEiiiiiiiiiiiliiliiiiil
		.amdhsa_group_segment_fixed_size 0
		.amdhsa_private_segment_fixed_size 16
		.amdhsa_kernarg_size 464
		.amdhsa_user_sgpr_count 15
		.amdhsa_user_sgpr_dispatch_ptr 0
		.amdhsa_user_sgpr_queue_ptr 0
		.amdhsa_user_sgpr_kernarg_segment_ptr 1
		.amdhsa_user_sgpr_dispatch_id 0
		.amdhsa_user_sgpr_private_segment_size 0
		.amdhsa_wavefront_size32 1
		.amdhsa_uses_dynamic_stack 0
		.amdhsa_enable_private_segment 1
		.amdhsa_system_sgpr_workgroup_id_x 1
		.amdhsa_system_sgpr_workgroup_id_y 0
		.amdhsa_system_sgpr_workgroup_id_z 0
		.amdhsa_system_sgpr_workgroup_info 0
		.amdhsa_system_vgpr_workitem_id 0
		.amdhsa_next_free_vgpr 37
		.amdhsa_next_free_sgpr 34
		.amdhsa_reserve_vcc 1
		.amdhsa_float_round_mode_32 0
		.amdhsa_float_round_mode_16_64 0
		.amdhsa_float_denorm_mode_32 3
		.amdhsa_float_denorm_mode_16_64 3
		.amdhsa_dx10_clamp 1
		.amdhsa_ieee_mode 1
		.amdhsa_fp16_overflow 0
		.amdhsa_workgroup_processor_mode 1
		.amdhsa_memory_ordered 1
		.amdhsa_forward_progress 0
		.amdhsa_shared_vgpr_count 0
		.amdhsa_exception_fp_ieee_invalid_op 0
		.amdhsa_exception_fp_denorm_src 0
		.amdhsa_exception_fp_ieee_div_zero 0
		.amdhsa_exception_fp_ieee_overflow 0
		.amdhsa_exception_fp_ieee_underflow 0
		.amdhsa_exception_fp_ieee_inexact 0
		.amdhsa_exception_int_div_zero 0
	.end_amdhsa_kernel
	.section	.text._ZL18flash_attn_ext_f16ILi512ELi512ELi16ELi4ELb0ELb0EEvPKcS1_S1_S1_S1_PKiPfP15HIP_vector_typeIfLj2EEffffjfiS5_IjLj3EEiiiiiiiiiiiliiliiiiil,"axG",@progbits,_ZL18flash_attn_ext_f16ILi512ELi512ELi16ELi4ELb0ELb0EEvPKcS1_S1_S1_S1_PKiPfP15HIP_vector_typeIfLj2EEffffjfiS5_IjLj3EEiiiiiiiiiiiliiliiiiil,comdat
.Lfunc_end34:
	.size	_ZL18flash_attn_ext_f16ILi512ELi512ELi16ELi4ELb0ELb0EEvPKcS1_S1_S1_S1_PKiPfP15HIP_vector_typeIfLj2EEffffjfiS5_IjLj3EEiiiiiiiiiiiliiliiiiil, .Lfunc_end34-_ZL18flash_attn_ext_f16ILi512ELi512ELi16ELi4ELb0ELb0EEvPKcS1_S1_S1_S1_PKiPfP15HIP_vector_typeIfLj2EEffffjfiS5_IjLj3EEiiiiiiiiiiiliiliiiiil
                                        ; -- End function
	.section	.AMDGPU.csdata,"",@progbits
; Kernel info:
; codeLenInByte = 52
; NumSgprs: 36
; NumVgprs: 37
; ScratchSize: 16
; MemoryBound: 0
; FloatMode: 240
; IeeeMode: 1
; LDSByteSize: 0 bytes/workgroup (compile time only)
; SGPRBlocks: 4
; VGPRBlocks: 4
; NumSGPRsForWavesPerEU: 36
; NumVGPRsForWavesPerEU: 37
; Occupancy: 16
; WaveLimiterHint : 1
; COMPUTE_PGM_RSRC2:SCRATCH_EN: 1
; COMPUTE_PGM_RSRC2:USER_SGPR: 15
; COMPUTE_PGM_RSRC2:TRAP_HANDLER: 0
; COMPUTE_PGM_RSRC2:TGID_X_EN: 1
; COMPUTE_PGM_RSRC2:TGID_Y_EN: 0
; COMPUTE_PGM_RSRC2:TGID_Z_EN: 0
; COMPUTE_PGM_RSRC2:TIDIG_COMP_CNT: 0
	.section	.text._ZL18flash_attn_ext_f16ILi512ELi512ELi16ELi4ELb1ELb0EEvPKcS1_S1_S1_S1_PKiPfP15HIP_vector_typeIfLj2EEffffjfiS5_IjLj3EEiiiiiiiiiiiliiliiiiil,"axG",@progbits,_ZL18flash_attn_ext_f16ILi512ELi512ELi16ELi4ELb1ELb0EEvPKcS1_S1_S1_S1_PKiPfP15HIP_vector_typeIfLj2EEffffjfiS5_IjLj3EEiiiiiiiiiiiliiliiiiil,comdat
	.globl	_ZL18flash_attn_ext_f16ILi512ELi512ELi16ELi4ELb1ELb0EEvPKcS1_S1_S1_S1_PKiPfP15HIP_vector_typeIfLj2EEffffjfiS5_IjLj3EEiiiiiiiiiiiliiliiiiil ; -- Begin function _ZL18flash_attn_ext_f16ILi512ELi512ELi16ELi4ELb1ELb0EEvPKcS1_S1_S1_S1_PKiPfP15HIP_vector_typeIfLj2EEffffjfiS5_IjLj3EEiiiiiiiiiiiliiliiiiil
	.p2align	8
	.type	_ZL18flash_attn_ext_f16ILi512ELi512ELi16ELi4ELb1ELb0EEvPKcS1_S1_S1_S1_PKiPfP15HIP_vector_typeIfLj2EEffffjfiS5_IjLj3EEiiiiiiiiiiiliiliiiiil,@function
_ZL18flash_attn_ext_f16ILi512ELi512ELi16ELi4ELb1ELb0EEvPKcS1_S1_S1_S1_PKiPfP15HIP_vector_typeIfLj2EEffffjfiS5_IjLj3EEiiiiiiiiiiiliiliiiiil: ; @_ZL18flash_attn_ext_f16ILi512ELi512ELi16ELi4ELb1ELb0EEvPKcS1_S1_S1_S1_PKiPfP15HIP_vector_typeIfLj2EEffffjfiS5_IjLj3EEiiiiiiiiiiiliiliiiiil
; %bb.0:
	v_mov_b32_e32 v0, 0x6e3
	s_add_u32 s8, s0, 0xd0
	s_addc_u32 s9, s1, 0
	s_mov_b32 s32, 0
	s_getpc_b64 s[0:1]
	s_add_u32 s0, s0, _ZL14no_device_codePKciS0_iS0_@rel32@lo+4
	s_addc_u32 s1, s1, _ZL14no_device_codePKciS0_iS0_@rel32@hi+12
	s_delay_alu instid0(SALU_CYCLE_1)
	s_swappc_b64 s[30:31], s[0:1]
	.section	.rodata,"a",@progbits
	.p2align	6, 0x0
	.amdhsa_kernel _ZL18flash_attn_ext_f16ILi512ELi512ELi16ELi4ELb1ELb0EEvPKcS1_S1_S1_S1_PKiPfP15HIP_vector_typeIfLj2EEffffjfiS5_IjLj3EEiiiiiiiiiiiliiliiiiil
		.amdhsa_group_segment_fixed_size 0
		.amdhsa_private_segment_fixed_size 16
		.amdhsa_kernarg_size 464
		.amdhsa_user_sgpr_count 15
		.amdhsa_user_sgpr_dispatch_ptr 0
		.amdhsa_user_sgpr_queue_ptr 0
		.amdhsa_user_sgpr_kernarg_segment_ptr 1
		.amdhsa_user_sgpr_dispatch_id 0
		.amdhsa_user_sgpr_private_segment_size 0
		.amdhsa_wavefront_size32 1
		.amdhsa_uses_dynamic_stack 0
		.amdhsa_enable_private_segment 1
		.amdhsa_system_sgpr_workgroup_id_x 1
		.amdhsa_system_sgpr_workgroup_id_y 0
		.amdhsa_system_sgpr_workgroup_id_z 0
		.amdhsa_system_sgpr_workgroup_info 0
		.amdhsa_system_vgpr_workitem_id 0
		.amdhsa_next_free_vgpr 37
		.amdhsa_next_free_sgpr 34
		.amdhsa_reserve_vcc 1
		.amdhsa_float_round_mode_32 0
		.amdhsa_float_round_mode_16_64 0
		.amdhsa_float_denorm_mode_32 3
		.amdhsa_float_denorm_mode_16_64 3
		.amdhsa_dx10_clamp 1
		.amdhsa_ieee_mode 1
		.amdhsa_fp16_overflow 0
		.amdhsa_workgroup_processor_mode 1
		.amdhsa_memory_ordered 1
		.amdhsa_forward_progress 0
		.amdhsa_shared_vgpr_count 0
		.amdhsa_exception_fp_ieee_invalid_op 0
		.amdhsa_exception_fp_denorm_src 0
		.amdhsa_exception_fp_ieee_div_zero 0
		.amdhsa_exception_fp_ieee_overflow 0
		.amdhsa_exception_fp_ieee_underflow 0
		.amdhsa_exception_fp_ieee_inexact 0
		.amdhsa_exception_int_div_zero 0
	.end_amdhsa_kernel
	.section	.text._ZL18flash_attn_ext_f16ILi512ELi512ELi16ELi4ELb1ELb0EEvPKcS1_S1_S1_S1_PKiPfP15HIP_vector_typeIfLj2EEffffjfiS5_IjLj3EEiiiiiiiiiiiliiliiiiil,"axG",@progbits,_ZL18flash_attn_ext_f16ILi512ELi512ELi16ELi4ELb1ELb0EEvPKcS1_S1_S1_S1_PKiPfP15HIP_vector_typeIfLj2EEffffjfiS5_IjLj3EEiiiiiiiiiiiliiliiiiil,comdat
.Lfunc_end35:
	.size	_ZL18flash_attn_ext_f16ILi512ELi512ELi16ELi4ELb1ELb0EEvPKcS1_S1_S1_S1_PKiPfP15HIP_vector_typeIfLj2EEffffjfiS5_IjLj3EEiiiiiiiiiiiliiliiiiil, .Lfunc_end35-_ZL18flash_attn_ext_f16ILi512ELi512ELi16ELi4ELb1ELb0EEvPKcS1_S1_S1_S1_PKiPfP15HIP_vector_typeIfLj2EEffffjfiS5_IjLj3EEiiiiiiiiiiiliiliiiiil
                                        ; -- End function
	.section	.AMDGPU.csdata,"",@progbits
; Kernel info:
; codeLenInByte = 52
; NumSgprs: 36
; NumVgprs: 37
; ScratchSize: 16
; MemoryBound: 0
; FloatMode: 240
; IeeeMode: 1
; LDSByteSize: 0 bytes/workgroup (compile time only)
; SGPRBlocks: 4
; VGPRBlocks: 4
; NumSGPRsForWavesPerEU: 36
; NumVGPRsForWavesPerEU: 37
; Occupancy: 16
; WaveLimiterHint : 1
; COMPUTE_PGM_RSRC2:SCRATCH_EN: 1
; COMPUTE_PGM_RSRC2:USER_SGPR: 15
; COMPUTE_PGM_RSRC2:TRAP_HANDLER: 0
; COMPUTE_PGM_RSRC2:TGID_X_EN: 1
; COMPUTE_PGM_RSRC2:TGID_Y_EN: 0
; COMPUTE_PGM_RSRC2:TGID_Z_EN: 0
; COMPUTE_PGM_RSRC2:TIDIG_COMP_CNT: 0
	.section	.text._ZL33flash_attn_stream_k_fixup_uniformILi512ELi16ELi4EEvPfPK15HIP_vector_typeIfLj2EEiiiiiiS1_IjLj3EES5_S5_,"axG",@progbits,_ZL33flash_attn_stream_k_fixup_uniformILi512ELi16ELi4EEvPfPK15HIP_vector_typeIfLj2EEiiiiiiS1_IjLj3EES5_S5_,comdat
	.globl	_ZL33flash_attn_stream_k_fixup_uniformILi512ELi16ELi4EEvPfPK15HIP_vector_typeIfLj2EEiiiiiiS1_IjLj3EES5_S5_ ; -- Begin function _ZL33flash_attn_stream_k_fixup_uniformILi512ELi16ELi4EEvPfPK15HIP_vector_typeIfLj2EEiiiiiiS1_IjLj3EES5_S5_
	.p2align	8
	.type	_ZL33flash_attn_stream_k_fixup_uniformILi512ELi16ELi4EEvPfPK15HIP_vector_typeIfLj2EEiiiiiiS1_IjLj3EES5_S5_,@function
_ZL33flash_attn_stream_k_fixup_uniformILi512ELi16ELi4EEvPfPK15HIP_vector_typeIfLj2EEiiiiiiS1_IjLj3EES5_S5_: ; @_ZL33flash_attn_stream_k_fixup_uniformILi512ELi16ELi4EEvPfPK15HIP_vector_typeIfLj2EEiiiiiiS1_IjLj3EES5_S5_
; %bb.0:
	s_clause 0x1
	s_load_b256 s[4:11], s[0:1], 0x1c
	s_load_b128 s[16:19], s[0:1], 0x3c
	s_waitcnt lgkmcnt(0)
	s_mul_hi_u32 s2, s7, s13
	s_delay_alu instid0(SALU_CYCLE_1) | instskip(NEXT) | instid1(SALU_CYCLE_1)
	s_add_i32 s2, s13, s2
	s_lshr_b32 s2, s2, s8
	s_delay_alu instid0(SALU_CYCLE_1) | instskip(SKIP_2) | instid1(SALU_CYCLE_1)
	s_mul_i32 s3, s2, s9
	s_load_b64 s[8:9], s[0:1], 0x10
	s_sub_i32 s7, s13, s3
	s_mul_hi_u32 s3, s7, s10
	s_delay_alu instid0(SALU_CYCLE_1) | instskip(NEXT) | instid1(SALU_CYCLE_1)
	s_add_i32 s3, s7, s3
	s_lshr_b32 s3, s3, s11
	s_delay_alu instid0(SALU_CYCLE_1) | instskip(NEXT) | instid1(SALU_CYCLE_1)
	s_mul_i32 s10, s3, s16
	s_sub_i32 s7, s7, s10
	s_delay_alu instid0(SALU_CYCLE_1) | instskip(NEXT) | instid1(SALU_CYCLE_1)
	s_mul_hi_u32 s10, s7, s17
	s_add_i32 s10, s7, s10
	s_delay_alu instid0(SALU_CYCLE_1) | instskip(NEXT) | instid1(SALU_CYCLE_1)
	s_lshr_b32 s10, s10, s18
	s_mul_i32 s11, s10, s19
	s_lshl_b32 s10, s10, 2
	s_sub_i32 s7, s7, s11
	s_delay_alu instid0(SALU_CYCLE_1) | instskip(NEXT) | instid1(SALU_CYCLE_1)
	s_lshl_b32 s11, s7, 4
	s_add_i32 s11, s11, s14
	s_waitcnt lgkmcnt(0)
	s_cmp_lt_i32 s11, s8
	s_cselect_b32 s11, -1, 0
	s_add_i32 s12, s10, s15
	s_delay_alu instid0(SALU_CYCLE_1) | instskip(SKIP_1) | instid1(SALU_CYCLE_1)
	s_cmp_lt_i32 s12, s5
	s_cselect_b32 s12, -1, 0
	s_and_b32 s11, s11, s12
	s_delay_alu instid0(SALU_CYCLE_1)
	s_and_not1_b32 vcc_lo, exec_lo, s11
	s_cbranch_vccnz .LBB36_6
; %bb.1:
	s_mul_i32 s2, s2, s8
	s_mul_i32 s5, s3, s5
	s_add_i32 s2, s2, s14
	s_mul_i32 s7, s9, s7
	s_mul_i32 s2, s2, s9
	s_lshl_b32 s7, s7, 13
	s_add_i32 s8, s2, s15
	s_load_b128 s[0:3], s[0:1], 0x0
	s_add_i32 s5, s8, s5
	s_lshl_b32 s9, s14, 2
	s_add_i32 s5, s5, s10
	s_delay_alu instid0(SALU_CYCLE_1) | instskip(NEXT) | instid1(SALU_CYCLE_1)
	s_lshl_b32 s5, s5, 9
	s_add_i32 s7, s7, s5
	s_mul_i32 s5, s13, s6
	v_or_b32_e32 v1, s7, v0
	s_add_i32 s10, s5, s6
	s_delay_alu instid0(VALU_DEP_1) | instskip(NEXT) | instid1(VALU_DEP_1)
	v_ashrrev_i32_e32 v2, 31, v1
	v_lshlrev_b64 v[1:2], 2, v[1:2]
	s_waitcnt lgkmcnt(0)
	s_delay_alu instid0(VALU_DEP_1) | instskip(NEXT) | instid1(VALU_DEP_2)
	v_add_co_u32 v1, vcc_lo, s0, v1
	v_add_co_ci_u32_e32 v2, vcc_lo, s1, v2, vcc_lo
	s_add_i32 s0, s9, s15
	s_lshl_b32 s1, s10, 6
	s_delay_alu instid0(SALU_CYCLE_1) | instskip(SKIP_2) | instid1(SALU_CYCLE_1)
	s_add_i32 s0, s0, s1
	global_load_b32 v5, v[1:2], off
	s_sub_i32 s0, s0, 64
	s_ashr_i32 s1, s0, 31
	s_delay_alu instid0(SALU_CYCLE_1) | instskip(NEXT) | instid1(SALU_CYCLE_1)
	s_lshl_b64 s[0:1], s[0:1], 3
	s_add_u32 s0, s2, s0
	s_addc_u32 s1, s3, s1
	s_add_i32 s7, s10, -2
	s_load_b32 s11, s[0:1], 0x4
	s_cmp_lt_i32 s7, s5
	s_cbranch_scc1 .LBB36_4
; %bb.2:
	s_lshl_b32 s16, s4, 8
	s_load_b32 s12, s[0:1], 0x0
	s_ashr_i32 s17, s16, 31
	s_delay_alu instid0(SALU_CYCLE_1) | instskip(NEXT) | instid1(SALU_CYCLE_1)
	s_lshl_b64 s[0:1], s[16:17], 2
	s_add_u32 s7, s2, s0
	s_addc_u32 s8, s3, s1
	s_add_i32 s13, s13, 1
	s_lshl_b32 s0, s14, 11
	s_lshl_b32 s1, s15, 9
	s_mul_i32 s6, s6, s13
	s_add_i32 s0, s1, s0
	s_lshl_b32 s1, s6, 15
	s_delay_alu instid0(SALU_CYCLE_1)
	s_add_i32 s0, s0, s1
	s_lshl_b32 s1, s6, 6
	v_or_b32_e32 v0, s0, v0
	s_lshl_b32 s0, s4, 6
	s_add_i32 s1, s15, s1
	s_waitcnt lgkmcnt(0)
	v_mov_b32_e32 v6, s11
	s_add_i32 s0, s1, s0
	v_dual_mov_b32 v0, s12 :: v_dual_add_nc_u32 v3, 0xffff0000, v0
	s_add_i32 s0, s0, s9
	s_add_i32 s4, s10, -1
	s_addk_i32 s0, 0xff80
.LBB36_3:                               ; =>This Inner Loop Header: Depth=1
	s_delay_alu instid0(VALU_DEP_1) | instskip(SKIP_1) | instid1(SALU_CYCLE_1)
	v_ashrrev_i32_e32 v4, 31, v3
	s_ashr_i32 s1, s0, 31
	s_lshl_b64 s[10:11], s[0:1], 3
	s_delay_alu instid0(SALU_CYCLE_1) | instskip(NEXT) | instid1(VALU_DEP_1)
	s_add_u32 s10, s2, s10
	v_lshlrev_b64 v[7:8], 2, v[3:4]
	s_addc_u32 s11, s3, s11
	s_add_i32 s4, s4, -1
	s_sub_i32 s0, s0, 64
	s_cmp_le_i32 s4, s5
	s_load_b64 s[10:11], s[10:11], 0x0
	v_add_co_u32 v7, vcc_lo, s7, v7
	v_add_co_ci_u32_e32 v8, vcc_lo, s8, v8, vcc_lo
	global_load_b32 v4, v[7:8], off
	v_max_f32_e32 v7, v0, v0
	s_waitcnt lgkmcnt(0)
	v_max_f32_e64 v8, s10, s10
	s_delay_alu instid0(VALU_DEP_1) | instskip(NEXT) | instid1(VALU_DEP_1)
	v_max_f32_e32 v7, v7, v8
	v_sub_f32_e32 v8, s10, v7
	s_delay_alu instid0(VALU_DEP_1) | instskip(NEXT) | instid1(VALU_DEP_1)
	v_dual_sub_f32 v0, v0, v7 :: v_dual_mul_f32 v9, 0x3fb8aa3b, v8
	v_fma_f32 v10, 0x3fb8aa3b, v8, -v9
	v_rndne_f32_e32 v11, v9
	s_delay_alu instid0(VALU_DEP_3) | instskip(NEXT) | instid1(VALU_DEP_2)
	v_mul_f32_e32 v12, 0x3fb8aa3b, v0
	v_dual_fmac_f32 v10, 0x32a5705f, v8 :: v_dual_sub_f32 v9, v9, v11
	v_cvt_i32_f32_e32 v11, v11
	s_delay_alu instid0(VALU_DEP_3) | instskip(SKIP_1) | instid1(VALU_DEP_4)
	v_fma_f32 v13, 0x3fb8aa3b, v0, -v12
	v_rndne_f32_e32 v14, v12
	v_add_f32_e32 v9, v9, v10
	v_cmp_ngt_f32_e32 vcc_lo, 0xc2ce8ed0, v8
	s_delay_alu instid0(VALU_DEP_3) | instskip(NEXT) | instid1(VALU_DEP_3)
	v_sub_f32_e32 v10, v12, v14
	v_exp_f32_e32 v9, v9
	s_waitcnt_depctr 0xfff
	v_ldexp_f32 v9, v9, v11
	v_cvt_i32_f32_e32 v11, v14
	s_delay_alu instid0(VALU_DEP_2) | instskip(SKIP_1) | instid1(VALU_DEP_2)
	v_cndmask_b32_e32 v9, 0, v9, vcc_lo
	v_cmp_nlt_f32_e32 vcc_lo, 0x42b17218, v8
	v_cndmask_b32_e32 v9, 0x7f800000, v9, vcc_lo
	v_cmp_ngt_f32_e32 vcc_lo, 0xc2ce8ed0, v0
	v_fmac_f32_e32 v13, 0x32a5705f, v0
	s_delay_alu instid0(VALU_DEP_1) | instskip(NEXT) | instid1(VALU_DEP_1)
	v_add_f32_e32 v10, v10, v13
	v_exp_f32_e32 v10, v10
	s_waitcnt_depctr 0xfff
	v_ldexp_f32 v10, v10, v11
	s_delay_alu instid0(VALU_DEP_1)
	v_dual_mov_b32 v11, v6 :: v_dual_cndmask_b32 v10, 0, v10
	v_cmp_le_f32_e32 vcc_lo, 0xc1a00000, v8
	s_waitcnt vmcnt(1)
	v_dual_cndmask_b32 v8, 0, v9 :: v_dual_mov_b32 v9, v5
	v_cmp_nlt_f32_e32 vcc_lo, 0x42b17218, v0
	v_cndmask_b32_e32 v5, 0x7f800000, v10, vcc_lo
	s_delay_alu instid0(VALU_DEP_3) | instskip(SKIP_2) | instid1(VALU_DEP_3)
	v_mul_f32_e32 v10, s11, v8
	v_cmp_le_f32_e32 vcc_lo, 0xc1a00000, v0
	v_mov_b32_e32 v0, v7
	v_mov_b32_e32 v6, v10
	s_waitcnt vmcnt(0)
	v_dual_cndmask_b32 v12, 0, v5 :: v_dual_mul_f32 v5, v4, v8
	s_delay_alu instid0(VALU_DEP_1) | instskip(NEXT) | instid1(VALU_DEP_2)
	v_dual_fmac_f32 v6, v11, v12 :: v_dual_add_nc_u32 v3, 0xffff8000, v3
	v_fmac_f32_e32 v5, v9, v12
	s_cbranch_scc0 .LBB36_3
	s_branch .LBB36_5
.LBB36_4:
	s_waitcnt lgkmcnt(0)
	v_mov_b32_e32 v6, s11
.LBB36_5:
	s_waitcnt vmcnt(0)
	s_delay_alu instid0(VALU_DEP_1) | instskip(NEXT) | instid1(VALU_DEP_1)
	v_div_scale_f32 v0, null, v6, v6, v5
	v_rcp_f32_e32 v3, v0
	s_waitcnt_depctr 0xfff
	v_fma_f32 v4, -v0, v3, 1.0
	s_delay_alu instid0(VALU_DEP_1) | instskip(SKIP_1) | instid1(VALU_DEP_1)
	v_fmac_f32_e32 v3, v4, v3
	v_div_scale_f32 v4, vcc_lo, v5, v6, v5
	v_mul_f32_e32 v7, v4, v3
	s_delay_alu instid0(VALU_DEP_1) | instskip(NEXT) | instid1(VALU_DEP_1)
	v_fma_f32 v8, -v0, v7, v4
	v_fmac_f32_e32 v7, v8, v3
	s_delay_alu instid0(VALU_DEP_1) | instskip(NEXT) | instid1(VALU_DEP_1)
	v_fma_f32 v0, -v0, v7, v4
	v_div_fmas_f32 v0, v0, v3, v7
	s_delay_alu instid0(VALU_DEP_1)
	v_div_fixup_f32 v0, v0, v6, v5
	global_store_b32 v[1:2], v0, off
.LBB36_6:
	s_nop 0
	s_sendmsg sendmsg(MSG_DEALLOC_VGPRS)
	s_endpgm
	.section	.rodata,"a",@progbits
	.p2align	6, 0x0
	.amdhsa_kernel _ZL33flash_attn_stream_k_fixup_uniformILi512ELi16ELi4EEvPfPK15HIP_vector_typeIfLj2EEiiiiiiS1_IjLj3EES5_S5_
		.amdhsa_group_segment_fixed_size 0
		.amdhsa_private_segment_fixed_size 0
		.amdhsa_kernarg_size 76
		.amdhsa_user_sgpr_count 13
		.amdhsa_user_sgpr_dispatch_ptr 0
		.amdhsa_user_sgpr_queue_ptr 0
		.amdhsa_user_sgpr_kernarg_segment_ptr 1
		.amdhsa_user_sgpr_dispatch_id 0
		.amdhsa_user_sgpr_private_segment_size 0
		.amdhsa_wavefront_size32 1
		.amdhsa_uses_dynamic_stack 0
		.amdhsa_enable_private_segment 0
		.amdhsa_system_sgpr_workgroup_id_x 1
		.amdhsa_system_sgpr_workgroup_id_y 1
		.amdhsa_system_sgpr_workgroup_id_z 1
		.amdhsa_system_sgpr_workgroup_info 0
		.amdhsa_system_vgpr_workitem_id 0
		.amdhsa_next_free_vgpr 15
		.amdhsa_next_free_sgpr 20
		.amdhsa_reserve_vcc 1
		.amdhsa_float_round_mode_32 0
		.amdhsa_float_round_mode_16_64 0
		.amdhsa_float_denorm_mode_32 3
		.amdhsa_float_denorm_mode_16_64 3
		.amdhsa_dx10_clamp 1
		.amdhsa_ieee_mode 1
		.amdhsa_fp16_overflow 0
		.amdhsa_workgroup_processor_mode 1
		.amdhsa_memory_ordered 1
		.amdhsa_forward_progress 0
		.amdhsa_shared_vgpr_count 0
		.amdhsa_exception_fp_ieee_invalid_op 0
		.amdhsa_exception_fp_denorm_src 0
		.amdhsa_exception_fp_ieee_div_zero 0
		.amdhsa_exception_fp_ieee_overflow 0
		.amdhsa_exception_fp_ieee_underflow 0
		.amdhsa_exception_fp_ieee_inexact 0
		.amdhsa_exception_int_div_zero 0
	.end_amdhsa_kernel
	.section	.text._ZL33flash_attn_stream_k_fixup_uniformILi512ELi16ELi4EEvPfPK15HIP_vector_typeIfLj2EEiiiiiiS1_IjLj3EES5_S5_,"axG",@progbits,_ZL33flash_attn_stream_k_fixup_uniformILi512ELi16ELi4EEvPfPK15HIP_vector_typeIfLj2EEiiiiiiS1_IjLj3EES5_S5_,comdat
.Lfunc_end36:
	.size	_ZL33flash_attn_stream_k_fixup_uniformILi512ELi16ELi4EEvPfPK15HIP_vector_typeIfLj2EEiiiiiiS1_IjLj3EES5_S5_, .Lfunc_end36-_ZL33flash_attn_stream_k_fixup_uniformILi512ELi16ELi4EEvPfPK15HIP_vector_typeIfLj2EEiiiiiiS1_IjLj3EES5_S5_
                                        ; -- End function
	.section	.AMDGPU.csdata,"",@progbits
; Kernel info:
; codeLenInByte = 996
; NumSgprs: 22
; NumVgprs: 15
; ScratchSize: 0
; MemoryBound: 0
; FloatMode: 240
; IeeeMode: 1
; LDSByteSize: 0 bytes/workgroup (compile time only)
; SGPRBlocks: 2
; VGPRBlocks: 1
; NumSGPRsForWavesPerEU: 22
; NumVGPRsForWavesPerEU: 15
; Occupancy: 16
; WaveLimiterHint : 0
; COMPUTE_PGM_RSRC2:SCRATCH_EN: 0
; COMPUTE_PGM_RSRC2:USER_SGPR: 13
; COMPUTE_PGM_RSRC2:TRAP_HANDLER: 0
; COMPUTE_PGM_RSRC2:TGID_X_EN: 1
; COMPUTE_PGM_RSRC2:TGID_Y_EN: 1
; COMPUTE_PGM_RSRC2:TGID_Z_EN: 1
; COMPUTE_PGM_RSRC2:TIDIG_COMP_CNT: 0
	.section	.text._ZL33flash_attn_stream_k_fixup_generalILi512ELi16ELi4EEvPfPK15HIP_vector_typeIfLj2EEiiiiS1_IjLj3EES5_S5_S5_,"axG",@progbits,_ZL33flash_attn_stream_k_fixup_generalILi512ELi16ELi4EEvPfPK15HIP_vector_typeIfLj2EEiiiiS1_IjLj3EES5_S5_S5_,comdat
	.globl	_ZL33flash_attn_stream_k_fixup_generalILi512ELi16ELi4EEvPfPK15HIP_vector_typeIfLj2EEiiiiS1_IjLj3EES5_S5_S5_ ; -- Begin function _ZL33flash_attn_stream_k_fixup_generalILi512ELi16ELi4EEvPfPK15HIP_vector_typeIfLj2EEiiiiS1_IjLj3EES5_S5_S5_
	.p2align	8
	.type	_ZL33flash_attn_stream_k_fixup_generalILi512ELi16ELi4EEvPfPK15HIP_vector_typeIfLj2EEiiiiS1_IjLj3EES5_S5_S5_,@function
_ZL33flash_attn_stream_k_fixup_generalILi512ELi16ELi4EEvPfPK15HIP_vector_typeIfLj2EEiiiiS1_IjLj3EES5_S5_S5_: ; @_ZL33flash_attn_stream_k_fixup_generalILi512ELi16ELi4EEvPfPK15HIP_vector_typeIfLj2EEiiiiS1_IjLj3EES5_S5_S5_
; %bb.0:
	s_clause 0x1
	s_load_b128 s[4:7], s[0:1], 0x10
	s_load_b32 s20, s[0:1], 0x50
	s_mov_b32 s2, 0
	s_waitcnt lgkmcnt(0)
	s_mul_hi_i32 s3, s7, s13
	s_mul_i32 s12, s7, s13
	s_cmp_lg_u64 s[2:3], 0
	s_cbranch_scc0 .LBB37_21
; %bb.1:
	v_cvt_f32_ubyte0_e32 v1, 0
	v_cvt_f32_u32_e32 v2, s20
	s_sub_u32 s10, 0, s20
	s_subb_u32 s11, 0, 0
	s_delay_alu instid0(VALU_DEP_1) | instskip(NEXT) | instid1(VALU_DEP_1)
	v_fmamk_f32 v1, v1, 0x4f800000, v2
	v_rcp_f32_e32 v1, v1
	s_waitcnt_depctr 0xfff
	v_mul_f32_e32 v1, 0x5f7ffffc, v1
	s_delay_alu instid0(VALU_DEP_1) | instskip(NEXT) | instid1(VALU_DEP_1)
	v_mul_f32_e32 v2, 0x2f800000, v1
	v_trunc_f32_e32 v2, v2
	s_delay_alu instid0(VALU_DEP_1) | instskip(SKIP_1) | instid1(VALU_DEP_2)
	v_fmamk_f32 v1, v2, 0xcf800000, v1
	v_cvt_u32_f32_e32 v2, v2
	v_cvt_u32_f32_e32 v1, v1
	s_delay_alu instid0(VALU_DEP_2) | instskip(NEXT) | instid1(VALU_DEP_2)
	v_readfirstlane_b32 s8, v2
	v_readfirstlane_b32 s9, v1
	s_delay_alu instid0(VALU_DEP_2) | instskip(NEXT) | instid1(VALU_DEP_1)
	s_mul_i32 s16, s10, s8
	s_mul_hi_u32 s18, s10, s9
	s_mul_i32 s17, s11, s9
	s_add_i32 s16, s18, s16
	s_mul_i32 s19, s10, s9
	s_add_i32 s16, s16, s17
	s_mul_hi_u32 s18, s9, s19
	s_mul_hi_u32 s21, s8, s19
	s_mul_i32 s17, s8, s19
	s_mul_hi_u32 s19, s9, s16
	s_mul_i32 s9, s9, s16
	s_mul_hi_u32 s22, s8, s16
	s_add_u32 s9, s18, s9
	s_addc_u32 s18, 0, s19
	s_add_u32 s9, s9, s17
	s_mul_i32 s16, s8, s16
	s_addc_u32 s9, s18, s21
	s_addc_u32 s17, s22, 0
	s_add_u32 s9, s9, s16
	s_addc_u32 s16, 0, s17
	v_add_co_u32 v1, s9, v1, s9
	s_delay_alu instid0(VALU_DEP_1) | instskip(SKIP_1) | instid1(VALU_DEP_1)
	s_cmp_lg_u32 s9, 0
	s_addc_u32 s8, s8, s16
	v_readfirstlane_b32 s9, v1
	s_mul_i32 s16, s10, s8
	s_delay_alu instid0(VALU_DEP_1)
	s_mul_hi_u32 s17, s10, s9
	s_mul_i32 s11, s11, s9
	s_add_i32 s16, s17, s16
	s_mul_i32 s10, s10, s9
	s_add_i32 s16, s16, s11
	s_mul_hi_u32 s17, s8, s10
	s_mul_i32 s18, s8, s10
	s_mul_hi_u32 s10, s9, s10
	s_mul_hi_u32 s19, s9, s16
	s_mul_i32 s9, s9, s16
	s_mul_hi_u32 s11, s8, s16
	s_add_u32 s9, s10, s9
	s_addc_u32 s10, 0, s19
	s_add_u32 s9, s9, s18
	s_mul_i32 s16, s8, s16
	s_addc_u32 s9, s10, s17
	s_addc_u32 s10, s11, 0
	s_add_u32 s9, s9, s16
	s_addc_u32 s10, 0, s10
	v_add_co_u32 v1, s9, v1, s9
	s_delay_alu instid0(VALU_DEP_1) | instskip(SKIP_2) | instid1(SALU_CYCLE_1)
	s_cmp_lg_u32 s9, 0
	s_addc_u32 s16, s8, s10
	s_ashr_i32 s8, s3, 31
	s_add_u32 s10, s12, s8
	s_addc_u32 s11, s3, s8
	v_readfirstlane_b32 s3, v1
	s_mov_b32 s9, s8
	s_delay_alu instid0(SALU_CYCLE_1) | instskip(NEXT) | instid1(SALU_CYCLE_1)
	s_xor_b64 s[10:11], s[10:11], s[8:9]
	s_mul_i32 s18, s10, s16
	s_delay_alu instid0(VALU_DEP_1)
	s_mul_hi_u32 s19, s10, s3
	s_mul_hi_u32 s17, s10, s16
	;; [unrolled: 1-line block ×3, first 2 shown]
	s_mul_i32 s3, s11, s3
	s_add_u32 s18, s19, s18
	s_addc_u32 s17, 0, s17
	s_mul_hi_u32 s21, s11, s16
	s_add_u32 s3, s18, s3
	s_mul_i32 s16, s11, s16
	s_addc_u32 s3, s17, s22
	s_addc_u32 s17, s21, 0
	s_add_u32 s3, s3, s16
	s_addc_u32 s16, 0, s17
	s_mul_i32 s18, s20, s3
	s_add_u32 s17, s3, 1
	v_sub_co_u32 v1, s10, s10, s18
	s_mul_hi_u32 s18, s20, s3
	s_addc_u32 s19, s16, 0
	s_mul_i32 s21, s20, s16
	s_delay_alu instid0(VALU_DEP_1)
	v_sub_co_u32 v2, s22, v1, s20
	s_add_u32 s23, s3, 2
	s_addc_u32 s24, s16, 0
	s_add_i32 s18, s18, s21
	s_cmp_lg_u32 s10, 0
	v_readfirstlane_b32 s10, v2
	s_subb_u32 s11, s11, s18
	s_cmp_lg_u32 s22, 0
	s_subb_u32 s18, s11, 0
	s_delay_alu instid0(VALU_DEP_1) | instskip(SKIP_4) | instid1(SALU_CYCLE_1)
	s_cmp_ge_u32 s10, s20
	s_cselect_b32 s10, -1, 0
	s_cmp_eq_u32 s18, 0
	v_readfirstlane_b32 s18, v1
	s_cselect_b32 s10, s10, -1
	s_cmp_lg_u32 s10, 0
	s_cselect_b32 s10, s23, s17
	s_cselect_b32 s17, s24, s19
	s_cmp_ge_u32 s18, s20
	s_cselect_b32 s18, -1, 0
	s_cmp_eq_u32 s11, 0
	s_cselect_b32 s11, s18, -1
	s_delay_alu instid0(SALU_CYCLE_1) | instskip(SKIP_2) | instid1(SALU_CYCLE_1)
	s_cmp_lg_u32 s11, 0
	s_cselect_b32 s11, s17, s16
	s_cselect_b32 s10, s10, s3
	s_xor_b64 s[10:11], s[10:11], s[8:9]
	s_delay_alu instid0(SALU_CYCLE_1)
	s_sub_u32 s16, s10, s8
	s_load_b128 s[8:11], s[0:1], 0x44
	s_and_not1_b32 vcc_lo, exec_lo, s2
	s_cbranch_vccnz .LBB37_3
.LBB37_2:
	v_cvt_f32_u32_e32 v1, s20
	s_sub_i32 s3, 0, s20
	s_delay_alu instid0(VALU_DEP_1) | instskip(SKIP_2) | instid1(VALU_DEP_1)
	v_rcp_iflag_f32_e32 v1, v1
	s_waitcnt_depctr 0xfff
	v_mul_f32_e32 v1, 0x4f7ffffe, v1
	v_cvt_u32_f32_e32 v1, v1
	s_delay_alu instid0(VALU_DEP_1) | instskip(NEXT) | instid1(VALU_DEP_1)
	v_readfirstlane_b32 s2, v1
	s_mul_i32 s3, s3, s2
	s_delay_alu instid0(SALU_CYCLE_1) | instskip(NEXT) | instid1(SALU_CYCLE_1)
	s_mul_hi_u32 s3, s2, s3
	s_add_i32 s2, s2, s3
	s_delay_alu instid0(SALU_CYCLE_1) | instskip(NEXT) | instid1(SALU_CYCLE_1)
	s_mul_hi_u32 s2, s12, s2
	s_mul_i32 s3, s2, s20
	s_waitcnt lgkmcnt(0)
	s_add_i32 s11, s2, 1
	s_sub_i32 s3, s12, s3
	s_delay_alu instid0(SALU_CYCLE_1)
	s_sub_i32 s12, s3, s20
	s_cmp_ge_u32 s3, s20
	s_cselect_b32 s2, s11, s2
	s_cselect_b32 s3, s12, s3
	s_add_i32 s11, s2, 1
	s_cmp_ge_u32 s3, s20
	s_cselect_b32 s16, s11, s2
.LBB37_3:
	s_waitcnt lgkmcnt(0)
	s_add_i32 s11, s13, 1
	s_mov_b32 s2, 0
	s_mul_hi_i32 s3, s7, s11
	s_mul_i32 s11, s7, s11
	s_cmp_lg_u64 s[2:3], 0
	s_cbranch_scc0 .LBB37_22
; %bb.4:
	v_cvt_f32_ubyte0_e32 v1, 0
	v_cvt_f32_u32_e32 v2, s20
	s_sub_u32 s18, 0, s20
	s_subb_u32 s19, 0, 0
	s_delay_alu instid0(VALU_DEP_1) | instskip(NEXT) | instid1(VALU_DEP_1)
	v_fmamk_f32 v1, v1, 0x4f800000, v2
	v_rcp_f32_e32 v1, v1
	s_waitcnt_depctr 0xfff
	v_mul_f32_e32 v1, 0x5f7ffffc, v1
	s_delay_alu instid0(VALU_DEP_1) | instskip(NEXT) | instid1(VALU_DEP_1)
	v_mul_f32_e32 v2, 0x2f800000, v1
	v_trunc_f32_e32 v2, v2
	s_delay_alu instid0(VALU_DEP_1) | instskip(SKIP_1) | instid1(VALU_DEP_2)
	v_fmamk_f32 v1, v2, 0xcf800000, v1
	v_cvt_u32_f32_e32 v2, v2
	v_cvt_u32_f32_e32 v1, v1
	s_delay_alu instid0(VALU_DEP_2) | instskip(NEXT) | instid1(VALU_DEP_2)
	v_readfirstlane_b32 s12, v2
	v_readfirstlane_b32 s17, v1
	s_delay_alu instid0(VALU_DEP_2) | instskip(NEXT) | instid1(VALU_DEP_1)
	s_mul_i32 s21, s18, s12
	s_mul_hi_u32 s23, s18, s17
	s_mul_i32 s22, s19, s17
	s_add_i32 s21, s23, s21
	s_mul_i32 s24, s18, s17
	s_add_i32 s21, s21, s22
	s_mul_hi_u32 s23, s17, s24
	s_mul_hi_u32 s25, s12, s24
	s_mul_i32 s22, s12, s24
	s_mul_hi_u32 s24, s17, s21
	s_mul_i32 s17, s17, s21
	s_mul_hi_u32 s26, s12, s21
	s_add_u32 s17, s23, s17
	s_addc_u32 s23, 0, s24
	s_add_u32 s17, s17, s22
	s_mul_i32 s21, s12, s21
	s_addc_u32 s17, s23, s25
	s_addc_u32 s22, s26, 0
	s_add_u32 s17, s17, s21
	s_addc_u32 s21, 0, s22
	v_add_co_u32 v1, s17, v1, s17
	s_delay_alu instid0(VALU_DEP_1) | instskip(SKIP_1) | instid1(VALU_DEP_1)
	s_cmp_lg_u32 s17, 0
	s_addc_u32 s12, s12, s21
	v_readfirstlane_b32 s17, v1
	s_mul_i32 s21, s18, s12
	s_delay_alu instid0(VALU_DEP_1)
	s_mul_hi_u32 s22, s18, s17
	s_mul_i32 s19, s19, s17
	s_add_i32 s21, s22, s21
	s_mul_i32 s18, s18, s17
	s_add_i32 s21, s21, s19
	s_mul_hi_u32 s22, s12, s18
	s_mul_i32 s23, s12, s18
	s_mul_hi_u32 s18, s17, s18
	s_mul_hi_u32 s24, s17, s21
	s_mul_i32 s17, s17, s21
	s_mul_hi_u32 s19, s12, s21
	s_add_u32 s17, s18, s17
	s_addc_u32 s18, 0, s24
	s_add_u32 s17, s17, s23
	s_mul_i32 s21, s12, s21
	s_addc_u32 s17, s18, s22
	s_addc_u32 s18, s19, 0
	s_add_u32 s17, s17, s21
	s_addc_u32 s18, 0, s18
	v_add_co_u32 v1, s17, v1, s17
	s_delay_alu instid0(VALU_DEP_1) | instskip(SKIP_2) | instid1(SALU_CYCLE_1)
	s_cmp_lg_u32 s17, 0
	s_addc_u32 s12, s12, s18
	s_ashr_i32 s18, s3, 31
	s_add_u32 s22, s11, s18
	s_addc_u32 s23, s3, s18
	v_readfirstlane_b32 s3, v1
	s_mov_b32 s19, s18
	s_delay_alu instid0(SALU_CYCLE_1) | instskip(NEXT) | instid1(SALU_CYCLE_1)
	s_xor_b64 s[22:23], s[22:23], s[18:19]
	s_mul_i32 s21, s22, s12
	s_delay_alu instid0(VALU_DEP_1)
	s_mul_hi_u32 s24, s22, s3
	s_mul_hi_u32 s17, s22, s12
	;; [unrolled: 1-line block ×3, first 2 shown]
	s_mul_i32 s3, s23, s3
	s_add_u32 s21, s24, s21
	s_addc_u32 s17, 0, s17
	s_mul_hi_u32 s25, s23, s12
	s_add_u32 s3, s21, s3
	s_mul_i32 s12, s23, s12
	s_addc_u32 s3, s17, s26
	s_addc_u32 s17, s25, 0
	s_add_u32 s3, s3, s12
	s_addc_u32 s12, 0, s17
	s_mul_i32 s21, s20, s3
	s_add_u32 s17, s3, 1
	v_sub_co_u32 v1, s21, s22, s21
	s_mul_hi_u32 s22, s20, s3
	s_addc_u32 s24, s12, 0
	s_mul_i32 s25, s20, s12
	s_delay_alu instid0(VALU_DEP_1)
	v_sub_co_u32 v2, s26, v1, s20
	s_add_u32 s27, s3, 2
	s_addc_u32 s28, s12, 0
	s_add_i32 s22, s22, s25
	s_cmp_lg_u32 s21, 0
	v_readfirstlane_b32 s21, v2
	s_subb_u32 s22, s23, s22
	s_cmp_lg_u32 s26, 0
	s_subb_u32 s23, s22, 0
	s_delay_alu instid0(VALU_DEP_1) | instskip(SKIP_4) | instid1(SALU_CYCLE_1)
	s_cmp_ge_u32 s21, s20
	s_cselect_b32 s21, -1, 0
	s_cmp_eq_u32 s23, 0
	v_readfirstlane_b32 s23, v1
	s_cselect_b32 s21, s21, -1
	s_cmp_lg_u32 s21, 0
	s_cselect_b32 s17, s27, s17
	s_cselect_b32 s21, s28, s24
	s_cmp_ge_u32 s23, s20
	s_cselect_b32 s23, -1, 0
	s_cmp_eq_u32 s22, 0
	s_cselect_b32 s22, s23, -1
	s_delay_alu instid0(SALU_CYCLE_1) | instskip(SKIP_2) | instid1(SALU_CYCLE_1)
	s_cmp_lg_u32 s22, 0
	s_cselect_b32 s23, s21, s12
	s_cselect_b32 s22, s17, s3
	s_xor_b64 s[22:23], s[22:23], s[18:19]
	s_delay_alu instid0(SALU_CYCLE_1)
	s_sub_u32 s18, s22, s18
	s_and_not1_b32 vcc_lo, exec_lo, s2
	s_cbranch_vccnz .LBB37_6
.LBB37_5:
	v_cvt_f32_u32_e32 v1, s20
	s_sub_i32 s3, 0, s20
	s_delay_alu instid0(VALU_DEP_1) | instskip(SKIP_2) | instid1(VALU_DEP_1)
	v_rcp_iflag_f32_e32 v1, v1
	s_waitcnt_depctr 0xfff
	v_mul_f32_e32 v1, 0x4f7ffffe, v1
	v_cvt_u32_f32_e32 v1, v1
	s_delay_alu instid0(VALU_DEP_1) | instskip(NEXT) | instid1(VALU_DEP_1)
	v_readfirstlane_b32 s2, v1
	s_mul_i32 s3, s3, s2
	s_delay_alu instid0(SALU_CYCLE_1) | instskip(NEXT) | instid1(SALU_CYCLE_1)
	s_mul_hi_u32 s3, s2, s3
	s_add_i32 s2, s2, s3
	s_delay_alu instid0(SALU_CYCLE_1) | instskip(NEXT) | instid1(SALU_CYCLE_1)
	s_mul_hi_u32 s2, s11, s2
	s_mul_i32 s3, s2, s20
	s_delay_alu instid0(SALU_CYCLE_1)
	s_sub_i32 s3, s11, s3
	s_add_i32 s11, s2, 1
	s_sub_i32 s12, s3, s20
	s_cmp_ge_u32 s3, s20
	s_cselect_b32 s2, s11, s2
	s_cselect_b32 s3, s12, s3
	s_add_i32 s11, s2, 1
	s_cmp_ge_u32 s3, s20
	s_cselect_b32 s18, s11, s2
.LBB37_6:
	s_delay_alu instid0(SALU_CYCLE_1) | instskip(SKIP_3) | instid1(SALU_CYCLE_1)
	s_cmp_eq_u32 s16, s18
	s_mul_hi_u32 s2, s16, s8
	s_cselect_b32 s3, -1, 0
	s_add_i32 s2, s2, s16
	s_lshr_b32 s11, s2, s9
	s_delay_alu instid0(SALU_CYCLE_1) | instskip(NEXT) | instid1(SALU_CYCLE_1)
	s_mul_i32 s2, s11, s10
	s_cmp_eq_u32 s2, s16
	s_mul_hi_u32 s2, s18, s8
	s_cselect_b32 s12, -1, 0
	s_add_i32 s2, s2, s18
	s_delay_alu instid0(SALU_CYCLE_1) | instskip(NEXT) | instid1(SALU_CYCLE_1)
	s_lshr_b32 s2, s2, s9
	s_cmp_eq_u32 s11, s2
	s_mul_i32 s2, s2, s10
	s_cselect_b32 s17, -1, 0
	s_cmp_lg_u32 s2, s18
	s_cselect_b32 s2, -1, 0
	s_or_b32 s3, s3, s12
	s_and_b32 s2, s17, s2
	s_delay_alu instid0(SALU_CYCLE_1) | instskip(NEXT) | instid1(SALU_CYCLE_1)
	s_or_b32 s2, s3, s2
	s_and_b32 vcc_lo, exec_lo, s2
	s_cbranch_vccnz .LBB37_24
; %bb.7:
	s_load_b256 s[24:31], s[0:1], 0x20
	s_waitcnt lgkmcnt(0)
	s_mul_hi_u32 s2, s16, s24
	s_delay_alu instid0(SALU_CYCLE_1) | instskip(NEXT) | instid1(SALU_CYCLE_1)
	s_add_i32 s2, s2, s16
	s_lshr_b32 s17, s2, s25
	s_load_b32 s2, s[0:1], 0x40
	s_mul_i32 s3, s17, s26
	s_delay_alu instid0(SALU_CYCLE_1) | instskip(NEXT) | instid1(SALU_CYCLE_1)
	s_sub_i32 s3, s16, s3
	s_mul_hi_u32 s12, s3, s27
	s_delay_alu instid0(SALU_CYCLE_1) | instskip(NEXT) | instid1(SALU_CYCLE_1)
	s_add_i32 s12, s3, s12
	s_lshr_b32 s21, s12, s28
	s_delay_alu instid0(SALU_CYCLE_1) | instskip(NEXT) | instid1(SALU_CYCLE_1)
	s_mul_i32 s12, s21, s29
	s_sub_i32 s3, s3, s12
	s_delay_alu instid0(SALU_CYCLE_1) | instskip(NEXT) | instid1(SALU_CYCLE_1)
	s_mul_hi_u32 s12, s3, s30
	s_add_i32 s12, s3, s12
	s_delay_alu instid0(SALU_CYCLE_1)
	s_lshr_b32 s12, s12, s31
	s_waitcnt lgkmcnt(0)
	s_mul_i32 s2, s12, s2
	s_lshl_b32 s23, s12, 2
	s_sub_i32 s2, s3, s2
	s_mov_b32 s12, 0
	s_mul_hi_u32 s3, s2, s8
	s_delay_alu instid0(SALU_CYCLE_1) | instskip(NEXT) | instid1(SALU_CYCLE_1)
	s_add_i32 s2, s2, s3
	s_lshr_b32 s22, s2, s9
	s_delay_alu instid0(SALU_CYCLE_1) | instskip(NEXT) | instid1(SALU_CYCLE_1)
	s_lshl_b32 s2, s22, 4
	s_add_i32 s2, s2, s14
	s_delay_alu instid0(SALU_CYCLE_1) | instskip(SKIP_2) | instid1(SALU_CYCLE_1)
	s_cmp_lt_i32 s2, s4
	s_cselect_b32 s2, -1, 0
	s_add_i32 s3, s23, s15
	s_cmp_lt_i32 s3, s6
	s_cselect_b32 s3, -1, 0
	s_delay_alu instid0(SALU_CYCLE_1) | instskip(NEXT) | instid1(SALU_CYCLE_1)
	s_and_b32 s2, s2, s3
	s_and_not1_b32 vcc_lo, exec_lo, s2
	s_cbranch_vccnz .LBB37_24
; %bb.8:
	s_load_b128 s[0:3], s[0:1], 0x0
	s_lshl_b32 s18, s20, 8
	s_mov_b32 s19, s12
	s_lshl_b32 s24, s14, 2
	s_lshl_b64 s[18:19], s[18:19], 2
	s_mul_i32 s4, s17, s4
	s_add_i32 s17, s24, s15
	s_mul_i32 s21, s21, s6
	v_cvt_f32_ubyte0_e32 v4, 0
	v_cvt_f32_u32_e32 v5, s20
	s_waitcnt lgkmcnt(0)
	s_add_u32 s18, s2, s18
	s_addc_u32 s19, s3, s19
	s_add_i32 s4, s4, s14
	s_delay_alu instid0(SALU_CYCLE_1) | instskip(SKIP_4) | instid1(SALU_CYCLE_1)
	s_mul_i32 s4, s4, s5
	s_mul_i32 s5, s5, s22
	s_add_i32 s4, s4, s15
	s_lshl_b32 s5, s5, 13
	s_add_i32 s4, s4, s21
	s_add_i32 s4, s4, s23
	s_delay_alu instid0(SALU_CYCLE_1) | instskip(NEXT) | instid1(SALU_CYCLE_1)
	s_lshl_b32 s4, s4, 9
	s_add_i32 s5, s5, s4
	s_delay_alu instid0(SALU_CYCLE_1) | instskip(SKIP_1) | instid1(VALU_DEP_2)
	v_or_b32_e32 v1, s5, v0
	v_lshl_or_b32 v0, s17, 9, v0
	v_ashrrev_i32_e32 v2, 31, v1
	s_delay_alu instid0(VALU_DEP_1) | instskip(NEXT) | instid1(VALU_DEP_1)
	v_lshlrev_b64 v[1:2], 2, v[1:2]
	v_add_co_u32 v1, vcc_lo, s0, v1
	s_delay_alu instid0(VALU_DEP_2) | instskip(SKIP_1) | instid1(SALU_CYCLE_1)
	v_add_co_ci_u32_e32 v2, vcc_lo, s1, v2, vcc_lo
	s_lshl_b32 s0, s13, 6
	s_add_i32 s0, s17, s0
	global_load_b32 v3, v[1:2], off
	s_ashr_i32 s1, s0, 31
	s_delay_alu instid0(SALU_CYCLE_1) | instskip(NEXT) | instid1(SALU_CYCLE_1)
	s_lshl_b64 s[0:1], s[0:1], 3
	s_add_u32 s0, s2, s0
	s_addc_u32 s1, s3, s1
	s_add_i32 s14, s13, -1
	s_load_b64 s[0:1], s[0:1], 0x0
	v_fmac_f32_e32 v5, 0x4f800000, v4
	s_sub_i32 s6, 0, s20
	s_waitcnt lgkmcnt(0)
	v_mov_b32_e32 v8, s0
	s_delay_alu instid0(VALU_DEP_2) | instskip(SKIP_2) | instid1(VALU_DEP_2)
	v_rcp_f32_e32 v4, v5
	v_cvt_f32_u32_e32 v5, s20
	v_mov_b32_e32 v7, s1
	v_rcp_iflag_f32_e32 v5, v5
	s_waitcnt_depctr 0xfff
	v_mul_f32_e32 v4, 0x5f7ffffc, v4
	s_delay_alu instid0(VALU_DEP_1) | instskip(SKIP_1) | instid1(VALU_DEP_2)
	v_mul_f32_e32 v6, 0x2f800000, v4
	v_mul_f32_e32 v9, 0x4f7ffffe, v5
	v_trunc_f32_e32 v6, v6
	s_delay_alu instid0(VALU_DEP_1) | instskip(SKIP_1) | instid1(VALU_DEP_4)
	v_fmac_f32_e32 v4, 0xcf800000, v6
	v_cvt_u32_f32_e32 v5, v6
	v_cvt_u32_f32_e32 v6, v9
	s_delay_alu instid0(VALU_DEP_3)
	v_cvt_u32_f32_e32 v4, v4
.LBB37_9:                               ; =>This Inner Loop Header: Depth=1
	s_mul_hi_i32 s13, s14, s7
	s_mul_i32 s4, s14, s7
	s_cmp_lg_u64 s[12:13], 0
	s_mov_b32 s5, -1
                                        ; implicit-def: $sgpr0_sgpr1
	s_cbranch_scc0 .LBB37_11
; %bb.10:                               ;   in Loop: Header=BB37_9 Depth=1
	v_readfirstlane_b32 s0, v4
	v_readfirstlane_b32 s1, v5
	s_sub_u32 s5, 0, s20
	s_subb_u32 s15, 0, 0
	s_delay_alu instid0(VALU_DEP_2) | instskip(NEXT) | instid1(VALU_DEP_1)
	s_mul_hi_u32 s21, s5, s0
	s_mul_i32 s22, s5, s1
	s_mul_i32 s23, s15, s0
	s_add_i32 s21, s21, s22
	s_mul_i32 s22, s5, s0
	s_add_i32 s21, s21, s23
	s_mul_hi_u32 s23, s0, s22
	s_mul_i32 s24, s0, s21
	s_mul_hi_u32 s0, s0, s21
	s_add_u32 s23, s23, s24
	s_mul_i32 s25, s1, s22
	s_addc_u32 s0, 0, s0
	s_mul_hi_u32 s22, s1, s22
	s_mul_hi_u32 s24, s1, s21
	s_add_u32 s23, s23, s25
	s_addc_u32 s0, s0, s22
	s_mul_i32 s21, s1, s21
	s_addc_u32 s22, s24, 0
	s_add_u32 s0, s0, s21
	s_addc_u32 s21, 0, s22
	v_add_co_u32 v9, s0, v4, s0
	s_delay_alu instid0(VALU_DEP_1) | instskip(SKIP_1) | instid1(VALU_DEP_1)
	s_cmp_lg_u32 s0, 0
	s_addc_u32 s1, s1, s21
	v_readfirstlane_b32 s0, v9
	s_mul_i32 s21, s5, s1
	s_delay_alu instid0(VALU_DEP_1)
	s_mul_hi_u32 s22, s5, s0
	s_mul_i32 s15, s15, s0
	s_add_i32 s21, s22, s21
	s_mul_i32 s5, s5, s0
	s_add_i32 s21, s21, s15
	s_mul_hi_u32 s15, s1, s5
	s_mul_i32 s23, s1, s5
	s_mul_i32 s24, s0, s21
	s_mul_hi_u32 s5, s0, s5
	s_mul_hi_u32 s0, s0, s21
	s_add_u32 s5, s5, s24
	s_addc_u32 s0, 0, s0
	s_mul_hi_u32 s22, s1, s21
	s_add_u32 s5, s5, s23
	s_addc_u32 s0, s0, s15
	s_mul_i32 s5, s1, s21
	s_addc_u32 s15, s22, 0
	s_add_u32 s0, s0, s5
	s_addc_u32 s5, 0, s15
	v_add_co_u32 v9, s0, v9, s0
	s_delay_alu instid0(VALU_DEP_1) | instskip(SKIP_2) | instid1(SALU_CYCLE_1)
	s_cmp_lg_u32 s0, 0
	s_addc_u32 s5, s1, s5
	s_ashr_i32 s0, s13, 31
	s_add_u32 s22, s4, s0
	s_addc_u32 s23, s13, s0
	v_readfirstlane_b32 s13, v9
	s_mov_b32 s1, s0
	s_delay_alu instid0(SALU_CYCLE_1) | instskip(NEXT) | instid1(SALU_CYCLE_1)
	s_xor_b64 s[22:23], s[22:23], s[0:1]
	s_mul_i32 s15, s22, s5
	s_delay_alu instid0(VALU_DEP_1)
	s_mul_hi_u32 s21, s22, s13
	s_mul_hi_u32 s24, s22, s5
	s_add_u32 s15, s21, s15
	s_mul_i32 s25, s23, s13
	s_addc_u32 s21, 0, s24
	s_mul_hi_u32 s13, s23, s13
	s_mul_hi_u32 s24, s23, s5
	s_add_u32 s15, s15, s25
	s_addc_u32 s13, s21, s13
	s_mul_i32 s5, s23, s5
	s_addc_u32 s15, s24, 0
	s_add_u32 s5, s13, s5
	s_addc_u32 s13, 0, s15
	s_mul_i32 s21, s20, s5
	s_add_u32 s15, s5, 1
	v_sub_co_u32 v9, s21, s22, s21
	s_addc_u32 s22, s13, 0
	s_mul_i32 s25, s20, s13
	s_mul_hi_u32 s27, s20, s5
	s_delay_alu instid0(VALU_DEP_1)
	v_sub_co_u32 v10, s26, v9, s20
	s_add_u32 s24, s5, 2
	s_addc_u32 s28, s13, 0
	s_add_i32 s27, s27, s25
	s_cmp_lg_u32 s21, 0
	v_readfirstlane_b32 s21, v10
	s_subb_u32 s23, s23, s27
	s_cmp_lg_u32 s26, 0
	s_subb_u32 s25, s23, 0
	s_delay_alu instid0(VALU_DEP_1) | instskip(SKIP_4) | instid1(SALU_CYCLE_1)
	s_cmp_ge_u32 s21, s20
	s_cselect_b32 s21, -1, 0
	s_cmp_eq_u32 s25, 0
	v_readfirstlane_b32 s25, v9
	s_cselect_b32 s21, s21, -1
	s_cmp_lg_u32 s21, 0
	s_cselect_b32 s15, s24, s15
	s_cselect_b32 s21, s28, s22
	s_cmp_ge_u32 s25, s20
	s_cselect_b32 s22, -1, 0
	s_cmp_eq_u32 s23, 0
	s_cselect_b32 s22, s22, -1
	s_delay_alu instid0(SALU_CYCLE_1) | instskip(SKIP_4) | instid1(SALU_CYCLE_1)
	s_cmp_lg_u32 s22, 0
	s_cselect_b32 s23, s21, s13
	s_cselect_b32 s22, s15, s5
	s_mov_b32 s5, 0
	s_xor_b64 s[22:23], s[22:23], s[0:1]
	s_sub_u32 s0, s22, s0
.LBB37_11:                              ;   in Loop: Header=BB37_9 Depth=1
	s_and_not1_b32 vcc_lo, exec_lo, s5
	s_cbranch_vccnz .LBB37_13
; %bb.12:                               ;   in Loop: Header=BB37_9 Depth=1
	v_readfirstlane_b32 s0, v6
	s_delay_alu instid0(VALU_DEP_1) | instskip(NEXT) | instid1(SALU_CYCLE_1)
	s_mul_i32 s1, s6, s0
	s_mul_hi_u32 s1, s0, s1
	s_delay_alu instid0(SALU_CYCLE_1) | instskip(NEXT) | instid1(SALU_CYCLE_1)
	s_add_i32 s0, s0, s1
	s_mul_hi_u32 s0, s4, s0
	s_delay_alu instid0(SALU_CYCLE_1) | instskip(NEXT) | instid1(SALU_CYCLE_1)
	s_mul_i32 s1, s0, s20
	s_sub_i32 s1, s4, s1
	s_add_i32 s4, s0, 1
	s_sub_i32 s5, s1, s20
	s_cmp_ge_u32 s1, s20
	s_cselect_b32 s0, s4, s0
	s_cselect_b32 s1, s5, s1
	s_add_i32 s4, s0, 1
	s_cmp_ge_u32 s1, s20
	s_cselect_b32 s0, s4, s0
.LBB37_13:                              ;   in Loop: Header=BB37_9 Depth=1
	s_delay_alu instid0(SALU_CYCLE_1)
	s_cmp_lg_u32 s16, s0
	s_cbranch_scc0 .LBB37_17
; %bb.14:                               ;   in Loop: Header=BB37_9 Depth=1
	s_add_i32 s1, s14, s20
	s_mov_b32 s5, s12
	s_lshl_b32 s1, s1, 6
	s_mov_b32 s15, s16
	s_add_i32 s4, s1, s17
	s_mul_hi_u32 s1, s0, s8
	s_lshl_b64 s[4:5], s[4:5], 3
	s_delay_alu instid0(SALU_CYCLE_1) | instskip(SKIP_2) | instid1(SALU_CYCLE_1)
	s_add_u32 s4, s2, s4
	s_addc_u32 s5, s3, s5
	s_add_i32 s1, s1, s0
	s_lshr_b32 s1, s1, s9
	s_delay_alu instid0(SALU_CYCLE_1) | instskip(NEXT) | instid1(SALU_CYCLE_1)
	s_mul_i32 s13, s1, s10
	s_cmp_eq_u32 s13, s0
	s_cselect_b32 s13, -1, 0
	s_cmp_lt_u32 s1, s11
	s_cselect_b32 s1, -1, 0
	s_delay_alu instid0(SALU_CYCLE_1)
	s_or_b32 s1, s1, s13
	s_mov_b32 s13, -1
	s_and_b32 vcc_lo, exec_lo, s1
	s_mov_b32 s1, s14
	s_cbranch_vccnz .LBB37_16
; %bb.15:                               ;   in Loop: Header=BB37_9 Depth=1
	s_add_i32 s1, s14, -1
	s_mov_b32 s13, 0
	s_mov_b32 s15, s0
.LBB37_16:                              ;   in Loop: Header=BB37_9 Depth=1
	v_lshl_add_u32 v9, s14, 15, v0
	s_load_b64 s[4:5], s[4:5], 0x0
	s_delay_alu instid0(VALU_DEP_1) | instskip(NEXT) | instid1(VALU_DEP_1)
	v_ashrrev_i32_e32 v10, 31, v9
	v_lshlrev_b64 v[9:10], 2, v[9:10]
	s_delay_alu instid0(VALU_DEP_1) | instskip(NEXT) | instid1(VALU_DEP_2)
	v_add_co_u32 v9, vcc_lo, s18, v9
	v_add_co_ci_u32_e32 v10, vcc_lo, s19, v10, vcc_lo
	s_waitcnt lgkmcnt(0)
	v_max_f32_e64 v11, s4, s4
	global_load_b32 v10, v[9:10], off
	v_max_f32_e32 v9, v8, v8
	s_delay_alu instid0(VALU_DEP_1) | instskip(NEXT) | instid1(VALU_DEP_1)
	v_max_f32_e32 v9, v9, v11
	v_sub_f32_e32 v12, v8, v9
	s_delay_alu instid0(VALU_DEP_1) | instskip(NEXT) | instid1(VALU_DEP_1)
	v_dual_mul_f32 v14, 0x3fb8aa3b, v12 :: v_dual_sub_f32 v11, s4, v9
	v_rndne_f32_e32 v18, v14
	s_delay_alu instid0(VALU_DEP_2) | instskip(SKIP_2) | instid1(VALU_DEP_4)
	v_mul_f32_e32 v13, 0x3fb8aa3b, v11
	v_fma_f32 v17, 0x3fb8aa3b, v12, -v14
	v_cmp_ngt_f32_e32 vcc_lo, 0xc2ce8ed0, v11
	v_sub_f32_e32 v14, v14, v18
	s_delay_alu instid0(VALU_DEP_4) | instskip(SKIP_2) | instid1(VALU_DEP_3)
	v_fma_f32 v15, 0x3fb8aa3b, v11, -v13
	v_rndne_f32_e32 v16, v13
	v_fmac_f32_e32 v17, 0x32a5705f, v12
	v_fmac_f32_e32 v15, 0x32a5705f, v11
	s_delay_alu instid0(VALU_DEP_2) | instskip(NEXT) | instid1(VALU_DEP_1)
	v_dual_sub_f32 v13, v13, v16 :: v_dual_add_f32 v14, v14, v17
	v_add_f32_e32 v13, v13, v15
	s_delay_alu instid0(VALU_DEP_2) | instskip(SKIP_2) | instid1(VALU_DEP_3)
	v_exp_f32_e32 v14, v14
	v_cvt_i32_f32_e32 v15, v16
	v_cvt_i32_f32_e32 v16, v18
	v_exp_f32_e32 v13, v13
	s_waitcnt_depctr 0xfff
	v_ldexp_f32 v14, v14, v16
	v_ldexp_f32 v13, v13, v15
	s_delay_alu instid0(VALU_DEP_1) | instskip(SKIP_1) | instid1(VALU_DEP_4)
	v_cndmask_b32_e32 v13, 0, v13, vcc_lo
	v_cmp_ngt_f32_e32 vcc_lo, 0xc2ce8ed0, v12
	v_cndmask_b32_e32 v14, 0, v14, vcc_lo
	v_cmp_nlt_f32_e32 vcc_lo, 0x42b17218, v11
	s_delay_alu instid0(VALU_DEP_4) | instskip(SKIP_1) | instid1(VALU_DEP_4)
	v_cndmask_b32_e32 v13, 0x7f800000, v13, vcc_lo
	v_cmp_nlt_f32_e32 vcc_lo, 0x42b17218, v12
	v_cndmask_b32_e32 v14, 0x7f800000, v14, vcc_lo
	v_cmp_le_f32_e32 vcc_lo, 0xc1a00000, v11
	s_delay_alu instid0(VALU_DEP_4) | instskip(SKIP_1) | instid1(VALU_DEP_4)
	v_cndmask_b32_e32 v11, 0, v13, vcc_lo
	v_cmp_le_f32_e32 vcc_lo, 0xc1a00000, v12
	v_cndmask_b32_e32 v12, 0, v14, vcc_lo
	s_waitcnt vmcnt(0)
	s_delay_alu instid0(VALU_DEP_3) | instskip(NEXT) | instid1(VALU_DEP_1)
	v_mul_f32_e32 v10, v10, v11
	v_dual_mul_f32 v11, s5, v11 :: v_dual_fmac_f32 v10, v3, v12
	s_delay_alu instid0(VALU_DEP_1)
	v_fmac_f32_e32 v11, v7, v12
	s_cbranch_execz .LBB37_18
	s_branch .LBB37_19
.LBB37_17:                              ;   in Loop: Header=BB37_9 Depth=1
                                        ; implicit-def: $sgpr13
                                        ; implicit-def: $vgpr10
                                        ; implicit-def: $vgpr9
                                        ; implicit-def: $vgpr11
                                        ; implicit-def: $sgpr1
                                        ; implicit-def: $sgpr15
.LBB37_18:                              ;   in Loop: Header=BB37_9 Depth=1
	v_mov_b32_e32 v11, v7
	s_waitcnt vmcnt(0)
	v_dual_mov_b32 v9, v8 :: v_dual_mov_b32 v10, v3
	s_add_i32 s1, s14, -1
	s_mov_b32 s13, 0
	s_mov_b32 s15, s16
.LBB37_19:                              ;   in Loop: Header=BB37_9 Depth=1
	s_and_not1_b32 vcc_lo, exec_lo, s13
	s_cbranch_vccz .LBB37_23
; %bb.20:                               ;   in Loop: Header=BB37_9 Depth=1
	v_dual_mov_b32 v7, v11 :: v_dual_mov_b32 v8, v9
	s_waitcnt vmcnt(0)
	v_mov_b32_e32 v3, v10
	s_mov_b32 s16, s15
	s_mov_b32 s14, s1
	s_branch .LBB37_9
.LBB37_21:
                                        ; implicit-def: $sgpr16_sgpr17
	s_load_b128 s[8:11], s[0:1], 0x44
	s_branch .LBB37_2
.LBB37_22:
                                        ; implicit-def: $sgpr18_sgpr19
	s_branch .LBB37_5
.LBB37_23:
	v_div_scale_f32 v0, null, v11, v11, v10
	s_waitcnt vmcnt(0)
	s_delay_alu instid0(VALU_DEP_1) | instskip(SKIP_2) | instid1(VALU_DEP_1)
	v_rcp_f32_e32 v3, v0
	s_waitcnt_depctr 0xfff
	v_fma_f32 v4, -v0, v3, 1.0
	v_fmac_f32_e32 v3, v4, v3
	v_div_scale_f32 v4, vcc_lo, v10, v11, v10
	s_delay_alu instid0(VALU_DEP_1) | instskip(NEXT) | instid1(VALU_DEP_1)
	v_mul_f32_e32 v5, v4, v3
	v_fma_f32 v6, -v0, v5, v4
	s_delay_alu instid0(VALU_DEP_1) | instskip(NEXT) | instid1(VALU_DEP_1)
	v_fmac_f32_e32 v5, v6, v3
	v_fma_f32 v0, -v0, v5, v4
	s_delay_alu instid0(VALU_DEP_1) | instskip(NEXT) | instid1(VALU_DEP_1)
	v_div_fmas_f32 v0, v0, v3, v5
	v_div_fixup_f32 v0, v0, v11, v10
	global_store_b32 v[1:2], v0, off
.LBB37_24:
	s_nop 0
	s_sendmsg sendmsg(MSG_DEALLOC_VGPRS)
	s_endpgm
	.section	.rodata,"a",@progbits
	.p2align	6, 0x0
	.amdhsa_kernel _ZL33flash_attn_stream_k_fixup_generalILi512ELi16ELi4EEvPfPK15HIP_vector_typeIfLj2EEiiiiS1_IjLj3EES5_S5_S5_
		.amdhsa_group_segment_fixed_size 0
		.amdhsa_private_segment_fixed_size 0
		.amdhsa_kernarg_size 336
		.amdhsa_user_sgpr_count 13
		.amdhsa_user_sgpr_dispatch_ptr 0
		.amdhsa_user_sgpr_queue_ptr 0
		.amdhsa_user_sgpr_kernarg_segment_ptr 1
		.amdhsa_user_sgpr_dispatch_id 0
		.amdhsa_user_sgpr_private_segment_size 0
		.amdhsa_wavefront_size32 1
		.amdhsa_uses_dynamic_stack 0
		.amdhsa_enable_private_segment 0
		.amdhsa_system_sgpr_workgroup_id_x 1
		.amdhsa_system_sgpr_workgroup_id_y 1
		.amdhsa_system_sgpr_workgroup_id_z 1
		.amdhsa_system_sgpr_workgroup_info 0
		.amdhsa_system_vgpr_workitem_id 0
		.amdhsa_next_free_vgpr 19
		.amdhsa_next_free_sgpr 32
		.amdhsa_reserve_vcc 1
		.amdhsa_float_round_mode_32 0
		.amdhsa_float_round_mode_16_64 0
		.amdhsa_float_denorm_mode_32 3
		.amdhsa_float_denorm_mode_16_64 3
		.amdhsa_dx10_clamp 1
		.amdhsa_ieee_mode 1
		.amdhsa_fp16_overflow 0
		.amdhsa_workgroup_processor_mode 1
		.amdhsa_memory_ordered 1
		.amdhsa_forward_progress 0
		.amdhsa_shared_vgpr_count 0
		.amdhsa_exception_fp_ieee_invalid_op 0
		.amdhsa_exception_fp_denorm_src 0
		.amdhsa_exception_fp_ieee_div_zero 0
		.amdhsa_exception_fp_ieee_overflow 0
		.amdhsa_exception_fp_ieee_underflow 0
		.amdhsa_exception_fp_ieee_inexact 0
		.amdhsa_exception_int_div_zero 0
	.end_amdhsa_kernel
	.section	.text._ZL33flash_attn_stream_k_fixup_generalILi512ELi16ELi4EEvPfPK15HIP_vector_typeIfLj2EEiiiiS1_IjLj3EES5_S5_S5_,"axG",@progbits,_ZL33flash_attn_stream_k_fixup_generalILi512ELi16ELi4EEvPfPK15HIP_vector_typeIfLj2EEiiiiS1_IjLj3EES5_S5_S5_,comdat
.Lfunc_end37:
	.size	_ZL33flash_attn_stream_k_fixup_generalILi512ELi16ELi4EEvPfPK15HIP_vector_typeIfLj2EEiiiiS1_IjLj3EES5_S5_S5_, .Lfunc_end37-_ZL33flash_attn_stream_k_fixup_generalILi512ELi16ELi4EEvPfPK15HIP_vector_typeIfLj2EEiiiiS1_IjLj3EES5_S5_S5_
                                        ; -- End function
	.section	.AMDGPU.csdata,"",@progbits
; Kernel info:
; codeLenInByte = 3224
; NumSgprs: 34
; NumVgprs: 19
; ScratchSize: 0
; MemoryBound: 0
; FloatMode: 240
; IeeeMode: 1
; LDSByteSize: 0 bytes/workgroup (compile time only)
; SGPRBlocks: 4
; VGPRBlocks: 2
; NumSGPRsForWavesPerEU: 34
; NumVGPRsForWavesPerEU: 19
; Occupancy: 16
; WaveLimiterHint : 0
; COMPUTE_PGM_RSRC2:SCRATCH_EN: 0
; COMPUTE_PGM_RSRC2:USER_SGPR: 13
; COMPUTE_PGM_RSRC2:TRAP_HANDLER: 0
; COMPUTE_PGM_RSRC2:TGID_X_EN: 1
; COMPUTE_PGM_RSRC2:TGID_Y_EN: 1
; COMPUTE_PGM_RSRC2:TGID_Z_EN: 1
; COMPUTE_PGM_RSRC2:TIDIG_COMP_CNT: 0
	.section	.text._ZL26flash_attn_combine_resultsILi512EEvPKfPK15HIP_vector_typeIfLj2EEPfi,"axG",@progbits,_ZL26flash_attn_combine_resultsILi512EEvPKfPK15HIP_vector_typeIfLj2EEPfi,comdat
	.globl	_ZL26flash_attn_combine_resultsILi512EEvPKfPK15HIP_vector_typeIfLj2EEPfi ; -- Begin function _ZL26flash_attn_combine_resultsILi512EEvPKfPK15HIP_vector_typeIfLj2EEPfi
	.p2align	8
	.type	_ZL26flash_attn_combine_resultsILi512EEvPKfPK15HIP_vector_typeIfLj2EEPfi,@function
_ZL26flash_attn_combine_resultsILi512EEvPKfPK15HIP_vector_typeIfLj2EEPfi: ; @_ZL26flash_attn_combine_resultsILi512EEvPKfPK15HIP_vector_typeIfLj2EEPfi
; %bb.0:
	s_clause 0x3
	s_load_b64 s[2:3], s[0:1], 0x20
	s_load_b32 s11, s[0:1], 0x18
	s_load_b128 s[4:7], s[0:1], 0x0
	s_load_b64 s[8:9], s[0:1], 0x10
	v_lshlrev_b32_e32 v5, 2, v0
	s_mov_b32 s12, exec_lo
	s_waitcnt lgkmcnt(0)
	s_mul_i32 s0, s2, s15
	s_lshl_b32 s1, s11, 1
	s_add_i32 s0, s0, s13
	s_delay_alu instid0(SALU_CYCLE_1) | instskip(NEXT) | instid1(SALU_CYCLE_1)
	s_mul_i32 s10, s0, s3
	s_add_i32 s10, s10, s14
	s_delay_alu instid0(SALU_CYCLE_1)
	s_mul_i32 s2, s10, s11
	v_cmpx_gt_i32_e64 s1, v0
	s_cbranch_execz .LBB38_3
; %bb.1:
	s_ashr_i32 s3, s2, 31
	v_dual_mov_b32 v4, v0 :: v_dual_add_nc_u32 v3, 0, v5
	s_lshl_b64 s[14:15], s[2:3], 3
	s_delay_alu instid0(SALU_CYCLE_1) | instskip(SKIP_2) | instid1(VALU_DEP_1)
	s_add_u32 s0, s6, s14
	s_addc_u32 s3, s7, s15
	v_add_co_u32 v1, s0, s0, v5
	v_add_co_ci_u32_e64 v2, null, s3, 0, s0
	s_mov_b32 s3, 0
	.p2align	6
.LBB38_2:                               ; =>This Inner Loop Header: Depth=1
	global_load_b32 v6, v[1:2], off
	v_add_nc_u32_e32 v4, 0x200, v4
	v_add_co_u32 v1, vcc_lo, 0x800, v1
	v_add_co_ci_u32_e32 v2, vcc_lo, 0, v2, vcc_lo
	s_delay_alu instid0(VALU_DEP_3) | instskip(NEXT) | instid1(VALU_DEP_1)
	v_cmp_le_i32_e64 s0, s1, v4
	s_or_b32 s3, s0, s3
	s_waitcnt vmcnt(0)
	ds_store_b32 v3, v6
	v_add_nc_u32_e32 v3, 0x800, v3
	s_and_not1_b32 exec_lo, exec_lo, s3
	s_cbranch_execnz .LBB38_2
.LBB38_3:
	s_or_b32 exec_lo, exec_lo, s12
	v_mov_b32_e32 v1, 0
	s_waitcnt lgkmcnt(0)
	s_barrier
	buffer_gl0_inv
	s_cmp_lt_i32 s11, 2
	ds_load_b32 v6, v1
	s_cbranch_scc1 .LBB38_11
; %bb.4:
	s_add_i32 s1, s11, -2
	s_add_i32 s0, s11, -1
	s_cmp_lt_u32 s1, 7
	s_cbranch_scc1 .LBB38_8
; %bb.5:
	s_mov_b32 s3, 0
	s_add_i32 s1, 0, 8
	s_and_b32 s6, s0, -8
	.p2align	6
.LBB38_6:                               ; =>This Inner Loop Header: Depth=1
	v_mov_b32_e32 v9, s1
	s_mov_b32 s7, s3
	s_add_i32 s3, s3, 8
	s_add_i32 s1, s1, 64
	s_cmp_eq_u32 s6, s3
	ds_load_2addr_b32 v[1:2], v9 offset1:2
	ds_load_2addr_b32 v[3:4], v9 offset0:4 offset1:6
	ds_load_2addr_b32 v[7:8], v9 offset0:8 offset1:10
	;; [unrolled: 1-line block ×3, first 2 shown]
	s_waitcnt lgkmcnt(3)
	v_max3_f32 v1, v6, v1, v2
	s_waitcnt lgkmcnt(2)
	s_delay_alu instid0(VALU_DEP_1) | instskip(SKIP_1) | instid1(VALU_DEP_1)
	v_max3_f32 v1, v1, v3, v4
	s_waitcnt lgkmcnt(1)
	v_max3_f32 v1, v1, v7, v8
	s_waitcnt lgkmcnt(0)
	s_delay_alu instid0(VALU_DEP_1)
	v_max3_f32 v6, v1, v9, v10
	s_cbranch_scc0 .LBB38_6
; %bb.7:
	s_add_i32 s1, s7, 9
	s_and_b32 s0, s0, 7
	s_delay_alu instid0(SALU_CYCLE_1)
	s_cmp_eq_u32 s0, 0
	s_cbranch_scc0 .LBB38_9
	s_branch .LBB38_11
.LBB38_8:
	s_mov_b32 s1, 1
	s_and_b32 s0, s0, 7
	s_delay_alu instid0(SALU_CYCLE_1)
	s_cmp_eq_u32 s0, 0
	s_cbranch_scc1 .LBB38_11
.LBB38_9:
	s_lshl_b32 s1, s1, 3
	s_delay_alu instid0(SALU_CYCLE_1)
	s_add_i32 s1, s1, 0
.LBB38_10:                              ; =>This Inner Loop Header: Depth=1
	s_waitcnt lgkmcnt(0)
	s_delay_alu instid0(VALU_DEP_1)
	v_dual_mov_b32 v1, s1 :: v_dual_max_f32 v2, v6, v6
	s_add_i32 s0, s0, -1
	s_add_i32 s1, s1, 8
	s_cmp_lg_u32 s0, 0
	ds_load_b32 v1, v1
	s_waitcnt lgkmcnt(0)
	v_max_f32_e32 v1, v1, v1
	s_delay_alu instid0(VALU_DEP_1)
	v_max_f32_e32 v6, v2, v1
	s_cbranch_scc1 .LBB38_10
.LBB38_11:
	s_cmp_lt_i32 s11, 1
	s_cbranch_scc1 .LBB38_16
; %bb.12:
	s_lshl_b32 s0, s2, 9
	v_mov_b32_e32 v7, 0
	s_ashr_i32 s1, s0, 31
	s_mov_b32 s13, 0
	s_lshl_b64 s[0:1], s[0:1], 2
	s_delay_alu instid0(SALU_CYCLE_1)
	s_add_u32 s6, s4, s0
	s_addc_u32 s7, s5, s1
	s_cmp_lt_u32 s11, 8
	s_cbranch_scc1 .LBB38_17
; %bb.13:
	v_or_b32_e32 v1, 0xe00, v0
	v_dual_mov_b32 v4, 0 :: v_dual_mov_b32 v7, 0
	v_mov_b32_e32 v8, 0
	s_and_b32 s12, s11, 0x7ffffff8
	s_mov_b32 s14, 0
.LBB38_14:                              ; =>This Inner Loop Header: Depth=1
	s_delay_alu instid0(VALU_DEP_2) | instskip(SKIP_3) | instid1(VALU_DEP_2)
	v_dual_mov_b32 v2, v4 :: v_dual_add_nc_u32 v3, 0xfffff200, v1
	v_mov_b32_e32 v21, s13
	s_add_i32 s14, s14, 8
	s_add_i32 s13, s13, 64
	v_lshlrev_b64 v[9:10], 2, v[3:4]
	v_add_nc_u32_e32 v3, 0xfffff400, v1
	v_lshlrev_b64 v[11:12], 2, v[1:2]
	s_cmp_eq_u32 s12, s14
	s_delay_alu instid0(VALU_DEP_2) | instskip(NEXT) | instid1(VALU_DEP_4)
	v_lshlrev_b64 v[13:14], 2, v[3:4]
	v_add_co_u32 v9, vcc_lo, s6, v9
	v_add_co_ci_u32_e32 v10, vcc_lo, s7, v10, vcc_lo
	v_add_nc_u32_e32 v3, 0xfffff600, v1
	s_delay_alu instid0(VALU_DEP_4)
	v_add_co_u32 v13, vcc_lo, s6, v13
	global_load_b32 v25, v[9:10], off
	v_add_co_ci_u32_e32 v14, vcc_lo, s7, v14, vcc_lo
	v_lshlrev_b64 v[15:16], 2, v[3:4]
	v_add_nc_u32_e32 v3, 0xfffff800, v1
	global_load_b32 v26, v[13:14], off
	v_add_co_u32 v13, vcc_lo, s6, v15
	v_add_co_ci_u32_e32 v14, vcc_lo, s7, v16, vcc_lo
	v_lshlrev_b64 v[9:10], 2, v[3:4]
	v_add_nc_u32_e32 v3, 0xfffffa00, v1
	global_load_b32 v27, v[13:14], off
	v_add_co_u32 v9, vcc_lo, s6, v9
	v_lshlrev_b64 v[15:16], 2, v[3:4]
	v_add_nc_u32_e32 v3, 0xfffffc00, v1
	v_add_co_ci_u32_e32 v10, vcc_lo, s7, v10, vcc_lo
	global_load_b32 v28, v[9:10], off
	v_lshlrev_b64 v[13:14], 2, v[3:4]
	v_add_nc_u32_e32 v3, 0xfffffe00, v1
	v_add_co_u32 v9, vcc_lo, s6, v15
	v_add_co_ci_u32_e32 v10, vcc_lo, s7, v16, vcc_lo
	s_delay_alu instid0(VALU_DEP_4) | instskip(NEXT) | instid1(VALU_DEP_4)
	v_add_co_u32 v13, vcc_lo, s6, v13
	v_lshlrev_b64 v[2:3], 2, v[3:4]
	v_add_co_ci_u32_e32 v14, vcc_lo, s7, v14, vcc_lo
	s_clause 0x1
	global_load_b32 v29, v[9:10], off
	global_load_b32 v30, v[13:14], off
	v_add_co_u32 v2, vcc_lo, s6, v2
	v_add_co_ci_u32_e32 v3, vcc_lo, s7, v3, vcc_lo
	v_add_co_u32 v9, vcc_lo, s6, v11
	v_add_co_ci_u32_e32 v10, vcc_lo, s7, v12, vcc_lo
	s_clause 0x1
	global_load_b32 v2, v[2:3], off
	global_load_b32 v3, v[9:10], off
	ds_load_2addr_b64 v[9:12], v21 offset1:1
	ds_load_2addr_b64 v[13:16], v21 offset0:2 offset1:3
	ds_load_2addr_b64 v[17:20], v21 offset0:4 offset1:5
	;; [unrolled: 1-line block ×3, first 2 shown]
	v_add_nc_u32_e32 v1, 0x1000, v1
	s_waitcnt lgkmcnt(1)
	v_sub_f32_e32 v19, v19, v6
	v_sub_f32_e32 v11, v11, v6
	s_waitcnt lgkmcnt(0)
	v_sub_f32_e32 v23, v23, v6
	s_delay_alu instid0(VALU_DEP_3) | instskip(NEXT) | instid1(VALU_DEP_3)
	v_dual_sub_f32 v13, v13, v6 :: v_dual_mul_f32 v36, 0x3fb8aa3b, v19
	v_mul_f32_e32 v32, 0x3fb8aa3b, v11
	s_delay_alu instid0(VALU_DEP_2) | instskip(SKIP_1) | instid1(VALU_DEP_4)
	v_dual_mul_f32 v38, 0x3fb8aa3b, v23 :: v_dual_mul_f32 v33, 0x3fb8aa3b, v13
	v_cmp_ngt_f32_e32 vcc_lo, 0xc2ce8ed0, v13
	v_fma_f32 v49, 0x3fb8aa3b, v19, -v36
	s_delay_alu instid0(VALU_DEP_4) | instskip(SKIP_4) | instid1(VALU_DEP_4)
	v_fma_f32 v41, 0x3fb8aa3b, v11, -v32
	v_rndne_f32_e32 v42, v32
	v_fma_f32 v43, 0x3fb8aa3b, v13, -v33
	v_rndne_f32_e32 v44, v33
	v_rndne_f32_e32 v50, v36
	v_dual_fmac_f32 v41, 0x32a5705f, v11 :: v_dual_sub_f32 v32, v32, v42
	v_sub_f32_e32 v15, v15, v6
	v_fmac_f32_e32 v43, 0x32a5705f, v13
	v_sub_f32_e32 v33, v33, v44
	v_cvt_i32_f32_e32 v42, v42
	v_dual_add_f32 v32, v32, v41 :: v_dual_sub_f32 v9, v9, v6
	v_mul_f32_e32 v34, 0x3fb8aa3b, v15
	s_delay_alu instid0(VALU_DEP_4) | instskip(SKIP_1) | instid1(VALU_DEP_4)
	v_add_f32_e32 v33, v33, v43
	v_cvt_i32_f32_e32 v44, v44
	v_exp_f32_e32 v32, v32
	v_mul_f32_e32 v31, 0x3fb8aa3b, v9
	v_fma_f32 v45, 0x3fb8aa3b, v15, -v34
	v_rndne_f32_e32 v46, v34
	v_exp_f32_e32 v33, v33
	v_cmp_ngt_f32_e64 s5, 0xc2ce8ed0, v9
	v_fma_f32 v39, 0x3fb8aa3b, v9, -v31
	v_rndne_f32_e32 v40, v31
	v_dual_fmac_f32 v45, 0x32a5705f, v15 :: v_dual_sub_f32 v34, v34, v46
	v_sub_f32_e32 v17, v17, v6
	s_delay_alu instid0(VALU_DEP_4) | instskip(NEXT) | instid1(VALU_DEP_4)
	v_fmac_f32_e32 v39, 0x32a5705f, v9
	v_sub_f32_e32 v31, v31, v40
	v_cvt_i32_f32_e32 v40, v40
	v_add_f32_e32 v34, v34, v45
	v_ldexp_f32 v32, v32, v42
	v_ldexp_f32 v33, v33, v44
	v_add_f32_e32 v31, v31, v39
	v_cvt_i32_f32_e32 v46, v46
	v_exp_f32_e32 v34, v34
	v_cmp_ngt_f32_e64 s0, 0xc2ce8ed0, v15
	v_fmac_f32_e32 v49, 0x32a5705f, v19
	v_exp_f32_e32 v31, v31
	v_sub_f32_e32 v36, v36, v50
	v_cvt_i32_f32_e32 v50, v50
	v_cmp_ngt_f32_e64 s1, 0xc2ce8ed0, v17
	v_rndne_f32_e32 v54, v38
	s_delay_alu instid0(VALU_DEP_4) | instskip(NEXT) | instid1(TRANS32_DEP_2)
	v_add_f32_e32 v36, v36, v49
	v_ldexp_f32 v34, v34, v46
	v_cmp_ngt_f32_e64 s2, 0xc2ce8ed0, v19
	s_delay_alu instid0(TRANS32_DEP_1) | instskip(NEXT) | instid1(VALU_DEP_4)
	v_ldexp_f32 v31, v31, v40
	v_exp_f32_e32 v36, v36
	s_delay_alu instid0(VALU_DEP_1) | instskip(SKIP_1) | instid1(VALU_DEP_1)
	v_cndmask_b32_e64 v31, 0, v31, s5
	v_cmp_ngt_f32_e64 s5, 0xc2ce8ed0, v11
	v_cndmask_b32_e64 v32, 0, v32, s5
	v_cmp_nlt_f32_e64 s5, 0x42b17218, v9
	s_waitcnt_depctr 0xfff
	v_ldexp_f32 v36, v36, v50
	v_cndmask_b32_e64 v9, 0x7f800000, v31, s5
	v_cndmask_b32_e32 v31, 0, v33, vcc_lo
	v_cmp_nlt_f32_e32 vcc_lo, 0x42b17218, v11
	s_delay_alu instid0(VALU_DEP_3) | instskip(SKIP_1) | instid1(VALU_DEP_2)
	v_dual_fmac_f32 v8, v9, v10 :: v_dual_cndmask_b32 v11, 0x7f800000, v32
	v_cmp_nlt_f32_e32 vcc_lo, 0x42b17218, v13
	v_fmac_f32_e32 v8, v11, v12
	v_cndmask_b32_e32 v10, 0x7f800000, v31, vcc_lo
	v_cmp_nlt_f32_e32 vcc_lo, 0x42b17218, v15
	v_fma_f32 v53, 0x3fb8aa3b, v23, -v38
	v_sub_f32_e32 v38, v38, v54
	v_cvt_i32_f32_e32 v54, v54
	v_fmac_f32_e32 v8, v10, v14
	v_cmp_ngt_f32_e64 s4, 0xc2ce8ed0, v23
	v_fmac_f32_e32 v53, 0x32a5705f, v23
	s_delay_alu instid0(VALU_DEP_1) | instskip(NEXT) | instid1(VALU_DEP_1)
	v_dual_sub_f32 v21, v21, v6 :: v_dual_add_f32 v38, v38, v53
	v_cmp_ngt_f32_e64 s3, 0xc2ce8ed0, v21
	s_delay_alu instid0(VALU_DEP_2)
	v_exp_f32_e32 v38, v38
	s_waitcnt_depctr 0xfff
	v_ldexp_f32 v38, v38, v54
	s_waitcnt vmcnt(7)
	v_fmac_f32_e32 v7, v25, v9
	v_cndmask_b32_e64 v9, 0, v34, s0
	s_delay_alu instid0(VALU_DEP_1) | instskip(SKIP_1) | instid1(VALU_DEP_3)
	v_cndmask_b32_e32 v9, 0x7f800000, v9, vcc_lo
	s_waitcnt vmcnt(6)
	v_fmac_f32_e32 v7, v26, v11
	v_cmp_nlt_f32_e32 vcc_lo, 0x42b17218, v17
	s_delay_alu instid0(VALU_DEP_3) | instskip(SKIP_1) | instid1(VALU_DEP_3)
	v_dual_fmac_f32 v8, v9, v16 :: v_dual_mul_f32 v35, 0x3fb8aa3b, v17
	s_waitcnt vmcnt(5)
	v_fmac_f32_e32 v7, v27, v10
	s_delay_alu instid0(VALU_DEP_2) | instskip(SKIP_2) | instid1(VALU_DEP_3)
	v_fma_f32 v47, 0x3fb8aa3b, v17, -v35
	v_rndne_f32_e32 v48, v35
	v_cndmask_b32_e64 v10, 0, v36, s2
	v_fmac_f32_e32 v47, 0x32a5705f, v17
	s_delay_alu instid0(VALU_DEP_3) | instskip(SKIP_1) | instid1(VALU_DEP_2)
	v_sub_f32_e32 v35, v35, v48
	v_cvt_i32_f32_e32 v48, v48
	v_add_f32_e32 v35, v35, v47
	s_waitcnt vmcnt(4)
	v_fmac_f32_e32 v7, v28, v9
	s_delay_alu instid0(VALU_DEP_2) | instskip(SKIP_2) | instid1(VALU_DEP_1)
	v_exp_f32_e32 v35, v35
	s_waitcnt_depctr 0xfff
	v_ldexp_f32 v35, v35, v48
	v_cndmask_b32_e64 v11, 0, v35, s1
	s_delay_alu instid0(VALU_DEP_1) | instskip(SKIP_1) | instid1(VALU_DEP_2)
	v_cndmask_b32_e32 v11, 0x7f800000, v11, vcc_lo
	v_cmp_nlt_f32_e32 vcc_lo, 0x42b17218, v19
	v_fmac_f32_e32 v8, v11, v18
	v_cndmask_b32_e32 v10, 0x7f800000, v10, vcc_lo
	v_mul_f32_e32 v37, 0x3fb8aa3b, v21
	s_waitcnt vmcnt(3)
	v_fmac_f32_e32 v7, v29, v11
	v_cmp_nlt_f32_e32 vcc_lo, 0x42b17218, v21
	v_cndmask_b32_e64 v11, 0, v38, s4
	v_fmac_f32_e32 v8, v10, v20
	v_fma_f32 v51, 0x3fb8aa3b, v21, -v37
	v_rndne_f32_e32 v52, v37
	s_waitcnt vmcnt(2)
	v_fmac_f32_e32 v7, v30, v10
	s_delay_alu instid0(VALU_DEP_3) | instskip(NEXT) | instid1(VALU_DEP_3)
	v_fmac_f32_e32 v51, 0x32a5705f, v21
	v_sub_f32_e32 v37, v37, v52
	v_cvt_i32_f32_e32 v52, v52
	s_delay_alu instid0(VALU_DEP_2) | instskip(NEXT) | instid1(VALU_DEP_1)
	v_add_f32_e32 v37, v37, v51
	v_exp_f32_e32 v37, v37
	s_waitcnt_depctr 0xfff
	v_ldexp_f32 v37, v37, v52
	s_delay_alu instid0(VALU_DEP_1) | instskip(NEXT) | instid1(VALU_DEP_1)
	v_cndmask_b32_e64 v9, 0, v37, s3
	v_cndmask_b32_e32 v9, 0x7f800000, v9, vcc_lo
	v_cmp_nlt_f32_e32 vcc_lo, 0x42b17218, v23
	s_delay_alu instid0(VALU_DEP_2) | instskip(SKIP_3) | instid1(VALU_DEP_1)
	v_fmac_f32_e32 v8, v9, v22
	s_waitcnt vmcnt(1)
	v_dual_cndmask_b32 v10, 0x7f800000, v11 :: v_dual_fmac_f32 v7, v2, v9
	s_waitcnt vmcnt(0)
	v_dual_fmac_f32 v8, v10, v24 :: v_dual_fmac_f32 v7, v3, v10
	s_cbranch_scc0 .LBB38_14
; %bb.15:
	s_and_b32 s0, s11, 7
	s_delay_alu instid0(SALU_CYCLE_1)
	s_cmp_eq_u32 s0, 0
	s_cbranch_scc0 .LBB38_18
	s_branch .LBB38_20
.LBB38_16:
	v_mov_b32_e32 v0, 0x7fc00000
	s_branch .LBB38_21
.LBB38_17:
	v_mov_b32_e32 v8, 0
	s_mov_b32 s12, 0
	s_and_b32 s0, s11, 7
	s_delay_alu instid0(SALU_CYCLE_1)
	s_cmp_eq_u32 s0, 0
	s_cbranch_scc1 .LBB38_20
.LBB38_18:
	v_lshl_or_b32 v0, s12, 9, v0
	v_mov_b32_e32 v1, 0
	s_lshl_b32 s1, s12, 3
	s_delay_alu instid0(SALU_CYCLE_1)
	s_add_i32 s1, s1, 0
	s_set_inst_prefetch_distance 0x1
	.p2align	6
.LBB38_19:                              ; =>This Inner Loop Header: Depth=1
	s_delay_alu instid0(VALU_DEP_1) | instskip(SKIP_2) | instid1(VALU_DEP_2)
	v_lshlrev_b64 v[2:3], 2, v[0:1]
	s_add_i32 s0, s0, -1
	v_add_nc_u32_e32 v0, 0x200, v0
	v_add_co_u32 v2, vcc_lo, s6, v2
	s_delay_alu instid0(VALU_DEP_3)
	v_add_co_ci_u32_e32 v3, vcc_lo, s7, v3, vcc_lo
	global_load_b32 v4, v[2:3], off
	v_mov_b32_e32 v2, s1
	s_add_i32 s1, s1, 8
	s_cmp_lg_u32 s0, 0
	ds_load_b64 v[2:3], v2
	s_waitcnt lgkmcnt(0)
	v_sub_f32_e32 v2, v2, v6
	s_delay_alu instid0(VALU_DEP_1) | instskip(SKIP_1) | instid1(VALU_DEP_2)
	v_mul_f32_e32 v9, 0x3fb8aa3b, v2
	v_cmp_ngt_f32_e32 vcc_lo, 0xc2ce8ed0, v2
	v_fma_f32 v10, 0x3fb8aa3b, v2, -v9
	v_rndne_f32_e32 v11, v9
	s_delay_alu instid0(VALU_DEP_1) | instskip(NEXT) | instid1(VALU_DEP_1)
	v_dual_fmac_f32 v10, 0x32a5705f, v2 :: v_dual_sub_f32 v9, v9, v11
	v_add_f32_e32 v9, v9, v10
	v_cvt_i32_f32_e32 v10, v11
	s_delay_alu instid0(VALU_DEP_2) | instskip(SKIP_2) | instid1(VALU_DEP_1)
	v_exp_f32_e32 v9, v9
	s_waitcnt_depctr 0xfff
	v_ldexp_f32 v9, v9, v10
	v_cndmask_b32_e32 v9, 0, v9, vcc_lo
	v_cmp_nlt_f32_e32 vcc_lo, 0x42b17218, v2
	s_delay_alu instid0(VALU_DEP_2) | instskip(SKIP_1) | instid1(VALU_DEP_1)
	v_cndmask_b32_e32 v2, 0x7f800000, v9, vcc_lo
	s_waitcnt vmcnt(0)
	v_dual_fmac_f32 v8, v2, v3 :: v_dual_fmac_f32 v7, v4, v2
	s_cbranch_scc1 .LBB38_19
.LBB38_20:
	s_set_inst_prefetch_distance 0x2
	s_delay_alu instid0(VALU_DEP_1) | instskip(NEXT) | instid1(VALU_DEP_1)
	v_div_scale_f32 v0, null, v8, v8, v7
	v_rcp_f32_e32 v1, v0
	s_waitcnt_depctr 0xfff
	v_fma_f32 v2, -v0, v1, 1.0
	s_delay_alu instid0(VALU_DEP_1) | instskip(SKIP_1) | instid1(VALU_DEP_1)
	v_fmac_f32_e32 v1, v2, v1
	v_div_scale_f32 v2, vcc_lo, v7, v8, v7
	v_mul_f32_e32 v3, v2, v1
	s_delay_alu instid0(VALU_DEP_1) | instskip(NEXT) | instid1(VALU_DEP_1)
	v_fma_f32 v4, -v0, v3, v2
	v_fmac_f32_e32 v3, v4, v1
	s_delay_alu instid0(VALU_DEP_1) | instskip(NEXT) | instid1(VALU_DEP_1)
	v_fma_f32 v0, -v0, v3, v2
	v_div_fmas_f32 v0, v0, v1, v3
	s_delay_alu instid0(VALU_DEP_1)
	v_div_fixup_f32 v0, v0, v8, v7
.LBB38_21:
	s_lshl_b32 s0, s10, 9
	s_delay_alu instid0(SALU_CYCLE_1) | instskip(NEXT) | instid1(SALU_CYCLE_1)
	s_ashr_i32 s1, s0, 31
	s_lshl_b64 s[0:1], s[0:1], 2
	s_delay_alu instid0(SALU_CYCLE_1)
	s_add_u32 s0, s8, s0
	s_addc_u32 s1, s9, s1
	global_store_b32 v5, v0, s[0:1]
	s_nop 0
	s_sendmsg sendmsg(MSG_DEALLOC_VGPRS)
	s_endpgm
	.section	.rodata,"a",@progbits
	.p2align	6, 0x0
	.amdhsa_kernel _ZL26flash_attn_combine_resultsILi512EEvPKfPK15HIP_vector_typeIfLj2EEPfi
		.amdhsa_group_segment_fixed_size 0
		.amdhsa_private_segment_fixed_size 0
		.amdhsa_kernarg_size 288
		.amdhsa_user_sgpr_count 13
		.amdhsa_user_sgpr_dispatch_ptr 0
		.amdhsa_user_sgpr_queue_ptr 0
		.amdhsa_user_sgpr_kernarg_segment_ptr 1
		.amdhsa_user_sgpr_dispatch_id 0
		.amdhsa_user_sgpr_private_segment_size 0
		.amdhsa_wavefront_size32 1
		.amdhsa_uses_dynamic_stack 0
		.amdhsa_enable_private_segment 0
		.amdhsa_system_sgpr_workgroup_id_x 1
		.amdhsa_system_sgpr_workgroup_id_y 1
		.amdhsa_system_sgpr_workgroup_id_z 1
		.amdhsa_system_sgpr_workgroup_info 0
		.amdhsa_system_vgpr_workitem_id 0
		.amdhsa_next_free_vgpr 55
		.amdhsa_next_free_sgpr 16
		.amdhsa_reserve_vcc 1
		.amdhsa_float_round_mode_32 0
		.amdhsa_float_round_mode_16_64 0
		.amdhsa_float_denorm_mode_32 3
		.amdhsa_float_denorm_mode_16_64 3
		.amdhsa_dx10_clamp 1
		.amdhsa_ieee_mode 1
		.amdhsa_fp16_overflow 0
		.amdhsa_workgroup_processor_mode 1
		.amdhsa_memory_ordered 1
		.amdhsa_forward_progress 0
		.amdhsa_shared_vgpr_count 0
		.amdhsa_exception_fp_ieee_invalid_op 0
		.amdhsa_exception_fp_denorm_src 0
		.amdhsa_exception_fp_ieee_div_zero 0
		.amdhsa_exception_fp_ieee_overflow 0
		.amdhsa_exception_fp_ieee_underflow 0
		.amdhsa_exception_fp_ieee_inexact 0
		.amdhsa_exception_int_div_zero 0
	.end_amdhsa_kernel
	.section	.text._ZL26flash_attn_combine_resultsILi512EEvPKfPK15HIP_vector_typeIfLj2EEPfi,"axG",@progbits,_ZL26flash_attn_combine_resultsILi512EEvPKfPK15HIP_vector_typeIfLj2EEPfi,comdat
.Lfunc_end38:
	.size	_ZL26flash_attn_combine_resultsILi512EEvPKfPK15HIP_vector_typeIfLj2EEPfi, .Lfunc_end38-_ZL26flash_attn_combine_resultsILi512EEvPKfPK15HIP_vector_typeIfLj2EEPfi
                                        ; -- End function
	.section	.AMDGPU.csdata,"",@progbits
; Kernel info:
; codeLenInByte = 2352
; NumSgprs: 18
; NumVgprs: 55
; ScratchSize: 0
; MemoryBound: 0
; FloatMode: 240
; IeeeMode: 1
; LDSByteSize: 0 bytes/workgroup (compile time only)
; SGPRBlocks: 2
; VGPRBlocks: 6
; NumSGPRsForWavesPerEU: 18
; NumVGPRsForWavesPerEU: 55
; Occupancy: 16
; WaveLimiterHint : 0
; COMPUTE_PGM_RSRC2:SCRATCH_EN: 0
; COMPUTE_PGM_RSRC2:USER_SGPR: 13
; COMPUTE_PGM_RSRC2:TRAP_HANDLER: 0
; COMPUTE_PGM_RSRC2:TGID_X_EN: 1
; COMPUTE_PGM_RSRC2:TGID_Y_EN: 1
; COMPUTE_PGM_RSRC2:TGID_Z_EN: 1
; COMPUTE_PGM_RSRC2:TIDIG_COMP_CNT: 0
	.section	.text._ZL18flash_attn_ext_f16ILi576ELi512ELi16ELi4ELb0ELb1EEvPKcS1_S1_S1_S1_PKiPfP15HIP_vector_typeIfLj2EEffffjfiS5_IjLj3EEiiiiiiiiiiiliiliiiiil,"axG",@progbits,_ZL18flash_attn_ext_f16ILi576ELi512ELi16ELi4ELb0ELb1EEvPKcS1_S1_S1_S1_PKiPfP15HIP_vector_typeIfLj2EEffffjfiS5_IjLj3EEiiiiiiiiiiiliiliiiiil,comdat
	.globl	_ZL18flash_attn_ext_f16ILi576ELi512ELi16ELi4ELb0ELb1EEvPKcS1_S1_S1_S1_PKiPfP15HIP_vector_typeIfLj2EEffffjfiS5_IjLj3EEiiiiiiiiiiiliiliiiiil ; -- Begin function _ZL18flash_attn_ext_f16ILi576ELi512ELi16ELi4ELb0ELb1EEvPKcS1_S1_S1_S1_PKiPfP15HIP_vector_typeIfLj2EEffffjfiS5_IjLj3EEiiiiiiiiiiiliiliiiiil
	.p2align	8
	.type	_ZL18flash_attn_ext_f16ILi576ELi512ELi16ELi4ELb0ELb1EEvPKcS1_S1_S1_S1_PKiPfP15HIP_vector_typeIfLj2EEffffjfiS5_IjLj3EEiiiiiiiiiiiliiliiiiil,@function
_ZL18flash_attn_ext_f16ILi576ELi512ELi16ELi4ELb0ELb1EEvPKcS1_S1_S1_S1_PKiPfP15HIP_vector_typeIfLj2EEffffjfiS5_IjLj3EEiiiiiiiiiiiliiliiiiil: ; @_ZL18flash_attn_ext_f16ILi576ELi512ELi16ELi4ELb0ELb1EEvPKcS1_S1_S1_S1_PKiPfP15HIP_vector_typeIfLj2EEffffjfiS5_IjLj3EEiiiiiiiiiiiliiliiiiil
; %bb.0:
	v_mov_b32_e32 v0, 0x6e3
	s_add_u32 s8, s0, 0xd0
	s_addc_u32 s9, s1, 0
	s_mov_b32 s32, 0
	s_getpc_b64 s[0:1]
	s_add_u32 s0, s0, _ZL14no_device_codePKciS0_iS0_@rel32@lo+4
	s_addc_u32 s1, s1, _ZL14no_device_codePKciS0_iS0_@rel32@hi+12
	s_delay_alu instid0(SALU_CYCLE_1)
	s_swappc_b64 s[30:31], s[0:1]
	.section	.rodata,"a",@progbits
	.p2align	6, 0x0
	.amdhsa_kernel _ZL18flash_attn_ext_f16ILi576ELi512ELi16ELi4ELb0ELb1EEvPKcS1_S1_S1_S1_PKiPfP15HIP_vector_typeIfLj2EEffffjfiS5_IjLj3EEiiiiiiiiiiiliiliiiiil
		.amdhsa_group_segment_fixed_size 0
		.amdhsa_private_segment_fixed_size 16
		.amdhsa_kernarg_size 464
		.amdhsa_user_sgpr_count 15
		.amdhsa_user_sgpr_dispatch_ptr 0
		.amdhsa_user_sgpr_queue_ptr 0
		.amdhsa_user_sgpr_kernarg_segment_ptr 1
		.amdhsa_user_sgpr_dispatch_id 0
		.amdhsa_user_sgpr_private_segment_size 0
		.amdhsa_wavefront_size32 1
		.amdhsa_uses_dynamic_stack 0
		.amdhsa_enable_private_segment 1
		.amdhsa_system_sgpr_workgroup_id_x 1
		.amdhsa_system_sgpr_workgroup_id_y 0
		.amdhsa_system_sgpr_workgroup_id_z 0
		.amdhsa_system_sgpr_workgroup_info 0
		.amdhsa_system_vgpr_workitem_id 0
		.amdhsa_next_free_vgpr 37
		.amdhsa_next_free_sgpr 34
		.amdhsa_reserve_vcc 1
		.amdhsa_float_round_mode_32 0
		.amdhsa_float_round_mode_16_64 0
		.amdhsa_float_denorm_mode_32 3
		.amdhsa_float_denorm_mode_16_64 3
		.amdhsa_dx10_clamp 1
		.amdhsa_ieee_mode 1
		.amdhsa_fp16_overflow 0
		.amdhsa_workgroup_processor_mode 1
		.amdhsa_memory_ordered 1
		.amdhsa_forward_progress 0
		.amdhsa_shared_vgpr_count 0
		.amdhsa_exception_fp_ieee_invalid_op 0
		.amdhsa_exception_fp_denorm_src 0
		.amdhsa_exception_fp_ieee_div_zero 0
		.amdhsa_exception_fp_ieee_overflow 0
		.amdhsa_exception_fp_ieee_underflow 0
		.amdhsa_exception_fp_ieee_inexact 0
		.amdhsa_exception_int_div_zero 0
	.end_amdhsa_kernel
	.section	.text._ZL18flash_attn_ext_f16ILi576ELi512ELi16ELi4ELb0ELb1EEvPKcS1_S1_S1_S1_PKiPfP15HIP_vector_typeIfLj2EEffffjfiS5_IjLj3EEiiiiiiiiiiiliiliiiiil,"axG",@progbits,_ZL18flash_attn_ext_f16ILi576ELi512ELi16ELi4ELb0ELb1EEvPKcS1_S1_S1_S1_PKiPfP15HIP_vector_typeIfLj2EEffffjfiS5_IjLj3EEiiiiiiiiiiiliiliiiiil,comdat
.Lfunc_end39:
	.size	_ZL18flash_attn_ext_f16ILi576ELi512ELi16ELi4ELb0ELb1EEvPKcS1_S1_S1_S1_PKiPfP15HIP_vector_typeIfLj2EEffffjfiS5_IjLj3EEiiiiiiiiiiiliiliiiiil, .Lfunc_end39-_ZL18flash_attn_ext_f16ILi576ELi512ELi16ELi4ELb0ELb1EEvPKcS1_S1_S1_S1_PKiPfP15HIP_vector_typeIfLj2EEffffjfiS5_IjLj3EEiiiiiiiiiiiliiliiiiil
                                        ; -- End function
	.section	.AMDGPU.csdata,"",@progbits
; Kernel info:
; codeLenInByte = 52
; NumSgprs: 36
; NumVgprs: 37
; ScratchSize: 16
; MemoryBound: 0
; FloatMode: 240
; IeeeMode: 1
; LDSByteSize: 0 bytes/workgroup (compile time only)
; SGPRBlocks: 4
; VGPRBlocks: 4
; NumSGPRsForWavesPerEU: 36
; NumVGPRsForWavesPerEU: 37
; Occupancy: 16
; WaveLimiterHint : 1
; COMPUTE_PGM_RSRC2:SCRATCH_EN: 1
; COMPUTE_PGM_RSRC2:USER_SGPR: 15
; COMPUTE_PGM_RSRC2:TRAP_HANDLER: 0
; COMPUTE_PGM_RSRC2:TGID_X_EN: 1
; COMPUTE_PGM_RSRC2:TGID_Y_EN: 0
; COMPUTE_PGM_RSRC2:TGID_Z_EN: 0
; COMPUTE_PGM_RSRC2:TIDIG_COMP_CNT: 0
	.section	.text._ZL18flash_attn_ext_f16ILi576ELi512ELi16ELi4ELb1ELb1EEvPKcS1_S1_S1_S1_PKiPfP15HIP_vector_typeIfLj2EEffffjfiS5_IjLj3EEiiiiiiiiiiiliiliiiiil,"axG",@progbits,_ZL18flash_attn_ext_f16ILi576ELi512ELi16ELi4ELb1ELb1EEvPKcS1_S1_S1_S1_PKiPfP15HIP_vector_typeIfLj2EEffffjfiS5_IjLj3EEiiiiiiiiiiiliiliiiiil,comdat
	.globl	_ZL18flash_attn_ext_f16ILi576ELi512ELi16ELi4ELb1ELb1EEvPKcS1_S1_S1_S1_PKiPfP15HIP_vector_typeIfLj2EEffffjfiS5_IjLj3EEiiiiiiiiiiiliiliiiiil ; -- Begin function _ZL18flash_attn_ext_f16ILi576ELi512ELi16ELi4ELb1ELb1EEvPKcS1_S1_S1_S1_PKiPfP15HIP_vector_typeIfLj2EEffffjfiS5_IjLj3EEiiiiiiiiiiiliiliiiiil
	.p2align	8
	.type	_ZL18flash_attn_ext_f16ILi576ELi512ELi16ELi4ELb1ELb1EEvPKcS1_S1_S1_S1_PKiPfP15HIP_vector_typeIfLj2EEffffjfiS5_IjLj3EEiiiiiiiiiiiliiliiiiil,@function
_ZL18flash_attn_ext_f16ILi576ELi512ELi16ELi4ELb1ELb1EEvPKcS1_S1_S1_S1_PKiPfP15HIP_vector_typeIfLj2EEffffjfiS5_IjLj3EEiiiiiiiiiiiliiliiiiil: ; @_ZL18flash_attn_ext_f16ILi576ELi512ELi16ELi4ELb1ELb1EEvPKcS1_S1_S1_S1_PKiPfP15HIP_vector_typeIfLj2EEffffjfiS5_IjLj3EEiiiiiiiiiiiliiliiiiil
; %bb.0:
	v_mov_b32_e32 v0, 0x6cc
	s_add_u32 s8, s0, 0xd0
	s_addc_u32 s9, s1, 0
	s_mov_b32 s32, 0
	s_getpc_b64 s[0:1]
	s_add_u32 s0, s0, _ZL14no_device_codePKciS0_iS0_@rel32@lo+4
	s_addc_u32 s1, s1, _ZL14no_device_codePKciS0_iS0_@rel32@hi+12
	s_delay_alu instid0(SALU_CYCLE_1)
	s_swappc_b64 s[30:31], s[0:1]
	.section	.rodata,"a",@progbits
	.p2align	6, 0x0
	.amdhsa_kernel _ZL18flash_attn_ext_f16ILi576ELi512ELi16ELi4ELb1ELb1EEvPKcS1_S1_S1_S1_PKiPfP15HIP_vector_typeIfLj2EEffffjfiS5_IjLj3EEiiiiiiiiiiiliiliiiiil
		.amdhsa_group_segment_fixed_size 0
		.amdhsa_private_segment_fixed_size 16
		.amdhsa_kernarg_size 464
		.amdhsa_user_sgpr_count 15
		.amdhsa_user_sgpr_dispatch_ptr 0
		.amdhsa_user_sgpr_queue_ptr 0
		.amdhsa_user_sgpr_kernarg_segment_ptr 1
		.amdhsa_user_sgpr_dispatch_id 0
		.amdhsa_user_sgpr_private_segment_size 0
		.amdhsa_wavefront_size32 1
		.amdhsa_uses_dynamic_stack 0
		.amdhsa_enable_private_segment 1
		.amdhsa_system_sgpr_workgroup_id_x 1
		.amdhsa_system_sgpr_workgroup_id_y 0
		.amdhsa_system_sgpr_workgroup_id_z 0
		.amdhsa_system_sgpr_workgroup_info 0
		.amdhsa_system_vgpr_workitem_id 0
		.amdhsa_next_free_vgpr 37
		.amdhsa_next_free_sgpr 34
		.amdhsa_reserve_vcc 1
		.amdhsa_float_round_mode_32 0
		.amdhsa_float_round_mode_16_64 0
		.amdhsa_float_denorm_mode_32 3
		.amdhsa_float_denorm_mode_16_64 3
		.amdhsa_dx10_clamp 1
		.amdhsa_ieee_mode 1
		.amdhsa_fp16_overflow 0
		.amdhsa_workgroup_processor_mode 1
		.amdhsa_memory_ordered 1
		.amdhsa_forward_progress 0
		.amdhsa_shared_vgpr_count 0
		.amdhsa_exception_fp_ieee_invalid_op 0
		.amdhsa_exception_fp_denorm_src 0
		.amdhsa_exception_fp_ieee_div_zero 0
		.amdhsa_exception_fp_ieee_overflow 0
		.amdhsa_exception_fp_ieee_underflow 0
		.amdhsa_exception_fp_ieee_inexact 0
		.amdhsa_exception_int_div_zero 0
	.end_amdhsa_kernel
	.section	.text._ZL18flash_attn_ext_f16ILi576ELi512ELi16ELi4ELb1ELb1EEvPKcS1_S1_S1_S1_PKiPfP15HIP_vector_typeIfLj2EEffffjfiS5_IjLj3EEiiiiiiiiiiiliiliiiiil,"axG",@progbits,_ZL18flash_attn_ext_f16ILi576ELi512ELi16ELi4ELb1ELb1EEvPKcS1_S1_S1_S1_PKiPfP15HIP_vector_typeIfLj2EEffffjfiS5_IjLj3EEiiiiiiiiiiiliiliiiiil,comdat
.Lfunc_end40:
	.size	_ZL18flash_attn_ext_f16ILi576ELi512ELi16ELi4ELb1ELb1EEvPKcS1_S1_S1_S1_PKiPfP15HIP_vector_typeIfLj2EEffffjfiS5_IjLj3EEiiiiiiiiiiiliiliiiiil, .Lfunc_end40-_ZL18flash_attn_ext_f16ILi576ELi512ELi16ELi4ELb1ELb1EEvPKcS1_S1_S1_S1_PKiPfP15HIP_vector_typeIfLj2EEffffjfiS5_IjLj3EEiiiiiiiiiiiliiliiiiil
                                        ; -- End function
	.section	.AMDGPU.csdata,"",@progbits
; Kernel info:
; codeLenInByte = 52
; NumSgprs: 36
; NumVgprs: 37
; ScratchSize: 16
; MemoryBound: 0
; FloatMode: 240
; IeeeMode: 1
; LDSByteSize: 0 bytes/workgroup (compile time only)
; SGPRBlocks: 4
; VGPRBlocks: 4
; NumSGPRsForWavesPerEU: 36
; NumVGPRsForWavesPerEU: 37
; Occupancy: 16
; WaveLimiterHint : 1
; COMPUTE_PGM_RSRC2:SCRATCH_EN: 1
; COMPUTE_PGM_RSRC2:USER_SGPR: 15
; COMPUTE_PGM_RSRC2:TRAP_HANDLER: 0
; COMPUTE_PGM_RSRC2:TGID_X_EN: 1
; COMPUTE_PGM_RSRC2:TGID_Y_EN: 0
; COMPUTE_PGM_RSRC2:TGID_Z_EN: 0
; COMPUTE_PGM_RSRC2:TIDIG_COMP_CNT: 0
	.text
	.p2alignl 7, 3214868480
	.fill 96, 4, 3214868480
	.type	.str.1,@object                  ; @.str.1
	.section	.rodata.str1.1,"aMS",@progbits,1
.str.1:
	.asciz	"/root/src/amdgpu-assembly/repos/ggml-org__llama.cpp/ggml/src/ggml-cuda/template-instances/../fattn-mma-f16.cuh"
	.size	.str.1, 111

	.type	__FUNCTION__._ZL18flash_attn_ext_f16ILi64ELi64ELi16ELi4ELb1ELb0EEvPKcS1_S1_S1_S1_PKiPfP15HIP_vector_typeIfLj2EEffffjfiS5_IjLj3EEiiiiiiiiiiiliiliiiiil,@object ; @__FUNCTION__._ZL18flash_attn_ext_f16ILi64ELi64ELi16ELi4ELb1ELb0EEvPKcS1_S1_S1_S1_PKiPfP15HIP_vector_typeIfLj2EEffffjfiS5_IjLj3EEiiiiiiiiiiiliiliiiiil
__FUNCTION__._ZL18flash_attn_ext_f16ILi64ELi64ELi16ELi4ELb1ELb0EEvPKcS1_S1_S1_S1_PKiPfP15HIP_vector_typeIfLj2EEffffjfiS5_IjLj3EEiiiiiiiiiiiliiliiiiil:
	.asciz	"flash_attn_ext_f16"
	.size	__FUNCTION__._ZL18flash_attn_ext_f16ILi64ELi64ELi16ELi4ELb1ELb0EEvPKcS1_S1_S1_S1_PKiPfP15HIP_vector_typeIfLj2EEffffjfiS5_IjLj3EEiiiiiiiiiiiliiliiiiil, 19

	.type	.str.3,@object                  ; @.str.3
.str.3:
	.asciz	"%s:%d: ERROR: HIP kernel %s has no device code compatible with HIP arch %d.\n"
	.size	.str.3, 77

	.type	__hip_cuid_11a6771e52f1d437,@object ; @__hip_cuid_11a6771e52f1d437
	.section	.bss,"aw",@nobits
	.globl	__hip_cuid_11a6771e52f1d437
__hip_cuid_11a6771e52f1d437:
	.byte	0                               ; 0x0
	.size	__hip_cuid_11a6771e52f1d437, 1

	.ident	"AMD clang version 19.0.0git (https://github.com/RadeonOpenCompute/llvm-project roc-6.4.0 25133 c7fe45cf4b819c5991fe208aaa96edf142730f1d)"
	.section	".note.GNU-stack","",@progbits
	.addrsig
	.addrsig_sym __hip_cuid_11a6771e52f1d437
	.amdgpu_metadata
---
amdhsa.kernels:
  - .args:
      - .address_space:  global
        .offset:         0
        .size:           8
        .value_kind:     global_buffer
      - .address_space:  global
        .offset:         8
        .size:           8
        .value_kind:     global_buffer
      - .address_space:  global
        .offset:         16
        .size:           8
        .value_kind:     global_buffer
      - .address_space:  global
        .offset:         24
        .size:           8
        .value_kind:     global_buffer
      - .address_space:  global
        .offset:         32
        .size:           8
        .value_kind:     global_buffer
      - .address_space:  global
        .offset:         40
        .size:           8
        .value_kind:     global_buffer
      - .address_space:  global
        .offset:         48
        .size:           8
        .value_kind:     global_buffer
      - .address_space:  global
        .offset:         56
        .size:           8
        .value_kind:     global_buffer
      - .offset:         64
        .size:           4
        .value_kind:     by_value
      - .offset:         68
        .size:           4
        .value_kind:     by_value
      - .offset:         72
        .size:           4
        .value_kind:     by_value
      - .offset:         76
        .size:           4
        .value_kind:     by_value
      - .offset:         80
        .size:           4
        .value_kind:     by_value
      - .offset:         84
        .size:           4
        .value_kind:     by_value
      - .offset:         88
        .size:           4
        .value_kind:     by_value
      - .offset:         92
        .size:           12
        .value_kind:     by_value
      - .offset:         104
        .size:           4
        .value_kind:     by_value
      - .offset:         108
        .size:           4
        .value_kind:     by_value
      - .offset:         112
        .size:           4
        .value_kind:     by_value
      - .offset:         116
        .size:           4
        .value_kind:     by_value
      - .offset:         120
        .size:           4
        .value_kind:     by_value
      - .offset:         124
        .size:           4
        .value_kind:     by_value
      - .offset:         128
        .size:           4
        .value_kind:     by_value
      - .offset:         132
        .size:           4
        .value_kind:     by_value
      - .offset:         136
        .size:           4
        .value_kind:     by_value
      - .offset:         140
        .size:           4
        .value_kind:     by_value
      - .offset:         144
        .size:           4
        .value_kind:     by_value
      - .offset:         152
        .size:           8
        .value_kind:     by_value
      - .offset:         160
        .size:           4
        .value_kind:     by_value
      - .offset:         164
        .size:           4
        .value_kind:     by_value
      - .offset:         168
        .size:           8
        .value_kind:     by_value
      - .offset:         176
        .size:           4
        .value_kind:     by_value
      - .offset:         180
        .size:           4
        .value_kind:     by_value
      - .offset:         184
        .size:           4
        .value_kind:     by_value
      - .offset:         188
        .size:           4
        .value_kind:     by_value
      - .offset:         192
        .size:           4
        .value_kind:     by_value
      - .offset:         200
        .size:           8
        .value_kind:     by_value
      - .offset:         208
        .size:           4
        .value_kind:     hidden_block_count_x
      - .offset:         212
        .size:           4
        .value_kind:     hidden_block_count_y
      - .offset:         216
        .size:           4
        .value_kind:     hidden_block_count_z
      - .offset:         220
        .size:           2
        .value_kind:     hidden_group_size_x
      - .offset:         222
        .size:           2
        .value_kind:     hidden_group_size_y
      - .offset:         224
        .size:           2
        .value_kind:     hidden_group_size_z
      - .offset:         226
        .size:           2
        .value_kind:     hidden_remainder_x
      - .offset:         228
        .size:           2
        .value_kind:     hidden_remainder_y
      - .offset:         230
        .size:           2
        .value_kind:     hidden_remainder_z
      - .offset:         248
        .size:           8
        .value_kind:     hidden_global_offset_x
      - .offset:         256
        .size:           8
        .value_kind:     hidden_global_offset_y
      - .offset:         264
        .size:           8
        .value_kind:     hidden_global_offset_z
      - .offset:         272
        .size:           2
        .value_kind:     hidden_grid_dims
      - .offset:         328
        .size:           4
        .value_kind:     hidden_dynamic_lds_size
    .group_segment_fixed_size: 0
    .kernarg_segment_align: 8
    .kernarg_segment_size: 464
    .language:       OpenCL C
    .language_version:
      - 2
      - 0
    .max_flat_workgroup_size: 128
    .name:           _ZL18flash_attn_ext_f16ILi64ELi64ELi16ELi4ELb0ELb0EEvPKcS1_S1_S1_S1_PKiPfP15HIP_vector_typeIfLj2EEffffjfiS5_IjLj3EEiiiiiiiiiiiliiliiiiil
    .private_segment_fixed_size: 176
    .sgpr_count:     107
    .sgpr_spill_count: 24
    .symbol:         _ZL18flash_attn_ext_f16ILi64ELi64ELi16ELi4ELb0ELb0EEvPKcS1_S1_S1_S1_PKiPfP15HIP_vector_typeIfLj2EEffffjfiS5_IjLj3EEiiiiiiiiiiiliiliiiiil.kd
    .uniform_work_group_size: 1
    .uses_dynamic_stack: false
    .vgpr_count:     256
    .vgpr_spill_count: 43
    .wavefront_size: 32
    .workgroup_processor_mode: 1
  - .args:
      - .address_space:  global
        .offset:         0
        .size:           8
        .value_kind:     global_buffer
      - .address_space:  global
        .offset:         8
        .size:           8
        .value_kind:     global_buffer
      - .address_space:  global
        .offset:         16
        .size:           8
        .value_kind:     global_buffer
      - .address_space:  global
        .offset:         24
        .size:           8
        .value_kind:     global_buffer
      - .address_space:  global
        .offset:         32
        .size:           8
        .value_kind:     global_buffer
      - .address_space:  global
        .offset:         40
        .size:           8
        .value_kind:     global_buffer
      - .address_space:  global
        .offset:         48
        .size:           8
        .value_kind:     global_buffer
      - .address_space:  global
        .offset:         56
        .size:           8
        .value_kind:     global_buffer
      - .offset:         64
        .size:           4
        .value_kind:     by_value
      - .offset:         68
        .size:           4
        .value_kind:     by_value
      - .offset:         72
        .size:           4
        .value_kind:     by_value
      - .offset:         76
        .size:           4
        .value_kind:     by_value
      - .offset:         80
        .size:           4
        .value_kind:     by_value
      - .offset:         84
        .size:           4
        .value_kind:     by_value
      - .offset:         88
        .size:           4
        .value_kind:     by_value
      - .offset:         92
        .size:           12
        .value_kind:     by_value
      - .offset:         104
        .size:           4
        .value_kind:     by_value
      - .offset:         108
        .size:           4
        .value_kind:     by_value
      - .offset:         112
        .size:           4
        .value_kind:     by_value
      - .offset:         116
        .size:           4
        .value_kind:     by_value
      - .offset:         120
        .size:           4
        .value_kind:     by_value
      - .offset:         124
        .size:           4
        .value_kind:     by_value
      - .offset:         128
        .size:           4
        .value_kind:     by_value
      - .offset:         132
        .size:           4
        .value_kind:     by_value
      - .offset:         136
        .size:           4
        .value_kind:     by_value
      - .offset:         140
        .size:           4
        .value_kind:     by_value
      - .offset:         144
        .size:           4
        .value_kind:     by_value
      - .offset:         152
        .size:           8
        .value_kind:     by_value
      - .offset:         160
        .size:           4
        .value_kind:     by_value
      - .offset:         164
        .size:           4
        .value_kind:     by_value
      - .offset:         168
        .size:           8
        .value_kind:     by_value
      - .offset:         176
        .size:           4
        .value_kind:     by_value
      - .offset:         180
        .size:           4
        .value_kind:     by_value
      - .offset:         184
        .size:           4
        .value_kind:     by_value
      - .offset:         188
        .size:           4
        .value_kind:     by_value
      - .offset:         192
        .size:           4
        .value_kind:     by_value
      - .offset:         200
        .size:           8
        .value_kind:     by_value
      - .offset:         208
        .size:           4
        .value_kind:     hidden_block_count_x
      - .offset:         212
        .size:           4
        .value_kind:     hidden_block_count_y
      - .offset:         216
        .size:           4
        .value_kind:     hidden_block_count_z
      - .offset:         220
        .size:           2
        .value_kind:     hidden_group_size_x
      - .offset:         222
        .size:           2
        .value_kind:     hidden_group_size_y
      - .offset:         224
        .size:           2
        .value_kind:     hidden_group_size_z
      - .offset:         226
        .size:           2
        .value_kind:     hidden_remainder_x
      - .offset:         228
        .size:           2
        .value_kind:     hidden_remainder_y
      - .offset:         230
        .size:           2
        .value_kind:     hidden_remainder_z
      - .offset:         248
        .size:           8
        .value_kind:     hidden_global_offset_x
      - .offset:         256
        .size:           8
        .value_kind:     hidden_global_offset_y
      - .offset:         264
        .size:           8
        .value_kind:     hidden_global_offset_z
      - .offset:         272
        .size:           2
        .value_kind:     hidden_grid_dims
      - .offset:         288
        .size:           8
        .value_kind:     hidden_hostcall_buffer
    .group_segment_fixed_size: 0
    .kernarg_segment_align: 8
    .kernarg_segment_size: 464
    .language:       OpenCL C
    .language_version:
      - 2
      - 0
    .max_flat_workgroup_size: 128
    .name:           _ZL18flash_attn_ext_f16ILi64ELi64ELi16ELi4ELb1ELb0EEvPKcS1_S1_S1_S1_PKiPfP15HIP_vector_typeIfLj2EEffffjfiS5_IjLj3EEiiiiiiiiiiiliiliiiiil
    .private_segment_fixed_size: 16
    .sgpr_count:     36
    .sgpr_spill_count: 0
    .symbol:         _ZL18flash_attn_ext_f16ILi64ELi64ELi16ELi4ELb1ELb0EEvPKcS1_S1_S1_S1_PKiPfP15HIP_vector_typeIfLj2EEffffjfiS5_IjLj3EEiiiiiiiiiiiliiliiiiil.kd
    .uniform_work_group_size: 1
    .uses_dynamic_stack: false
    .vgpr_count:     37
    .vgpr_spill_count: 0
    .wavefront_size: 32
    .workgroup_processor_mode: 1
  - .args:
      - .actual_access:  read_only
        .address_space:  global
        .offset:         0
        .size:           8
        .value_kind:     global_buffer
      - .actual_access:  write_only
        .address_space:  global
        .offset:         8
        .size:           8
        .value_kind:     global_buffer
      - .offset:         16
        .size:           4
        .value_kind:     by_value
      - .offset:         20
        .size:           4
        .value_kind:     by_value
      - .offset:         24
        .size:           4
        .value_kind:     by_value
      - .offset:         32
        .size:           4
        .value_kind:     hidden_block_count_x
      - .offset:         36
        .size:           4
        .value_kind:     hidden_block_count_y
      - .offset:         40
        .size:           4
        .value_kind:     hidden_block_count_z
      - .offset:         44
        .size:           2
        .value_kind:     hidden_group_size_x
      - .offset:         46
        .size:           2
        .value_kind:     hidden_group_size_y
      - .offset:         48
        .size:           2
        .value_kind:     hidden_group_size_z
      - .offset:         50
        .size:           2
        .value_kind:     hidden_remainder_x
      - .offset:         52
        .size:           2
        .value_kind:     hidden_remainder_y
      - .offset:         54
        .size:           2
        .value_kind:     hidden_remainder_z
      - .offset:         72
        .size:           8
        .value_kind:     hidden_global_offset_x
      - .offset:         80
        .size:           8
        .value_kind:     hidden_global_offset_y
      - .offset:         88
        .size:           8
        .value_kind:     hidden_global_offset_z
      - .offset:         96
        .size:           2
        .value_kind:     hidden_grid_dims
    .group_segment_fixed_size: 128
    .kernarg_segment_align: 8
    .kernarg_segment_size: 288
    .language:       OpenCL C
    .language_version:
      - 2
      - 0
    .max_flat_workgroup_size: 128
    .name:           _ZL25flash_attn_mask_to_KV_maxILi16EEvPK7__half2Piiii
    .private_segment_fixed_size: 0
    .sgpr_count:     46
    .sgpr_spill_count: 0
    .symbol:         _ZL25flash_attn_mask_to_KV_maxILi16EEvPK7__half2Piiii.kd
    .uniform_work_group_size: 1
    .uses_dynamic_stack: false
    .vgpr_count:     9
    .vgpr_spill_count: 0
    .wavefront_size: 32
    .workgroup_processor_mode: 1
  - .args:
      - .address_space:  global
        .offset:         0
        .size:           8
        .value_kind:     global_buffer
      - .address_space:  global
        .offset:         8
        .size:           8
        .value_kind:     global_buffer
      - .offset:         16
        .size:           4
        .value_kind:     by_value
      - .offset:         20
        .size:           4
        .value_kind:     by_value
      - .offset:         24
        .size:           4
        .value_kind:     by_value
      - .offset:         28
        .size:           4
        .value_kind:     by_value
      - .offset:         32
        .size:           4
        .value_kind:     by_value
      - .offset:         36
        .size:           4
        .value_kind:     by_value
      - .offset:         40
        .size:           12
        .value_kind:     by_value
      - .offset:         52
        .size:           12
        .value_kind:     by_value
      - .offset:         64
        .size:           12
        .value_kind:     by_value
    .group_segment_fixed_size: 0
    .kernarg_segment_align: 8
    .kernarg_segment_size: 76
    .language:       OpenCL C
    .language_version:
      - 2
      - 0
    .max_flat_workgroup_size: 64
    .name:           _ZL33flash_attn_stream_k_fixup_uniformILi64ELi16ELi4EEvPfPK15HIP_vector_typeIfLj2EEiiiiiiS1_IjLj3EES5_S5_
    .private_segment_fixed_size: 0
    .sgpr_count:     22
    .sgpr_spill_count: 0
    .symbol:         _ZL33flash_attn_stream_k_fixup_uniformILi64ELi16ELi4EEvPfPK15HIP_vector_typeIfLj2EEiiiiiiS1_IjLj3EES5_S5_.kd
    .uniform_work_group_size: 1
    .uses_dynamic_stack: false
    .vgpr_count:     15
    .vgpr_spill_count: 0
    .wavefront_size: 32
    .workgroup_processor_mode: 1
  - .args:
      - .address_space:  global
        .offset:         0
        .size:           8
        .value_kind:     global_buffer
      - .address_space:  global
        .offset:         8
        .size:           8
        .value_kind:     global_buffer
      - .offset:         16
        .size:           4
        .value_kind:     by_value
      - .offset:         20
        .size:           4
        .value_kind:     by_value
      - .offset:         24
        .size:           4
        .value_kind:     by_value
      - .offset:         28
        .size:           4
        .value_kind:     by_value
      - .offset:         32
        .size:           12
        .value_kind:     by_value
      - .offset:         44
        .size:           12
        .value_kind:     by_value
      - .offset:         56
        .size:           12
        .value_kind:     by_value
      - .offset:         68
        .size:           12
        .value_kind:     by_value
      - .offset:         80
        .size:           4
        .value_kind:     hidden_block_count_x
      - .offset:         84
        .size:           4
        .value_kind:     hidden_block_count_y
      - .offset:         88
        .size:           4
        .value_kind:     hidden_block_count_z
      - .offset:         92
        .size:           2
        .value_kind:     hidden_group_size_x
      - .offset:         94
        .size:           2
        .value_kind:     hidden_group_size_y
      - .offset:         96
        .size:           2
        .value_kind:     hidden_group_size_z
      - .offset:         98
        .size:           2
        .value_kind:     hidden_remainder_x
      - .offset:         100
        .size:           2
        .value_kind:     hidden_remainder_y
      - .offset:         102
        .size:           2
        .value_kind:     hidden_remainder_z
      - .offset:         120
        .size:           8
        .value_kind:     hidden_global_offset_x
      - .offset:         128
        .size:           8
        .value_kind:     hidden_global_offset_y
      - .offset:         136
        .size:           8
        .value_kind:     hidden_global_offset_z
      - .offset:         144
        .size:           2
        .value_kind:     hidden_grid_dims
    .group_segment_fixed_size: 0
    .kernarg_segment_align: 8
    .kernarg_segment_size: 336
    .language:       OpenCL C
    .language_version:
      - 2
      - 0
    .max_flat_workgroup_size: 64
    .name:           _ZL33flash_attn_stream_k_fixup_generalILi64ELi16ELi4EEvPfPK15HIP_vector_typeIfLj2EEiiiiS1_IjLj3EES5_S5_S5_
    .private_segment_fixed_size: 0
    .sgpr_count:     34
    .sgpr_spill_count: 0
    .symbol:         _ZL33flash_attn_stream_k_fixup_generalILi64ELi16ELi4EEvPfPK15HIP_vector_typeIfLj2EEiiiiS1_IjLj3EES5_S5_S5_.kd
    .uniform_work_group_size: 1
    .uses_dynamic_stack: false
    .vgpr_count:     19
    .vgpr_spill_count: 0
    .wavefront_size: 32
    .workgroup_processor_mode: 1
  - .args:
      - .address_space:  global
        .offset:         0
        .size:           8
        .value_kind:     global_buffer
      - .address_space:  global
        .offset:         8
        .size:           8
        .value_kind:     global_buffer
      - .address_space:  global
        .offset:         16
        .size:           8
        .value_kind:     global_buffer
      - .offset:         24
        .size:           4
        .value_kind:     by_value
      - .offset:         32
        .size:           4
        .value_kind:     hidden_block_count_x
      - .offset:         36
        .size:           4
        .value_kind:     hidden_block_count_y
      - .offset:         40
        .size:           4
        .value_kind:     hidden_block_count_z
      - .offset:         44
        .size:           2
        .value_kind:     hidden_group_size_x
      - .offset:         46
        .size:           2
        .value_kind:     hidden_group_size_y
      - .offset:         48
        .size:           2
        .value_kind:     hidden_group_size_z
      - .offset:         50
        .size:           2
        .value_kind:     hidden_remainder_x
      - .offset:         52
        .size:           2
        .value_kind:     hidden_remainder_y
      - .offset:         54
        .size:           2
        .value_kind:     hidden_remainder_z
      - .offset:         72
        .size:           8
        .value_kind:     hidden_global_offset_x
      - .offset:         80
        .size:           8
        .value_kind:     hidden_global_offset_y
      - .offset:         88
        .size:           8
        .value_kind:     hidden_global_offset_z
      - .offset:         96
        .size:           2
        .value_kind:     hidden_grid_dims
      - .offset:         152
        .size:           4
        .value_kind:     hidden_dynamic_lds_size
    .group_segment_fixed_size: 0
    .kernarg_segment_align: 8
    .kernarg_segment_size: 288
    .language:       OpenCL C
    .language_version:
      - 2
      - 0
    .max_flat_workgroup_size: 64
    .name:           _ZL26flash_attn_combine_resultsILi64EEvPKfPK15HIP_vector_typeIfLj2EEPfi
    .private_segment_fixed_size: 0
    .sgpr_count:     18
    .sgpr_spill_count: 0
    .symbol:         _ZL26flash_attn_combine_resultsILi64EEvPKfPK15HIP_vector_typeIfLj2EEPfi.kd
    .uniform_work_group_size: 1
    .uses_dynamic_stack: false
    .vgpr_count:     55
    .vgpr_spill_count: 0
    .wavefront_size: 32
    .workgroup_processor_mode: 1
  - .args:
      - .address_space:  global
        .offset:         0
        .size:           8
        .value_kind:     global_buffer
      - .address_space:  global
        .offset:         8
        .size:           8
        .value_kind:     global_buffer
      - .address_space:  global
        .offset:         16
        .size:           8
        .value_kind:     global_buffer
      - .address_space:  global
        .offset:         24
        .size:           8
        .value_kind:     global_buffer
      - .address_space:  global
        .offset:         32
        .size:           8
        .value_kind:     global_buffer
      - .address_space:  global
        .offset:         40
        .size:           8
        .value_kind:     global_buffer
      - .address_space:  global
        .offset:         48
        .size:           8
        .value_kind:     global_buffer
      - .address_space:  global
        .offset:         56
        .size:           8
        .value_kind:     global_buffer
      - .offset:         64
        .size:           4
        .value_kind:     by_value
      - .offset:         68
        .size:           4
        .value_kind:     by_value
      - .offset:         72
        .size:           4
        .value_kind:     by_value
      - .offset:         76
        .size:           4
        .value_kind:     by_value
      - .offset:         80
        .size:           4
        .value_kind:     by_value
      - .offset:         84
        .size:           4
        .value_kind:     by_value
      - .offset:         88
        .size:           4
        .value_kind:     by_value
      - .offset:         92
        .size:           12
        .value_kind:     by_value
      - .offset:         104
        .size:           4
        .value_kind:     by_value
      - .offset:         108
        .size:           4
        .value_kind:     by_value
      - .offset:         112
        .size:           4
        .value_kind:     by_value
      - .offset:         116
        .size:           4
        .value_kind:     by_value
      - .offset:         120
        .size:           4
        .value_kind:     by_value
      - .offset:         124
        .size:           4
        .value_kind:     by_value
      - .offset:         128
        .size:           4
        .value_kind:     by_value
      - .offset:         132
        .size:           4
        .value_kind:     by_value
      - .offset:         136
        .size:           4
        .value_kind:     by_value
      - .offset:         140
        .size:           4
        .value_kind:     by_value
      - .offset:         144
        .size:           4
        .value_kind:     by_value
      - .offset:         152
        .size:           8
        .value_kind:     by_value
      - .offset:         160
        .size:           4
        .value_kind:     by_value
      - .offset:         164
        .size:           4
        .value_kind:     by_value
      - .offset:         168
        .size:           8
        .value_kind:     by_value
      - .offset:         176
        .size:           4
        .value_kind:     by_value
      - .offset:         180
        .size:           4
        .value_kind:     by_value
      - .offset:         184
        .size:           4
        .value_kind:     by_value
      - .offset:         188
        .size:           4
        .value_kind:     by_value
      - .offset:         192
        .size:           4
        .value_kind:     by_value
      - .offset:         200
        .size:           8
        .value_kind:     by_value
      - .offset:         208
        .size:           4
        .value_kind:     hidden_block_count_x
      - .offset:         212
        .size:           4
        .value_kind:     hidden_block_count_y
      - .offset:         216
        .size:           4
        .value_kind:     hidden_block_count_z
      - .offset:         220
        .size:           2
        .value_kind:     hidden_group_size_x
      - .offset:         222
        .size:           2
        .value_kind:     hidden_group_size_y
      - .offset:         224
        .size:           2
        .value_kind:     hidden_group_size_z
      - .offset:         226
        .size:           2
        .value_kind:     hidden_remainder_x
      - .offset:         228
        .size:           2
        .value_kind:     hidden_remainder_y
      - .offset:         230
        .size:           2
        .value_kind:     hidden_remainder_z
      - .offset:         248
        .size:           8
        .value_kind:     hidden_global_offset_x
      - .offset:         256
        .size:           8
        .value_kind:     hidden_global_offset_y
      - .offset:         264
        .size:           8
        .value_kind:     hidden_global_offset_z
      - .offset:         272
        .size:           2
        .value_kind:     hidden_grid_dims
      - .offset:         328
        .size:           4
        .value_kind:     hidden_dynamic_lds_size
    .group_segment_fixed_size: 0
    .kernarg_segment_align: 8
    .kernarg_segment_size: 464
    .language:       OpenCL C
    .language_version:
      - 2
      - 0
    .max_flat_workgroup_size: 128
    .name:           _ZL18flash_attn_ext_f16ILi80ELi80ELi16ELi4ELb0ELb0EEvPKcS1_S1_S1_S1_PKiPfP15HIP_vector_typeIfLj2EEffffjfiS5_IjLj3EEiiiiiiiiiiiliiliiiiil
    .private_segment_fixed_size: 580
    .sgpr_count:     107
    .sgpr_spill_count: 31
    .symbol:         _ZL18flash_attn_ext_f16ILi80ELi80ELi16ELi4ELb0ELb0EEvPKcS1_S1_S1_S1_PKiPfP15HIP_vector_typeIfLj2EEffffjfiS5_IjLj3EEiiiiiiiiiiiliiliiiiil.kd
    .uniform_work_group_size: 1
    .uses_dynamic_stack: false
    .vgpr_count:     256
    .vgpr_spill_count: 197
    .wavefront_size: 32
    .workgroup_processor_mode: 1
  - .args:
      - .address_space:  global
        .offset:         0
        .size:           8
        .value_kind:     global_buffer
      - .address_space:  global
        .offset:         8
        .size:           8
        .value_kind:     global_buffer
      - .address_space:  global
        .offset:         16
        .size:           8
        .value_kind:     global_buffer
      - .address_space:  global
        .offset:         24
        .size:           8
        .value_kind:     global_buffer
      - .address_space:  global
        .offset:         32
        .size:           8
        .value_kind:     global_buffer
      - .address_space:  global
        .offset:         40
        .size:           8
        .value_kind:     global_buffer
      - .address_space:  global
        .offset:         48
        .size:           8
        .value_kind:     global_buffer
      - .address_space:  global
        .offset:         56
        .size:           8
        .value_kind:     global_buffer
      - .offset:         64
        .size:           4
        .value_kind:     by_value
      - .offset:         68
        .size:           4
        .value_kind:     by_value
      - .offset:         72
        .size:           4
        .value_kind:     by_value
      - .offset:         76
        .size:           4
        .value_kind:     by_value
      - .offset:         80
        .size:           4
        .value_kind:     by_value
      - .offset:         84
        .size:           4
        .value_kind:     by_value
      - .offset:         88
        .size:           4
        .value_kind:     by_value
      - .offset:         92
        .size:           12
        .value_kind:     by_value
      - .offset:         104
        .size:           4
        .value_kind:     by_value
      - .offset:         108
        .size:           4
        .value_kind:     by_value
      - .offset:         112
        .size:           4
        .value_kind:     by_value
      - .offset:         116
        .size:           4
        .value_kind:     by_value
      - .offset:         120
        .size:           4
        .value_kind:     by_value
      - .offset:         124
        .size:           4
        .value_kind:     by_value
      - .offset:         128
        .size:           4
        .value_kind:     by_value
      - .offset:         132
        .size:           4
        .value_kind:     by_value
      - .offset:         136
        .size:           4
        .value_kind:     by_value
      - .offset:         140
        .size:           4
        .value_kind:     by_value
      - .offset:         144
        .size:           4
        .value_kind:     by_value
      - .offset:         152
        .size:           8
        .value_kind:     by_value
      - .offset:         160
        .size:           4
        .value_kind:     by_value
      - .offset:         164
        .size:           4
        .value_kind:     by_value
      - .offset:         168
        .size:           8
        .value_kind:     by_value
      - .offset:         176
        .size:           4
        .value_kind:     by_value
      - .offset:         180
        .size:           4
        .value_kind:     by_value
      - .offset:         184
        .size:           4
        .value_kind:     by_value
      - .offset:         188
        .size:           4
        .value_kind:     by_value
      - .offset:         192
        .size:           4
        .value_kind:     by_value
      - .offset:         200
        .size:           8
        .value_kind:     by_value
      - .offset:         208
        .size:           4
        .value_kind:     hidden_block_count_x
      - .offset:         212
        .size:           4
        .value_kind:     hidden_block_count_y
      - .offset:         216
        .size:           4
        .value_kind:     hidden_block_count_z
      - .offset:         220
        .size:           2
        .value_kind:     hidden_group_size_x
      - .offset:         222
        .size:           2
        .value_kind:     hidden_group_size_y
      - .offset:         224
        .size:           2
        .value_kind:     hidden_group_size_z
      - .offset:         226
        .size:           2
        .value_kind:     hidden_remainder_x
      - .offset:         228
        .size:           2
        .value_kind:     hidden_remainder_y
      - .offset:         230
        .size:           2
        .value_kind:     hidden_remainder_z
      - .offset:         248
        .size:           8
        .value_kind:     hidden_global_offset_x
      - .offset:         256
        .size:           8
        .value_kind:     hidden_global_offset_y
      - .offset:         264
        .size:           8
        .value_kind:     hidden_global_offset_z
      - .offset:         272
        .size:           2
        .value_kind:     hidden_grid_dims
      - .offset:         288
        .size:           8
        .value_kind:     hidden_hostcall_buffer
    .group_segment_fixed_size: 0
    .kernarg_segment_align: 8
    .kernarg_segment_size: 464
    .language:       OpenCL C
    .language_version:
      - 2
      - 0
    .max_flat_workgroup_size: 128
    .name:           _ZL18flash_attn_ext_f16ILi80ELi80ELi16ELi4ELb1ELb0EEvPKcS1_S1_S1_S1_PKiPfP15HIP_vector_typeIfLj2EEffffjfiS5_IjLj3EEiiiiiiiiiiiliiliiiiil
    .private_segment_fixed_size: 16
    .sgpr_count:     36
    .sgpr_spill_count: 0
    .symbol:         _ZL18flash_attn_ext_f16ILi80ELi80ELi16ELi4ELb1ELb0EEvPKcS1_S1_S1_S1_PKiPfP15HIP_vector_typeIfLj2EEffffjfiS5_IjLj3EEiiiiiiiiiiiliiliiiiil.kd
    .uniform_work_group_size: 1
    .uses_dynamic_stack: false
    .vgpr_count:     37
    .vgpr_spill_count: 0
    .wavefront_size: 32
    .workgroup_processor_mode: 1
  - .args:
      - .address_space:  global
        .offset:         0
        .size:           8
        .value_kind:     global_buffer
      - .address_space:  global
        .offset:         8
        .size:           8
        .value_kind:     global_buffer
      - .offset:         16
        .size:           4
        .value_kind:     by_value
      - .offset:         20
        .size:           4
        .value_kind:     by_value
      - .offset:         24
        .size:           4
        .value_kind:     by_value
      - .offset:         28
        .size:           4
        .value_kind:     by_value
      - .offset:         32
        .size:           4
        .value_kind:     by_value
      - .offset:         36
        .size:           4
        .value_kind:     by_value
      - .offset:         40
        .size:           12
        .value_kind:     by_value
      - .offset:         52
        .size:           12
        .value_kind:     by_value
      - .offset:         64
        .size:           12
        .value_kind:     by_value
    .group_segment_fixed_size: 0
    .kernarg_segment_align: 8
    .kernarg_segment_size: 76
    .language:       OpenCL C
    .language_version:
      - 2
      - 0
    .max_flat_workgroup_size: 80
    .name:           _ZL33flash_attn_stream_k_fixup_uniformILi80ELi16ELi4EEvPfPK15HIP_vector_typeIfLj2EEiiiiiiS1_IjLj3EES5_S5_
    .private_segment_fixed_size: 0
    .sgpr_count:     22
    .sgpr_spill_count: 0
    .symbol:         _ZL33flash_attn_stream_k_fixup_uniformILi80ELi16ELi4EEvPfPK15HIP_vector_typeIfLj2EEiiiiiiS1_IjLj3EES5_S5_.kd
    .uniform_work_group_size: 1
    .uses_dynamic_stack: false
    .vgpr_count:     15
    .vgpr_spill_count: 0
    .wavefront_size: 32
    .workgroup_processor_mode: 1
  - .args:
      - .address_space:  global
        .offset:         0
        .size:           8
        .value_kind:     global_buffer
      - .address_space:  global
        .offset:         8
        .size:           8
        .value_kind:     global_buffer
      - .offset:         16
        .size:           4
        .value_kind:     by_value
      - .offset:         20
        .size:           4
        .value_kind:     by_value
      - .offset:         24
        .size:           4
        .value_kind:     by_value
      - .offset:         28
        .size:           4
        .value_kind:     by_value
      - .offset:         32
        .size:           12
        .value_kind:     by_value
      - .offset:         44
        .size:           12
        .value_kind:     by_value
      - .offset:         56
        .size:           12
        .value_kind:     by_value
      - .offset:         68
        .size:           12
        .value_kind:     by_value
      - .offset:         80
        .size:           4
        .value_kind:     hidden_block_count_x
      - .offset:         84
        .size:           4
        .value_kind:     hidden_block_count_y
      - .offset:         88
        .size:           4
        .value_kind:     hidden_block_count_z
      - .offset:         92
        .size:           2
        .value_kind:     hidden_group_size_x
      - .offset:         94
        .size:           2
        .value_kind:     hidden_group_size_y
      - .offset:         96
        .size:           2
        .value_kind:     hidden_group_size_z
      - .offset:         98
        .size:           2
        .value_kind:     hidden_remainder_x
      - .offset:         100
        .size:           2
        .value_kind:     hidden_remainder_y
      - .offset:         102
        .size:           2
        .value_kind:     hidden_remainder_z
      - .offset:         120
        .size:           8
        .value_kind:     hidden_global_offset_x
      - .offset:         128
        .size:           8
        .value_kind:     hidden_global_offset_y
      - .offset:         136
        .size:           8
        .value_kind:     hidden_global_offset_z
      - .offset:         144
        .size:           2
        .value_kind:     hidden_grid_dims
    .group_segment_fixed_size: 0
    .kernarg_segment_align: 8
    .kernarg_segment_size: 336
    .language:       OpenCL C
    .language_version:
      - 2
      - 0
    .max_flat_workgroup_size: 80
    .name:           _ZL33flash_attn_stream_k_fixup_generalILi80ELi16ELi4EEvPfPK15HIP_vector_typeIfLj2EEiiiiS1_IjLj3EES5_S5_S5_
    .private_segment_fixed_size: 0
    .sgpr_count:     34
    .sgpr_spill_count: 0
    .symbol:         _ZL33flash_attn_stream_k_fixup_generalILi80ELi16ELi4EEvPfPK15HIP_vector_typeIfLj2EEiiiiS1_IjLj3EES5_S5_S5_.kd
    .uniform_work_group_size: 1
    .uses_dynamic_stack: false
    .vgpr_count:     19
    .vgpr_spill_count: 0
    .wavefront_size: 32
    .workgroup_processor_mode: 1
  - .args:
      - .address_space:  global
        .offset:         0
        .size:           8
        .value_kind:     global_buffer
      - .address_space:  global
        .offset:         8
        .size:           8
        .value_kind:     global_buffer
      - .address_space:  global
        .offset:         16
        .size:           8
        .value_kind:     global_buffer
      - .offset:         24
        .size:           4
        .value_kind:     by_value
      - .offset:         32
        .size:           4
        .value_kind:     hidden_block_count_x
      - .offset:         36
        .size:           4
        .value_kind:     hidden_block_count_y
      - .offset:         40
        .size:           4
        .value_kind:     hidden_block_count_z
      - .offset:         44
        .size:           2
        .value_kind:     hidden_group_size_x
      - .offset:         46
        .size:           2
        .value_kind:     hidden_group_size_y
      - .offset:         48
        .size:           2
        .value_kind:     hidden_group_size_z
      - .offset:         50
        .size:           2
        .value_kind:     hidden_remainder_x
      - .offset:         52
        .size:           2
        .value_kind:     hidden_remainder_y
      - .offset:         54
        .size:           2
        .value_kind:     hidden_remainder_z
      - .offset:         72
        .size:           8
        .value_kind:     hidden_global_offset_x
      - .offset:         80
        .size:           8
        .value_kind:     hidden_global_offset_y
      - .offset:         88
        .size:           8
        .value_kind:     hidden_global_offset_z
      - .offset:         96
        .size:           2
        .value_kind:     hidden_grid_dims
      - .offset:         152
        .size:           4
        .value_kind:     hidden_dynamic_lds_size
    .group_segment_fixed_size: 0
    .kernarg_segment_align: 8
    .kernarg_segment_size: 288
    .language:       OpenCL C
    .language_version:
      - 2
      - 0
    .max_flat_workgroup_size: 80
    .name:           _ZL26flash_attn_combine_resultsILi80EEvPKfPK15HIP_vector_typeIfLj2EEPfi
    .private_segment_fixed_size: 0
    .sgpr_count:     22
    .sgpr_spill_count: 0
    .symbol:         _ZL26flash_attn_combine_resultsILi80EEvPKfPK15HIP_vector_typeIfLj2EEPfi.kd
    .uniform_work_group_size: 1
    .uses_dynamic_stack: false
    .vgpr_count:     57
    .vgpr_spill_count: 0
    .wavefront_size: 32
    .workgroup_processor_mode: 1
  - .args:
      - .address_space:  global
        .offset:         0
        .size:           8
        .value_kind:     global_buffer
      - .address_space:  global
        .offset:         8
        .size:           8
        .value_kind:     global_buffer
      - .address_space:  global
        .offset:         16
        .size:           8
        .value_kind:     global_buffer
      - .address_space:  global
        .offset:         24
        .size:           8
        .value_kind:     global_buffer
      - .address_space:  global
        .offset:         32
        .size:           8
        .value_kind:     global_buffer
      - .address_space:  global
        .offset:         40
        .size:           8
        .value_kind:     global_buffer
      - .address_space:  global
        .offset:         48
        .size:           8
        .value_kind:     global_buffer
      - .address_space:  global
        .offset:         56
        .size:           8
        .value_kind:     global_buffer
      - .offset:         64
        .size:           4
        .value_kind:     by_value
      - .offset:         68
        .size:           4
        .value_kind:     by_value
      - .offset:         72
        .size:           4
        .value_kind:     by_value
      - .offset:         76
        .size:           4
        .value_kind:     by_value
      - .offset:         80
        .size:           4
        .value_kind:     by_value
      - .offset:         84
        .size:           4
        .value_kind:     by_value
      - .offset:         88
        .size:           4
        .value_kind:     by_value
      - .offset:         92
        .size:           12
        .value_kind:     by_value
      - .offset:         104
        .size:           4
        .value_kind:     by_value
      - .offset:         108
        .size:           4
        .value_kind:     by_value
      - .offset:         112
        .size:           4
        .value_kind:     by_value
      - .offset:         116
        .size:           4
        .value_kind:     by_value
      - .offset:         120
        .size:           4
        .value_kind:     by_value
      - .offset:         124
        .size:           4
        .value_kind:     by_value
      - .offset:         128
        .size:           4
        .value_kind:     by_value
      - .offset:         132
        .size:           4
        .value_kind:     by_value
      - .offset:         136
        .size:           4
        .value_kind:     by_value
      - .offset:         140
        .size:           4
        .value_kind:     by_value
      - .offset:         144
        .size:           4
        .value_kind:     by_value
      - .offset:         152
        .size:           8
        .value_kind:     by_value
      - .offset:         160
        .size:           4
        .value_kind:     by_value
      - .offset:         164
        .size:           4
        .value_kind:     by_value
      - .offset:         168
        .size:           8
        .value_kind:     by_value
      - .offset:         176
        .size:           4
        .value_kind:     by_value
      - .offset:         180
        .size:           4
        .value_kind:     by_value
      - .offset:         184
        .size:           4
        .value_kind:     by_value
      - .offset:         188
        .size:           4
        .value_kind:     by_value
      - .offset:         192
        .size:           4
        .value_kind:     by_value
      - .offset:         200
        .size:           8
        .value_kind:     by_value
      - .offset:         208
        .size:           4
        .value_kind:     hidden_block_count_x
      - .offset:         212
        .size:           4
        .value_kind:     hidden_block_count_y
      - .offset:         216
        .size:           4
        .value_kind:     hidden_block_count_z
      - .offset:         220
        .size:           2
        .value_kind:     hidden_group_size_x
      - .offset:         222
        .size:           2
        .value_kind:     hidden_group_size_y
      - .offset:         224
        .size:           2
        .value_kind:     hidden_group_size_z
      - .offset:         226
        .size:           2
        .value_kind:     hidden_remainder_x
      - .offset:         228
        .size:           2
        .value_kind:     hidden_remainder_y
      - .offset:         230
        .size:           2
        .value_kind:     hidden_remainder_z
      - .offset:         248
        .size:           8
        .value_kind:     hidden_global_offset_x
      - .offset:         256
        .size:           8
        .value_kind:     hidden_global_offset_y
      - .offset:         264
        .size:           8
        .value_kind:     hidden_global_offset_z
      - .offset:         272
        .size:           2
        .value_kind:     hidden_grid_dims
      - .offset:         328
        .size:           4
        .value_kind:     hidden_dynamic_lds_size
    .group_segment_fixed_size: 0
    .kernarg_segment_align: 8
    .kernarg_segment_size: 464
    .language:       OpenCL C
    .language_version:
      - 2
      - 0
    .max_flat_workgroup_size: 128
    .name:           _ZL18flash_attn_ext_f16ILi96ELi96ELi16ELi4ELb0ELb0EEvPKcS1_S1_S1_S1_PKiPfP15HIP_vector_typeIfLj2EEffffjfiS5_IjLj3EEiiiiiiiiiiiliiliiiiil
    .private_segment_fixed_size: 560
    .sgpr_count:     107
    .sgpr_spill_count: 32
    .symbol:         _ZL18flash_attn_ext_f16ILi96ELi96ELi16ELi4ELb0ELb0EEvPKcS1_S1_S1_S1_PKiPfP15HIP_vector_typeIfLj2EEffffjfiS5_IjLj3EEiiiiiiiiiiiliiliiiiil.kd
    .uniform_work_group_size: 1
    .uses_dynamic_stack: false
    .vgpr_count:     256
    .vgpr_spill_count: 163
    .wavefront_size: 32
    .workgroup_processor_mode: 1
  - .args:
      - .address_space:  global
        .offset:         0
        .size:           8
        .value_kind:     global_buffer
      - .address_space:  global
        .offset:         8
        .size:           8
        .value_kind:     global_buffer
      - .address_space:  global
        .offset:         16
        .size:           8
        .value_kind:     global_buffer
      - .address_space:  global
        .offset:         24
        .size:           8
        .value_kind:     global_buffer
      - .address_space:  global
        .offset:         32
        .size:           8
        .value_kind:     global_buffer
      - .address_space:  global
        .offset:         40
        .size:           8
        .value_kind:     global_buffer
      - .address_space:  global
        .offset:         48
        .size:           8
        .value_kind:     global_buffer
      - .address_space:  global
        .offset:         56
        .size:           8
        .value_kind:     global_buffer
      - .offset:         64
        .size:           4
        .value_kind:     by_value
      - .offset:         68
        .size:           4
        .value_kind:     by_value
      - .offset:         72
        .size:           4
        .value_kind:     by_value
      - .offset:         76
        .size:           4
        .value_kind:     by_value
      - .offset:         80
        .size:           4
        .value_kind:     by_value
      - .offset:         84
        .size:           4
        .value_kind:     by_value
      - .offset:         88
        .size:           4
        .value_kind:     by_value
      - .offset:         92
        .size:           12
        .value_kind:     by_value
      - .offset:         104
        .size:           4
        .value_kind:     by_value
      - .offset:         108
        .size:           4
        .value_kind:     by_value
      - .offset:         112
        .size:           4
        .value_kind:     by_value
      - .offset:         116
        .size:           4
        .value_kind:     by_value
      - .offset:         120
        .size:           4
        .value_kind:     by_value
      - .offset:         124
        .size:           4
        .value_kind:     by_value
      - .offset:         128
        .size:           4
        .value_kind:     by_value
      - .offset:         132
        .size:           4
        .value_kind:     by_value
      - .offset:         136
        .size:           4
        .value_kind:     by_value
      - .offset:         140
        .size:           4
        .value_kind:     by_value
      - .offset:         144
        .size:           4
        .value_kind:     by_value
      - .offset:         152
        .size:           8
        .value_kind:     by_value
      - .offset:         160
        .size:           4
        .value_kind:     by_value
      - .offset:         164
        .size:           4
        .value_kind:     by_value
      - .offset:         168
        .size:           8
        .value_kind:     by_value
      - .offset:         176
        .size:           4
        .value_kind:     by_value
      - .offset:         180
        .size:           4
        .value_kind:     by_value
      - .offset:         184
        .size:           4
        .value_kind:     by_value
      - .offset:         188
        .size:           4
        .value_kind:     by_value
      - .offset:         192
        .size:           4
        .value_kind:     by_value
      - .offset:         200
        .size:           8
        .value_kind:     by_value
      - .offset:         208
        .size:           4
        .value_kind:     hidden_block_count_x
      - .offset:         212
        .size:           4
        .value_kind:     hidden_block_count_y
      - .offset:         216
        .size:           4
        .value_kind:     hidden_block_count_z
      - .offset:         220
        .size:           2
        .value_kind:     hidden_group_size_x
      - .offset:         222
        .size:           2
        .value_kind:     hidden_group_size_y
      - .offset:         224
        .size:           2
        .value_kind:     hidden_group_size_z
      - .offset:         226
        .size:           2
        .value_kind:     hidden_remainder_x
      - .offset:         228
        .size:           2
        .value_kind:     hidden_remainder_y
      - .offset:         230
        .size:           2
        .value_kind:     hidden_remainder_z
      - .offset:         248
        .size:           8
        .value_kind:     hidden_global_offset_x
      - .offset:         256
        .size:           8
        .value_kind:     hidden_global_offset_y
      - .offset:         264
        .size:           8
        .value_kind:     hidden_global_offset_z
      - .offset:         272
        .size:           2
        .value_kind:     hidden_grid_dims
      - .offset:         288
        .size:           8
        .value_kind:     hidden_hostcall_buffer
    .group_segment_fixed_size: 0
    .kernarg_segment_align: 8
    .kernarg_segment_size: 464
    .language:       OpenCL C
    .language_version:
      - 2
      - 0
    .max_flat_workgroup_size: 128
    .name:           _ZL18flash_attn_ext_f16ILi96ELi96ELi16ELi4ELb1ELb0EEvPKcS1_S1_S1_S1_PKiPfP15HIP_vector_typeIfLj2EEffffjfiS5_IjLj3EEiiiiiiiiiiiliiliiiiil
    .private_segment_fixed_size: 16
    .sgpr_count:     36
    .sgpr_spill_count: 0
    .symbol:         _ZL18flash_attn_ext_f16ILi96ELi96ELi16ELi4ELb1ELb0EEvPKcS1_S1_S1_S1_PKiPfP15HIP_vector_typeIfLj2EEffffjfiS5_IjLj3EEiiiiiiiiiiiliiliiiiil.kd
    .uniform_work_group_size: 1
    .uses_dynamic_stack: false
    .vgpr_count:     37
    .vgpr_spill_count: 0
    .wavefront_size: 32
    .workgroup_processor_mode: 1
  - .args:
      - .address_space:  global
        .offset:         0
        .size:           8
        .value_kind:     global_buffer
      - .address_space:  global
        .offset:         8
        .size:           8
        .value_kind:     global_buffer
      - .offset:         16
        .size:           4
        .value_kind:     by_value
      - .offset:         20
        .size:           4
        .value_kind:     by_value
      - .offset:         24
        .size:           4
        .value_kind:     by_value
      - .offset:         28
        .size:           4
        .value_kind:     by_value
      - .offset:         32
        .size:           4
        .value_kind:     by_value
      - .offset:         36
        .size:           4
        .value_kind:     by_value
      - .offset:         40
        .size:           12
        .value_kind:     by_value
      - .offset:         52
        .size:           12
        .value_kind:     by_value
      - .offset:         64
        .size:           12
        .value_kind:     by_value
    .group_segment_fixed_size: 0
    .kernarg_segment_align: 8
    .kernarg_segment_size: 76
    .language:       OpenCL C
    .language_version:
      - 2
      - 0
    .max_flat_workgroup_size: 96
    .name:           _ZL33flash_attn_stream_k_fixup_uniformILi96ELi16ELi4EEvPfPK15HIP_vector_typeIfLj2EEiiiiiiS1_IjLj3EES5_S5_
    .private_segment_fixed_size: 0
    .sgpr_count:     22
    .sgpr_spill_count: 0
    .symbol:         _ZL33flash_attn_stream_k_fixup_uniformILi96ELi16ELi4EEvPfPK15HIP_vector_typeIfLj2EEiiiiiiS1_IjLj3EES5_S5_.kd
    .uniform_work_group_size: 1
    .uses_dynamic_stack: false
    .vgpr_count:     15
    .vgpr_spill_count: 0
    .wavefront_size: 32
    .workgroup_processor_mode: 1
  - .args:
      - .address_space:  global
        .offset:         0
        .size:           8
        .value_kind:     global_buffer
      - .address_space:  global
        .offset:         8
        .size:           8
        .value_kind:     global_buffer
      - .offset:         16
        .size:           4
        .value_kind:     by_value
      - .offset:         20
        .size:           4
        .value_kind:     by_value
      - .offset:         24
        .size:           4
        .value_kind:     by_value
      - .offset:         28
        .size:           4
        .value_kind:     by_value
      - .offset:         32
        .size:           12
        .value_kind:     by_value
      - .offset:         44
        .size:           12
        .value_kind:     by_value
      - .offset:         56
        .size:           12
        .value_kind:     by_value
      - .offset:         68
        .size:           12
        .value_kind:     by_value
      - .offset:         80
        .size:           4
        .value_kind:     hidden_block_count_x
      - .offset:         84
        .size:           4
        .value_kind:     hidden_block_count_y
      - .offset:         88
        .size:           4
        .value_kind:     hidden_block_count_z
      - .offset:         92
        .size:           2
        .value_kind:     hidden_group_size_x
      - .offset:         94
        .size:           2
        .value_kind:     hidden_group_size_y
      - .offset:         96
        .size:           2
        .value_kind:     hidden_group_size_z
      - .offset:         98
        .size:           2
        .value_kind:     hidden_remainder_x
      - .offset:         100
        .size:           2
        .value_kind:     hidden_remainder_y
      - .offset:         102
        .size:           2
        .value_kind:     hidden_remainder_z
      - .offset:         120
        .size:           8
        .value_kind:     hidden_global_offset_x
      - .offset:         128
        .size:           8
        .value_kind:     hidden_global_offset_y
      - .offset:         136
        .size:           8
        .value_kind:     hidden_global_offset_z
      - .offset:         144
        .size:           2
        .value_kind:     hidden_grid_dims
    .group_segment_fixed_size: 0
    .kernarg_segment_align: 8
    .kernarg_segment_size: 336
    .language:       OpenCL C
    .language_version:
      - 2
      - 0
    .max_flat_workgroup_size: 96
    .name:           _ZL33flash_attn_stream_k_fixup_generalILi96ELi16ELi4EEvPfPK15HIP_vector_typeIfLj2EEiiiiS1_IjLj3EES5_S5_S5_
    .private_segment_fixed_size: 0
    .sgpr_count:     34
    .sgpr_spill_count: 0
    .symbol:         _ZL33flash_attn_stream_k_fixup_generalILi96ELi16ELi4EEvPfPK15HIP_vector_typeIfLj2EEiiiiS1_IjLj3EES5_S5_S5_.kd
    .uniform_work_group_size: 1
    .uses_dynamic_stack: false
    .vgpr_count:     19
    .vgpr_spill_count: 0
    .wavefront_size: 32
    .workgroup_processor_mode: 1
  - .args:
      - .address_space:  global
        .offset:         0
        .size:           8
        .value_kind:     global_buffer
      - .address_space:  global
        .offset:         8
        .size:           8
        .value_kind:     global_buffer
      - .address_space:  global
        .offset:         16
        .size:           8
        .value_kind:     global_buffer
      - .offset:         24
        .size:           4
        .value_kind:     by_value
      - .offset:         32
        .size:           4
        .value_kind:     hidden_block_count_x
      - .offset:         36
        .size:           4
        .value_kind:     hidden_block_count_y
      - .offset:         40
        .size:           4
        .value_kind:     hidden_block_count_z
      - .offset:         44
        .size:           2
        .value_kind:     hidden_group_size_x
      - .offset:         46
        .size:           2
        .value_kind:     hidden_group_size_y
      - .offset:         48
        .size:           2
        .value_kind:     hidden_group_size_z
      - .offset:         50
        .size:           2
        .value_kind:     hidden_remainder_x
      - .offset:         52
        .size:           2
        .value_kind:     hidden_remainder_y
      - .offset:         54
        .size:           2
        .value_kind:     hidden_remainder_z
      - .offset:         72
        .size:           8
        .value_kind:     hidden_global_offset_x
      - .offset:         80
        .size:           8
        .value_kind:     hidden_global_offset_y
      - .offset:         88
        .size:           8
        .value_kind:     hidden_global_offset_z
      - .offset:         96
        .size:           2
        .value_kind:     hidden_grid_dims
      - .offset:         152
        .size:           4
        .value_kind:     hidden_dynamic_lds_size
    .group_segment_fixed_size: 0
    .kernarg_segment_align: 8
    .kernarg_segment_size: 288
    .language:       OpenCL C
    .language_version:
      - 2
      - 0
    .max_flat_workgroup_size: 96
    .name:           _ZL26flash_attn_combine_resultsILi96EEvPKfPK15HIP_vector_typeIfLj2EEPfi
    .private_segment_fixed_size: 0
    .sgpr_count:     22
    .sgpr_spill_count: 0
    .symbol:         _ZL26flash_attn_combine_resultsILi96EEvPKfPK15HIP_vector_typeIfLj2EEPfi.kd
    .uniform_work_group_size: 1
    .uses_dynamic_stack: false
    .vgpr_count:     57
    .vgpr_spill_count: 0
    .wavefront_size: 32
    .workgroup_processor_mode: 1
  - .args:
      - .address_space:  global
        .offset:         0
        .size:           8
        .value_kind:     global_buffer
      - .address_space:  global
        .offset:         8
        .size:           8
        .value_kind:     global_buffer
      - .address_space:  global
        .offset:         16
        .size:           8
        .value_kind:     global_buffer
      - .address_space:  global
        .offset:         24
        .size:           8
        .value_kind:     global_buffer
      - .address_space:  global
        .offset:         32
        .size:           8
        .value_kind:     global_buffer
      - .address_space:  global
        .offset:         40
        .size:           8
        .value_kind:     global_buffer
      - .address_space:  global
        .offset:         48
        .size:           8
        .value_kind:     global_buffer
      - .address_space:  global
        .offset:         56
        .size:           8
        .value_kind:     global_buffer
      - .offset:         64
        .size:           4
        .value_kind:     by_value
      - .offset:         68
        .size:           4
        .value_kind:     by_value
      - .offset:         72
        .size:           4
        .value_kind:     by_value
      - .offset:         76
        .size:           4
        .value_kind:     by_value
      - .offset:         80
        .size:           4
        .value_kind:     by_value
      - .offset:         84
        .size:           4
        .value_kind:     by_value
      - .offset:         88
        .size:           4
        .value_kind:     by_value
      - .offset:         92
        .size:           12
        .value_kind:     by_value
      - .offset:         104
        .size:           4
        .value_kind:     by_value
      - .offset:         108
        .size:           4
        .value_kind:     by_value
      - .offset:         112
        .size:           4
        .value_kind:     by_value
      - .offset:         116
        .size:           4
        .value_kind:     by_value
      - .offset:         120
        .size:           4
        .value_kind:     by_value
      - .offset:         124
        .size:           4
        .value_kind:     by_value
      - .offset:         128
        .size:           4
        .value_kind:     by_value
      - .offset:         132
        .size:           4
        .value_kind:     by_value
      - .offset:         136
        .size:           4
        .value_kind:     by_value
      - .offset:         140
        .size:           4
        .value_kind:     by_value
      - .offset:         144
        .size:           4
        .value_kind:     by_value
      - .offset:         152
        .size:           8
        .value_kind:     by_value
      - .offset:         160
        .size:           4
        .value_kind:     by_value
      - .offset:         164
        .size:           4
        .value_kind:     by_value
      - .offset:         168
        .size:           8
        .value_kind:     by_value
      - .offset:         176
        .size:           4
        .value_kind:     by_value
      - .offset:         180
        .size:           4
        .value_kind:     by_value
      - .offset:         184
        .size:           4
        .value_kind:     by_value
      - .offset:         188
        .size:           4
        .value_kind:     by_value
      - .offset:         192
        .size:           4
        .value_kind:     by_value
      - .offset:         200
        .size:           8
        .value_kind:     by_value
      - .offset:         208
        .size:           4
        .value_kind:     hidden_block_count_x
      - .offset:         212
        .size:           4
        .value_kind:     hidden_block_count_y
      - .offset:         216
        .size:           4
        .value_kind:     hidden_block_count_z
      - .offset:         220
        .size:           2
        .value_kind:     hidden_group_size_x
      - .offset:         222
        .size:           2
        .value_kind:     hidden_group_size_y
      - .offset:         224
        .size:           2
        .value_kind:     hidden_group_size_z
      - .offset:         226
        .size:           2
        .value_kind:     hidden_remainder_x
      - .offset:         228
        .size:           2
        .value_kind:     hidden_remainder_y
      - .offset:         230
        .size:           2
        .value_kind:     hidden_remainder_z
      - .offset:         248
        .size:           8
        .value_kind:     hidden_global_offset_x
      - .offset:         256
        .size:           8
        .value_kind:     hidden_global_offset_y
      - .offset:         264
        .size:           8
        .value_kind:     hidden_global_offset_z
      - .offset:         272
        .size:           2
        .value_kind:     hidden_grid_dims
      - .offset:         328
        .size:           4
        .value_kind:     hidden_dynamic_lds_size
    .group_segment_fixed_size: 0
    .kernarg_segment_align: 8
    .kernarg_segment_size: 464
    .language:       OpenCL C
    .language_version:
      - 2
      - 0
    .max_flat_workgroup_size: 128
    .name:           _ZL18flash_attn_ext_f16ILi112ELi112ELi16ELi4ELb0ELb0EEvPKcS1_S1_S1_S1_PKiPfP15HIP_vector_typeIfLj2EEffffjfiS5_IjLj3EEiiiiiiiiiiiliiliiiiil
    .private_segment_fixed_size: 1552
    .sgpr_count:     107
    .sgpr_spill_count: 37
    .symbol:         _ZL18flash_attn_ext_f16ILi112ELi112ELi16ELi4ELb0ELb0EEvPKcS1_S1_S1_S1_PKiPfP15HIP_vector_typeIfLj2EEffffjfiS5_IjLj3EEiiiiiiiiiiiliiliiiiil.kd
    .uniform_work_group_size: 1
    .uses_dynamic_stack: false
    .vgpr_count:     256
    .vgpr_spill_count: 531
    .wavefront_size: 32
    .workgroup_processor_mode: 1
  - .args:
      - .address_space:  global
        .offset:         0
        .size:           8
        .value_kind:     global_buffer
      - .address_space:  global
        .offset:         8
        .size:           8
        .value_kind:     global_buffer
      - .address_space:  global
        .offset:         16
        .size:           8
        .value_kind:     global_buffer
      - .address_space:  global
        .offset:         24
        .size:           8
        .value_kind:     global_buffer
      - .address_space:  global
        .offset:         32
        .size:           8
        .value_kind:     global_buffer
      - .address_space:  global
        .offset:         40
        .size:           8
        .value_kind:     global_buffer
      - .address_space:  global
        .offset:         48
        .size:           8
        .value_kind:     global_buffer
      - .address_space:  global
        .offset:         56
        .size:           8
        .value_kind:     global_buffer
      - .offset:         64
        .size:           4
        .value_kind:     by_value
      - .offset:         68
        .size:           4
        .value_kind:     by_value
      - .offset:         72
        .size:           4
        .value_kind:     by_value
      - .offset:         76
        .size:           4
        .value_kind:     by_value
      - .offset:         80
        .size:           4
        .value_kind:     by_value
      - .offset:         84
        .size:           4
        .value_kind:     by_value
      - .offset:         88
        .size:           4
        .value_kind:     by_value
      - .offset:         92
        .size:           12
        .value_kind:     by_value
      - .offset:         104
        .size:           4
        .value_kind:     by_value
      - .offset:         108
        .size:           4
        .value_kind:     by_value
      - .offset:         112
        .size:           4
        .value_kind:     by_value
      - .offset:         116
        .size:           4
        .value_kind:     by_value
      - .offset:         120
        .size:           4
        .value_kind:     by_value
      - .offset:         124
        .size:           4
        .value_kind:     by_value
      - .offset:         128
        .size:           4
        .value_kind:     by_value
      - .offset:         132
        .size:           4
        .value_kind:     by_value
      - .offset:         136
        .size:           4
        .value_kind:     by_value
      - .offset:         140
        .size:           4
        .value_kind:     by_value
      - .offset:         144
        .size:           4
        .value_kind:     by_value
      - .offset:         152
        .size:           8
        .value_kind:     by_value
      - .offset:         160
        .size:           4
        .value_kind:     by_value
      - .offset:         164
        .size:           4
        .value_kind:     by_value
      - .offset:         168
        .size:           8
        .value_kind:     by_value
      - .offset:         176
        .size:           4
        .value_kind:     by_value
      - .offset:         180
        .size:           4
        .value_kind:     by_value
      - .offset:         184
        .size:           4
        .value_kind:     by_value
      - .offset:         188
        .size:           4
        .value_kind:     by_value
      - .offset:         192
        .size:           4
        .value_kind:     by_value
      - .offset:         200
        .size:           8
        .value_kind:     by_value
      - .offset:         208
        .size:           4
        .value_kind:     hidden_block_count_x
      - .offset:         212
        .size:           4
        .value_kind:     hidden_block_count_y
      - .offset:         216
        .size:           4
        .value_kind:     hidden_block_count_z
      - .offset:         220
        .size:           2
        .value_kind:     hidden_group_size_x
      - .offset:         222
        .size:           2
        .value_kind:     hidden_group_size_y
      - .offset:         224
        .size:           2
        .value_kind:     hidden_group_size_z
      - .offset:         226
        .size:           2
        .value_kind:     hidden_remainder_x
      - .offset:         228
        .size:           2
        .value_kind:     hidden_remainder_y
      - .offset:         230
        .size:           2
        .value_kind:     hidden_remainder_z
      - .offset:         248
        .size:           8
        .value_kind:     hidden_global_offset_x
      - .offset:         256
        .size:           8
        .value_kind:     hidden_global_offset_y
      - .offset:         264
        .size:           8
        .value_kind:     hidden_global_offset_z
      - .offset:         272
        .size:           2
        .value_kind:     hidden_grid_dims
      - .offset:         288
        .size:           8
        .value_kind:     hidden_hostcall_buffer
    .group_segment_fixed_size: 0
    .kernarg_segment_align: 8
    .kernarg_segment_size: 464
    .language:       OpenCL C
    .language_version:
      - 2
      - 0
    .max_flat_workgroup_size: 128
    .name:           _ZL18flash_attn_ext_f16ILi112ELi112ELi16ELi4ELb1ELb0EEvPKcS1_S1_S1_S1_PKiPfP15HIP_vector_typeIfLj2EEffffjfiS5_IjLj3EEiiiiiiiiiiiliiliiiiil
    .private_segment_fixed_size: 16
    .sgpr_count:     36
    .sgpr_spill_count: 0
    .symbol:         _ZL18flash_attn_ext_f16ILi112ELi112ELi16ELi4ELb1ELb0EEvPKcS1_S1_S1_S1_PKiPfP15HIP_vector_typeIfLj2EEffffjfiS5_IjLj3EEiiiiiiiiiiiliiliiiiil.kd
    .uniform_work_group_size: 1
    .uses_dynamic_stack: false
    .vgpr_count:     37
    .vgpr_spill_count: 0
    .wavefront_size: 32
    .workgroup_processor_mode: 1
  - .args:
      - .address_space:  global
        .offset:         0
        .size:           8
        .value_kind:     global_buffer
      - .address_space:  global
        .offset:         8
        .size:           8
        .value_kind:     global_buffer
      - .offset:         16
        .size:           4
        .value_kind:     by_value
      - .offset:         20
        .size:           4
        .value_kind:     by_value
      - .offset:         24
        .size:           4
        .value_kind:     by_value
      - .offset:         28
        .size:           4
        .value_kind:     by_value
      - .offset:         32
        .size:           4
        .value_kind:     by_value
      - .offset:         36
        .size:           4
        .value_kind:     by_value
      - .offset:         40
        .size:           12
        .value_kind:     by_value
      - .offset:         52
        .size:           12
        .value_kind:     by_value
      - .offset:         64
        .size:           12
        .value_kind:     by_value
    .group_segment_fixed_size: 0
    .kernarg_segment_align: 8
    .kernarg_segment_size: 76
    .language:       OpenCL C
    .language_version:
      - 2
      - 0
    .max_flat_workgroup_size: 112
    .name:           _ZL33flash_attn_stream_k_fixup_uniformILi112ELi16ELi4EEvPfPK15HIP_vector_typeIfLj2EEiiiiiiS1_IjLj3EES5_S5_
    .private_segment_fixed_size: 0
    .sgpr_count:     22
    .sgpr_spill_count: 0
    .symbol:         _ZL33flash_attn_stream_k_fixup_uniformILi112ELi16ELi4EEvPfPK15HIP_vector_typeIfLj2EEiiiiiiS1_IjLj3EES5_S5_.kd
    .uniform_work_group_size: 1
    .uses_dynamic_stack: false
    .vgpr_count:     15
    .vgpr_spill_count: 0
    .wavefront_size: 32
    .workgroup_processor_mode: 1
  - .args:
      - .address_space:  global
        .offset:         0
        .size:           8
        .value_kind:     global_buffer
      - .address_space:  global
        .offset:         8
        .size:           8
        .value_kind:     global_buffer
      - .offset:         16
        .size:           4
        .value_kind:     by_value
      - .offset:         20
        .size:           4
        .value_kind:     by_value
      - .offset:         24
        .size:           4
        .value_kind:     by_value
      - .offset:         28
        .size:           4
        .value_kind:     by_value
      - .offset:         32
        .size:           12
        .value_kind:     by_value
      - .offset:         44
        .size:           12
        .value_kind:     by_value
      - .offset:         56
        .size:           12
        .value_kind:     by_value
      - .offset:         68
        .size:           12
        .value_kind:     by_value
      - .offset:         80
        .size:           4
        .value_kind:     hidden_block_count_x
      - .offset:         84
        .size:           4
        .value_kind:     hidden_block_count_y
      - .offset:         88
        .size:           4
        .value_kind:     hidden_block_count_z
      - .offset:         92
        .size:           2
        .value_kind:     hidden_group_size_x
      - .offset:         94
        .size:           2
        .value_kind:     hidden_group_size_y
      - .offset:         96
        .size:           2
        .value_kind:     hidden_group_size_z
      - .offset:         98
        .size:           2
        .value_kind:     hidden_remainder_x
      - .offset:         100
        .size:           2
        .value_kind:     hidden_remainder_y
      - .offset:         102
        .size:           2
        .value_kind:     hidden_remainder_z
      - .offset:         120
        .size:           8
        .value_kind:     hidden_global_offset_x
      - .offset:         128
        .size:           8
        .value_kind:     hidden_global_offset_y
      - .offset:         136
        .size:           8
        .value_kind:     hidden_global_offset_z
      - .offset:         144
        .size:           2
        .value_kind:     hidden_grid_dims
    .group_segment_fixed_size: 0
    .kernarg_segment_align: 8
    .kernarg_segment_size: 336
    .language:       OpenCL C
    .language_version:
      - 2
      - 0
    .max_flat_workgroup_size: 112
    .name:           _ZL33flash_attn_stream_k_fixup_generalILi112ELi16ELi4EEvPfPK15HIP_vector_typeIfLj2EEiiiiS1_IjLj3EES5_S5_S5_
    .private_segment_fixed_size: 0
    .sgpr_count:     34
    .sgpr_spill_count: 0
    .symbol:         _ZL33flash_attn_stream_k_fixup_generalILi112ELi16ELi4EEvPfPK15HIP_vector_typeIfLj2EEiiiiS1_IjLj3EES5_S5_S5_.kd
    .uniform_work_group_size: 1
    .uses_dynamic_stack: false
    .vgpr_count:     19
    .vgpr_spill_count: 0
    .wavefront_size: 32
    .workgroup_processor_mode: 1
  - .args:
      - .address_space:  global
        .offset:         0
        .size:           8
        .value_kind:     global_buffer
      - .address_space:  global
        .offset:         8
        .size:           8
        .value_kind:     global_buffer
      - .address_space:  global
        .offset:         16
        .size:           8
        .value_kind:     global_buffer
      - .offset:         24
        .size:           4
        .value_kind:     by_value
      - .offset:         32
        .size:           4
        .value_kind:     hidden_block_count_x
      - .offset:         36
        .size:           4
        .value_kind:     hidden_block_count_y
      - .offset:         40
        .size:           4
        .value_kind:     hidden_block_count_z
      - .offset:         44
        .size:           2
        .value_kind:     hidden_group_size_x
      - .offset:         46
        .size:           2
        .value_kind:     hidden_group_size_y
      - .offset:         48
        .size:           2
        .value_kind:     hidden_group_size_z
      - .offset:         50
        .size:           2
        .value_kind:     hidden_remainder_x
      - .offset:         52
        .size:           2
        .value_kind:     hidden_remainder_y
      - .offset:         54
        .size:           2
        .value_kind:     hidden_remainder_z
      - .offset:         72
        .size:           8
        .value_kind:     hidden_global_offset_x
      - .offset:         80
        .size:           8
        .value_kind:     hidden_global_offset_y
      - .offset:         88
        .size:           8
        .value_kind:     hidden_global_offset_z
      - .offset:         96
        .size:           2
        .value_kind:     hidden_grid_dims
      - .offset:         152
        .size:           4
        .value_kind:     hidden_dynamic_lds_size
    .group_segment_fixed_size: 0
    .kernarg_segment_align: 8
    .kernarg_segment_size: 288
    .language:       OpenCL C
    .language_version:
      - 2
      - 0
    .max_flat_workgroup_size: 112
    .name:           _ZL26flash_attn_combine_resultsILi112EEvPKfPK15HIP_vector_typeIfLj2EEPfi
    .private_segment_fixed_size: 0
    .sgpr_count:     22
    .sgpr_spill_count: 0
    .symbol:         _ZL26flash_attn_combine_resultsILi112EEvPKfPK15HIP_vector_typeIfLj2EEPfi.kd
    .uniform_work_group_size: 1
    .uses_dynamic_stack: false
    .vgpr_count:     57
    .vgpr_spill_count: 0
    .wavefront_size: 32
    .workgroup_processor_mode: 1
  - .args:
      - .address_space:  global
        .offset:         0
        .size:           8
        .value_kind:     global_buffer
      - .address_space:  global
        .offset:         8
        .size:           8
        .value_kind:     global_buffer
      - .address_space:  global
        .offset:         16
        .size:           8
        .value_kind:     global_buffer
      - .address_space:  global
        .offset:         24
        .size:           8
        .value_kind:     global_buffer
      - .address_space:  global
        .offset:         32
        .size:           8
        .value_kind:     global_buffer
      - .address_space:  global
        .offset:         40
        .size:           8
        .value_kind:     global_buffer
      - .address_space:  global
        .offset:         48
        .size:           8
        .value_kind:     global_buffer
      - .address_space:  global
        .offset:         56
        .size:           8
        .value_kind:     global_buffer
      - .offset:         64
        .size:           4
        .value_kind:     by_value
      - .offset:         68
        .size:           4
        .value_kind:     by_value
      - .offset:         72
        .size:           4
        .value_kind:     by_value
      - .offset:         76
        .size:           4
        .value_kind:     by_value
      - .offset:         80
        .size:           4
        .value_kind:     by_value
      - .offset:         84
        .size:           4
        .value_kind:     by_value
      - .offset:         88
        .size:           4
        .value_kind:     by_value
      - .offset:         92
        .size:           12
        .value_kind:     by_value
      - .offset:         104
        .size:           4
        .value_kind:     by_value
      - .offset:         108
        .size:           4
        .value_kind:     by_value
      - .offset:         112
        .size:           4
        .value_kind:     by_value
      - .offset:         116
        .size:           4
        .value_kind:     by_value
      - .offset:         120
        .size:           4
        .value_kind:     by_value
      - .offset:         124
        .size:           4
        .value_kind:     by_value
      - .offset:         128
        .size:           4
        .value_kind:     by_value
      - .offset:         132
        .size:           4
        .value_kind:     by_value
      - .offset:         136
        .size:           4
        .value_kind:     by_value
      - .offset:         140
        .size:           4
        .value_kind:     by_value
      - .offset:         144
        .size:           4
        .value_kind:     by_value
      - .offset:         152
        .size:           8
        .value_kind:     by_value
      - .offset:         160
        .size:           4
        .value_kind:     by_value
      - .offset:         164
        .size:           4
        .value_kind:     by_value
      - .offset:         168
        .size:           8
        .value_kind:     by_value
      - .offset:         176
        .size:           4
        .value_kind:     by_value
      - .offset:         180
        .size:           4
        .value_kind:     by_value
      - .offset:         184
        .size:           4
        .value_kind:     by_value
      - .offset:         188
        .size:           4
        .value_kind:     by_value
      - .offset:         192
        .size:           4
        .value_kind:     by_value
      - .offset:         200
        .size:           8
        .value_kind:     by_value
      - .offset:         208
        .size:           4
        .value_kind:     hidden_block_count_x
      - .offset:         212
        .size:           4
        .value_kind:     hidden_block_count_y
      - .offset:         216
        .size:           4
        .value_kind:     hidden_block_count_z
      - .offset:         220
        .size:           2
        .value_kind:     hidden_group_size_x
      - .offset:         222
        .size:           2
        .value_kind:     hidden_group_size_y
      - .offset:         224
        .size:           2
        .value_kind:     hidden_group_size_z
      - .offset:         226
        .size:           2
        .value_kind:     hidden_remainder_x
      - .offset:         228
        .size:           2
        .value_kind:     hidden_remainder_y
      - .offset:         230
        .size:           2
        .value_kind:     hidden_remainder_z
      - .offset:         248
        .size:           8
        .value_kind:     hidden_global_offset_x
      - .offset:         256
        .size:           8
        .value_kind:     hidden_global_offset_y
      - .offset:         264
        .size:           8
        .value_kind:     hidden_global_offset_z
      - .offset:         272
        .size:           2
        .value_kind:     hidden_grid_dims
      - .offset:         328
        .size:           4
        .value_kind:     hidden_dynamic_lds_size
    .group_segment_fixed_size: 0
    .kernarg_segment_align: 8
    .kernarg_segment_size: 464
    .language:       OpenCL C
    .language_version:
      - 2
      - 0
    .max_flat_workgroup_size: 128
    .name:           _ZL18flash_attn_ext_f16ILi128ELi128ELi16ELi4ELb0ELb0EEvPKcS1_S1_S1_S1_PKiPfP15HIP_vector_typeIfLj2EEffffjfiS5_IjLj3EEiiiiiiiiiiiliiliiiiil
    .private_segment_fixed_size: 920
    .sgpr_count:     107
    .sgpr_spill_count: 24
    .symbol:         _ZL18flash_attn_ext_f16ILi128ELi128ELi16ELi4ELb0ELb0EEvPKcS1_S1_S1_S1_PKiPfP15HIP_vector_typeIfLj2EEffffjfiS5_IjLj3EEiiiiiiiiiiiliiliiiiil.kd
    .uniform_work_group_size: 1
    .uses_dynamic_stack: false
    .vgpr_count:     256
    .vgpr_spill_count: 309
    .wavefront_size: 32
    .workgroup_processor_mode: 1
  - .args:
      - .address_space:  global
        .offset:         0
        .size:           8
        .value_kind:     global_buffer
      - .address_space:  global
        .offset:         8
        .size:           8
        .value_kind:     global_buffer
      - .address_space:  global
        .offset:         16
        .size:           8
        .value_kind:     global_buffer
      - .address_space:  global
        .offset:         24
        .size:           8
        .value_kind:     global_buffer
      - .address_space:  global
        .offset:         32
        .size:           8
        .value_kind:     global_buffer
      - .address_space:  global
        .offset:         40
        .size:           8
        .value_kind:     global_buffer
      - .address_space:  global
        .offset:         48
        .size:           8
        .value_kind:     global_buffer
      - .address_space:  global
        .offset:         56
        .size:           8
        .value_kind:     global_buffer
      - .offset:         64
        .size:           4
        .value_kind:     by_value
      - .offset:         68
        .size:           4
        .value_kind:     by_value
      - .offset:         72
        .size:           4
        .value_kind:     by_value
      - .offset:         76
        .size:           4
        .value_kind:     by_value
      - .offset:         80
        .size:           4
        .value_kind:     by_value
      - .offset:         84
        .size:           4
        .value_kind:     by_value
      - .offset:         88
        .size:           4
        .value_kind:     by_value
      - .offset:         92
        .size:           12
        .value_kind:     by_value
      - .offset:         104
        .size:           4
        .value_kind:     by_value
      - .offset:         108
        .size:           4
        .value_kind:     by_value
      - .offset:         112
        .size:           4
        .value_kind:     by_value
      - .offset:         116
        .size:           4
        .value_kind:     by_value
      - .offset:         120
        .size:           4
        .value_kind:     by_value
      - .offset:         124
        .size:           4
        .value_kind:     by_value
      - .offset:         128
        .size:           4
        .value_kind:     by_value
      - .offset:         132
        .size:           4
        .value_kind:     by_value
      - .offset:         136
        .size:           4
        .value_kind:     by_value
      - .offset:         140
        .size:           4
        .value_kind:     by_value
      - .offset:         144
        .size:           4
        .value_kind:     by_value
      - .offset:         152
        .size:           8
        .value_kind:     by_value
      - .offset:         160
        .size:           4
        .value_kind:     by_value
      - .offset:         164
        .size:           4
        .value_kind:     by_value
      - .offset:         168
        .size:           8
        .value_kind:     by_value
      - .offset:         176
        .size:           4
        .value_kind:     by_value
      - .offset:         180
        .size:           4
        .value_kind:     by_value
      - .offset:         184
        .size:           4
        .value_kind:     by_value
      - .offset:         188
        .size:           4
        .value_kind:     by_value
      - .offset:         192
        .size:           4
        .value_kind:     by_value
      - .offset:         200
        .size:           8
        .value_kind:     by_value
      - .offset:         208
        .size:           4
        .value_kind:     hidden_block_count_x
      - .offset:         212
        .size:           4
        .value_kind:     hidden_block_count_y
      - .offset:         216
        .size:           4
        .value_kind:     hidden_block_count_z
      - .offset:         220
        .size:           2
        .value_kind:     hidden_group_size_x
      - .offset:         222
        .size:           2
        .value_kind:     hidden_group_size_y
      - .offset:         224
        .size:           2
        .value_kind:     hidden_group_size_z
      - .offset:         226
        .size:           2
        .value_kind:     hidden_remainder_x
      - .offset:         228
        .size:           2
        .value_kind:     hidden_remainder_y
      - .offset:         230
        .size:           2
        .value_kind:     hidden_remainder_z
      - .offset:         248
        .size:           8
        .value_kind:     hidden_global_offset_x
      - .offset:         256
        .size:           8
        .value_kind:     hidden_global_offset_y
      - .offset:         264
        .size:           8
        .value_kind:     hidden_global_offset_z
      - .offset:         272
        .size:           2
        .value_kind:     hidden_grid_dims
      - .offset:         328
        .size:           4
        .value_kind:     hidden_dynamic_lds_size
    .group_segment_fixed_size: 0
    .kernarg_segment_align: 8
    .kernarg_segment_size: 464
    .language:       OpenCL C
    .language_version:
      - 2
      - 0
    .max_flat_workgroup_size: 128
    .name:           _ZL18flash_attn_ext_f16ILi128ELi128ELi16ELi4ELb1ELb0EEvPKcS1_S1_S1_S1_PKiPfP15HIP_vector_typeIfLj2EEffffjfiS5_IjLj3EEiiiiiiiiiiiliiliiiiil
    .private_segment_fixed_size: 1672
    .sgpr_count:     107
    .sgpr_spill_count: 30
    .symbol:         _ZL18flash_attn_ext_f16ILi128ELi128ELi16ELi4ELb1ELb0EEvPKcS1_S1_S1_S1_PKiPfP15HIP_vector_typeIfLj2EEffffjfiS5_IjLj3EEiiiiiiiiiiiliiliiiiil.kd
    .uniform_work_group_size: 1
    .uses_dynamic_stack: false
    .vgpr_count:     256
    .vgpr_spill_count: 912
    .wavefront_size: 32
    .workgroup_processor_mode: 1
  - .args:
      - .address_space:  global
        .offset:         0
        .size:           8
        .value_kind:     global_buffer
      - .address_space:  global
        .offset:         8
        .size:           8
        .value_kind:     global_buffer
      - .offset:         16
        .size:           4
        .value_kind:     by_value
      - .offset:         20
        .size:           4
        .value_kind:     by_value
      - .offset:         24
        .size:           4
        .value_kind:     by_value
      - .offset:         28
        .size:           4
        .value_kind:     by_value
      - .offset:         32
        .size:           4
        .value_kind:     by_value
      - .offset:         36
        .size:           4
        .value_kind:     by_value
      - .offset:         40
        .size:           12
        .value_kind:     by_value
      - .offset:         52
        .size:           12
        .value_kind:     by_value
      - .offset:         64
        .size:           12
        .value_kind:     by_value
    .group_segment_fixed_size: 0
    .kernarg_segment_align: 8
    .kernarg_segment_size: 76
    .language:       OpenCL C
    .language_version:
      - 2
      - 0
    .max_flat_workgroup_size: 128
    .name:           _ZL33flash_attn_stream_k_fixup_uniformILi128ELi16ELi4EEvPfPK15HIP_vector_typeIfLj2EEiiiiiiS1_IjLj3EES5_S5_
    .private_segment_fixed_size: 0
    .sgpr_count:     22
    .sgpr_spill_count: 0
    .symbol:         _ZL33flash_attn_stream_k_fixup_uniformILi128ELi16ELi4EEvPfPK15HIP_vector_typeIfLj2EEiiiiiiS1_IjLj3EES5_S5_.kd
    .uniform_work_group_size: 1
    .uses_dynamic_stack: false
    .vgpr_count:     15
    .vgpr_spill_count: 0
    .wavefront_size: 32
    .workgroup_processor_mode: 1
  - .args:
      - .address_space:  global
        .offset:         0
        .size:           8
        .value_kind:     global_buffer
      - .address_space:  global
        .offset:         8
        .size:           8
        .value_kind:     global_buffer
      - .offset:         16
        .size:           4
        .value_kind:     by_value
      - .offset:         20
        .size:           4
        .value_kind:     by_value
      - .offset:         24
        .size:           4
        .value_kind:     by_value
      - .offset:         28
        .size:           4
        .value_kind:     by_value
      - .offset:         32
        .size:           12
        .value_kind:     by_value
      - .offset:         44
        .size:           12
        .value_kind:     by_value
      - .offset:         56
        .size:           12
        .value_kind:     by_value
      - .offset:         68
        .size:           12
        .value_kind:     by_value
      - .offset:         80
        .size:           4
        .value_kind:     hidden_block_count_x
      - .offset:         84
        .size:           4
        .value_kind:     hidden_block_count_y
      - .offset:         88
        .size:           4
        .value_kind:     hidden_block_count_z
      - .offset:         92
        .size:           2
        .value_kind:     hidden_group_size_x
      - .offset:         94
        .size:           2
        .value_kind:     hidden_group_size_y
      - .offset:         96
        .size:           2
        .value_kind:     hidden_group_size_z
      - .offset:         98
        .size:           2
        .value_kind:     hidden_remainder_x
      - .offset:         100
        .size:           2
        .value_kind:     hidden_remainder_y
      - .offset:         102
        .size:           2
        .value_kind:     hidden_remainder_z
      - .offset:         120
        .size:           8
        .value_kind:     hidden_global_offset_x
      - .offset:         128
        .size:           8
        .value_kind:     hidden_global_offset_y
      - .offset:         136
        .size:           8
        .value_kind:     hidden_global_offset_z
      - .offset:         144
        .size:           2
        .value_kind:     hidden_grid_dims
    .group_segment_fixed_size: 0
    .kernarg_segment_align: 8
    .kernarg_segment_size: 336
    .language:       OpenCL C
    .language_version:
      - 2
      - 0
    .max_flat_workgroup_size: 128
    .name:           _ZL33flash_attn_stream_k_fixup_generalILi128ELi16ELi4EEvPfPK15HIP_vector_typeIfLj2EEiiiiS1_IjLj3EES5_S5_S5_
    .private_segment_fixed_size: 0
    .sgpr_count:     34
    .sgpr_spill_count: 0
    .symbol:         _ZL33flash_attn_stream_k_fixup_generalILi128ELi16ELi4EEvPfPK15HIP_vector_typeIfLj2EEiiiiS1_IjLj3EES5_S5_S5_.kd
    .uniform_work_group_size: 1
    .uses_dynamic_stack: false
    .vgpr_count:     19
    .vgpr_spill_count: 0
    .wavefront_size: 32
    .workgroup_processor_mode: 1
  - .args:
      - .address_space:  global
        .offset:         0
        .size:           8
        .value_kind:     global_buffer
      - .address_space:  global
        .offset:         8
        .size:           8
        .value_kind:     global_buffer
      - .address_space:  global
        .offset:         16
        .size:           8
        .value_kind:     global_buffer
      - .offset:         24
        .size:           4
        .value_kind:     by_value
      - .offset:         32
        .size:           4
        .value_kind:     hidden_block_count_x
      - .offset:         36
        .size:           4
        .value_kind:     hidden_block_count_y
      - .offset:         40
        .size:           4
        .value_kind:     hidden_block_count_z
      - .offset:         44
        .size:           2
        .value_kind:     hidden_group_size_x
      - .offset:         46
        .size:           2
        .value_kind:     hidden_group_size_y
      - .offset:         48
        .size:           2
        .value_kind:     hidden_group_size_z
      - .offset:         50
        .size:           2
        .value_kind:     hidden_remainder_x
      - .offset:         52
        .size:           2
        .value_kind:     hidden_remainder_y
      - .offset:         54
        .size:           2
        .value_kind:     hidden_remainder_z
      - .offset:         72
        .size:           8
        .value_kind:     hidden_global_offset_x
      - .offset:         80
        .size:           8
        .value_kind:     hidden_global_offset_y
      - .offset:         88
        .size:           8
        .value_kind:     hidden_global_offset_z
      - .offset:         96
        .size:           2
        .value_kind:     hidden_grid_dims
      - .offset:         152
        .size:           4
        .value_kind:     hidden_dynamic_lds_size
    .group_segment_fixed_size: 0
    .kernarg_segment_align: 8
    .kernarg_segment_size: 288
    .language:       OpenCL C
    .language_version:
      - 2
      - 0
    .max_flat_workgroup_size: 128
    .name:           _ZL26flash_attn_combine_resultsILi128EEvPKfPK15HIP_vector_typeIfLj2EEPfi
    .private_segment_fixed_size: 0
    .sgpr_count:     18
    .sgpr_spill_count: 0
    .symbol:         _ZL26flash_attn_combine_resultsILi128EEvPKfPK15HIP_vector_typeIfLj2EEPfi.kd
    .uniform_work_group_size: 1
    .uses_dynamic_stack: false
    .vgpr_count:     55
    .vgpr_spill_count: 0
    .wavefront_size: 32
    .workgroup_processor_mode: 1
  - .args:
      - .address_space:  global
        .offset:         0
        .size:           8
        .value_kind:     global_buffer
      - .address_space:  global
        .offset:         8
        .size:           8
        .value_kind:     global_buffer
      - .address_space:  global
        .offset:         16
        .size:           8
        .value_kind:     global_buffer
      - .address_space:  global
        .offset:         24
        .size:           8
        .value_kind:     global_buffer
      - .address_space:  global
        .offset:         32
        .size:           8
        .value_kind:     global_buffer
      - .address_space:  global
        .offset:         40
        .size:           8
        .value_kind:     global_buffer
      - .address_space:  global
        .offset:         48
        .size:           8
        .value_kind:     global_buffer
      - .address_space:  global
        .offset:         56
        .size:           8
        .value_kind:     global_buffer
      - .offset:         64
        .size:           4
        .value_kind:     by_value
      - .offset:         68
        .size:           4
        .value_kind:     by_value
      - .offset:         72
        .size:           4
        .value_kind:     by_value
      - .offset:         76
        .size:           4
        .value_kind:     by_value
      - .offset:         80
        .size:           4
        .value_kind:     by_value
      - .offset:         84
        .size:           4
        .value_kind:     by_value
      - .offset:         88
        .size:           4
        .value_kind:     by_value
      - .offset:         92
        .size:           12
        .value_kind:     by_value
      - .offset:         104
        .size:           4
        .value_kind:     by_value
      - .offset:         108
        .size:           4
        .value_kind:     by_value
      - .offset:         112
        .size:           4
        .value_kind:     by_value
      - .offset:         116
        .size:           4
        .value_kind:     by_value
      - .offset:         120
        .size:           4
        .value_kind:     by_value
      - .offset:         124
        .size:           4
        .value_kind:     by_value
      - .offset:         128
        .size:           4
        .value_kind:     by_value
      - .offset:         132
        .size:           4
        .value_kind:     by_value
      - .offset:         136
        .size:           4
        .value_kind:     by_value
      - .offset:         140
        .size:           4
        .value_kind:     by_value
      - .offset:         144
        .size:           4
        .value_kind:     by_value
      - .offset:         152
        .size:           8
        .value_kind:     by_value
      - .offset:         160
        .size:           4
        .value_kind:     by_value
      - .offset:         164
        .size:           4
        .value_kind:     by_value
      - .offset:         168
        .size:           8
        .value_kind:     by_value
      - .offset:         176
        .size:           4
        .value_kind:     by_value
      - .offset:         180
        .size:           4
        .value_kind:     by_value
      - .offset:         184
        .size:           4
        .value_kind:     by_value
      - .offset:         188
        .size:           4
        .value_kind:     by_value
      - .offset:         192
        .size:           4
        .value_kind:     by_value
      - .offset:         200
        .size:           8
        .value_kind:     by_value
      - .offset:         208
        .size:           4
        .value_kind:     hidden_block_count_x
      - .offset:         212
        .size:           4
        .value_kind:     hidden_block_count_y
      - .offset:         216
        .size:           4
        .value_kind:     hidden_block_count_z
      - .offset:         220
        .size:           2
        .value_kind:     hidden_group_size_x
      - .offset:         222
        .size:           2
        .value_kind:     hidden_group_size_y
      - .offset:         224
        .size:           2
        .value_kind:     hidden_group_size_z
      - .offset:         226
        .size:           2
        .value_kind:     hidden_remainder_x
      - .offset:         228
        .size:           2
        .value_kind:     hidden_remainder_y
      - .offset:         230
        .size:           2
        .value_kind:     hidden_remainder_z
      - .offset:         248
        .size:           8
        .value_kind:     hidden_global_offset_x
      - .offset:         256
        .size:           8
        .value_kind:     hidden_global_offset_y
      - .offset:         264
        .size:           8
        .value_kind:     hidden_global_offset_z
      - .offset:         272
        .size:           2
        .value_kind:     hidden_grid_dims
      - .offset:         288
        .size:           8
        .value_kind:     hidden_hostcall_buffer
    .group_segment_fixed_size: 0
    .kernarg_segment_align: 8
    .kernarg_segment_size: 464
    .language:       OpenCL C
    .language_version:
      - 2
      - 0
    .max_flat_workgroup_size: 128
    .name:           _ZL18flash_attn_ext_f16ILi256ELi256ELi16ELi4ELb0ELb0EEvPKcS1_S1_S1_S1_PKiPfP15HIP_vector_typeIfLj2EEffffjfiS5_IjLj3EEiiiiiiiiiiiliiliiiiil
    .private_segment_fixed_size: 16
    .sgpr_count:     36
    .sgpr_spill_count: 0
    .symbol:         _ZL18flash_attn_ext_f16ILi256ELi256ELi16ELi4ELb0ELb0EEvPKcS1_S1_S1_S1_PKiPfP15HIP_vector_typeIfLj2EEffffjfiS5_IjLj3EEiiiiiiiiiiiliiliiiiil.kd
    .uniform_work_group_size: 1
    .uses_dynamic_stack: false
    .vgpr_count:     37
    .vgpr_spill_count: 0
    .wavefront_size: 32
    .workgroup_processor_mode: 1
  - .args:
      - .address_space:  global
        .offset:         0
        .size:           8
        .value_kind:     global_buffer
      - .address_space:  global
        .offset:         8
        .size:           8
        .value_kind:     global_buffer
      - .address_space:  global
        .offset:         16
        .size:           8
        .value_kind:     global_buffer
      - .address_space:  global
        .offset:         24
        .size:           8
        .value_kind:     global_buffer
      - .address_space:  global
        .offset:         32
        .size:           8
        .value_kind:     global_buffer
      - .address_space:  global
        .offset:         40
        .size:           8
        .value_kind:     global_buffer
      - .address_space:  global
        .offset:         48
        .size:           8
        .value_kind:     global_buffer
      - .address_space:  global
        .offset:         56
        .size:           8
        .value_kind:     global_buffer
      - .offset:         64
        .size:           4
        .value_kind:     by_value
      - .offset:         68
        .size:           4
        .value_kind:     by_value
      - .offset:         72
        .size:           4
        .value_kind:     by_value
      - .offset:         76
        .size:           4
        .value_kind:     by_value
      - .offset:         80
        .size:           4
        .value_kind:     by_value
      - .offset:         84
        .size:           4
        .value_kind:     by_value
      - .offset:         88
        .size:           4
        .value_kind:     by_value
      - .offset:         92
        .size:           12
        .value_kind:     by_value
      - .offset:         104
        .size:           4
        .value_kind:     by_value
      - .offset:         108
        .size:           4
        .value_kind:     by_value
      - .offset:         112
        .size:           4
        .value_kind:     by_value
      - .offset:         116
        .size:           4
        .value_kind:     by_value
      - .offset:         120
        .size:           4
        .value_kind:     by_value
      - .offset:         124
        .size:           4
        .value_kind:     by_value
      - .offset:         128
        .size:           4
        .value_kind:     by_value
      - .offset:         132
        .size:           4
        .value_kind:     by_value
      - .offset:         136
        .size:           4
        .value_kind:     by_value
      - .offset:         140
        .size:           4
        .value_kind:     by_value
      - .offset:         144
        .size:           4
        .value_kind:     by_value
      - .offset:         152
        .size:           8
        .value_kind:     by_value
      - .offset:         160
        .size:           4
        .value_kind:     by_value
      - .offset:         164
        .size:           4
        .value_kind:     by_value
      - .offset:         168
        .size:           8
        .value_kind:     by_value
      - .offset:         176
        .size:           4
        .value_kind:     by_value
      - .offset:         180
        .size:           4
        .value_kind:     by_value
      - .offset:         184
        .size:           4
        .value_kind:     by_value
      - .offset:         188
        .size:           4
        .value_kind:     by_value
      - .offset:         192
        .size:           4
        .value_kind:     by_value
      - .offset:         200
        .size:           8
        .value_kind:     by_value
      - .offset:         208
        .size:           4
        .value_kind:     hidden_block_count_x
      - .offset:         212
        .size:           4
        .value_kind:     hidden_block_count_y
      - .offset:         216
        .size:           4
        .value_kind:     hidden_block_count_z
      - .offset:         220
        .size:           2
        .value_kind:     hidden_group_size_x
      - .offset:         222
        .size:           2
        .value_kind:     hidden_group_size_y
      - .offset:         224
        .size:           2
        .value_kind:     hidden_group_size_z
      - .offset:         226
        .size:           2
        .value_kind:     hidden_remainder_x
      - .offset:         228
        .size:           2
        .value_kind:     hidden_remainder_y
      - .offset:         230
        .size:           2
        .value_kind:     hidden_remainder_z
      - .offset:         248
        .size:           8
        .value_kind:     hidden_global_offset_x
      - .offset:         256
        .size:           8
        .value_kind:     hidden_global_offset_y
      - .offset:         264
        .size:           8
        .value_kind:     hidden_global_offset_z
      - .offset:         272
        .size:           2
        .value_kind:     hidden_grid_dims
      - .offset:         288
        .size:           8
        .value_kind:     hidden_hostcall_buffer
    .group_segment_fixed_size: 0
    .kernarg_segment_align: 8
    .kernarg_segment_size: 464
    .language:       OpenCL C
    .language_version:
      - 2
      - 0
    .max_flat_workgroup_size: 128
    .name:           _ZL18flash_attn_ext_f16ILi256ELi256ELi16ELi4ELb1ELb0EEvPKcS1_S1_S1_S1_PKiPfP15HIP_vector_typeIfLj2EEffffjfiS5_IjLj3EEiiiiiiiiiiiliiliiiiil
    .private_segment_fixed_size: 16
    .sgpr_count:     36
    .sgpr_spill_count: 0
    .symbol:         _ZL18flash_attn_ext_f16ILi256ELi256ELi16ELi4ELb1ELb0EEvPKcS1_S1_S1_S1_PKiPfP15HIP_vector_typeIfLj2EEffffjfiS5_IjLj3EEiiiiiiiiiiiliiliiiiil.kd
    .uniform_work_group_size: 1
    .uses_dynamic_stack: false
    .vgpr_count:     37
    .vgpr_spill_count: 0
    .wavefront_size: 32
    .workgroup_processor_mode: 1
  - .args:
      - .address_space:  global
        .offset:         0
        .size:           8
        .value_kind:     global_buffer
      - .address_space:  global
        .offset:         8
        .size:           8
        .value_kind:     global_buffer
      - .offset:         16
        .size:           4
        .value_kind:     by_value
      - .offset:         20
        .size:           4
        .value_kind:     by_value
      - .offset:         24
        .size:           4
        .value_kind:     by_value
      - .offset:         28
        .size:           4
        .value_kind:     by_value
      - .offset:         32
        .size:           4
        .value_kind:     by_value
      - .offset:         36
        .size:           4
        .value_kind:     by_value
      - .offset:         40
        .size:           12
        .value_kind:     by_value
      - .offset:         52
        .size:           12
        .value_kind:     by_value
      - .offset:         64
        .size:           12
        .value_kind:     by_value
    .group_segment_fixed_size: 0
    .kernarg_segment_align: 8
    .kernarg_segment_size: 76
    .language:       OpenCL C
    .language_version:
      - 2
      - 0
    .max_flat_workgroup_size: 256
    .name:           _ZL33flash_attn_stream_k_fixup_uniformILi256ELi16ELi4EEvPfPK15HIP_vector_typeIfLj2EEiiiiiiS1_IjLj3EES5_S5_
    .private_segment_fixed_size: 0
    .sgpr_count:     22
    .sgpr_spill_count: 0
    .symbol:         _ZL33flash_attn_stream_k_fixup_uniformILi256ELi16ELi4EEvPfPK15HIP_vector_typeIfLj2EEiiiiiiS1_IjLj3EES5_S5_.kd
    .uniform_work_group_size: 1
    .uses_dynamic_stack: false
    .vgpr_count:     15
    .vgpr_spill_count: 0
    .wavefront_size: 32
    .workgroup_processor_mode: 1
  - .args:
      - .address_space:  global
        .offset:         0
        .size:           8
        .value_kind:     global_buffer
      - .address_space:  global
        .offset:         8
        .size:           8
        .value_kind:     global_buffer
      - .offset:         16
        .size:           4
        .value_kind:     by_value
      - .offset:         20
        .size:           4
        .value_kind:     by_value
      - .offset:         24
        .size:           4
        .value_kind:     by_value
      - .offset:         28
        .size:           4
        .value_kind:     by_value
      - .offset:         32
        .size:           12
        .value_kind:     by_value
      - .offset:         44
        .size:           12
        .value_kind:     by_value
      - .offset:         56
        .size:           12
        .value_kind:     by_value
      - .offset:         68
        .size:           12
        .value_kind:     by_value
      - .offset:         80
        .size:           4
        .value_kind:     hidden_block_count_x
      - .offset:         84
        .size:           4
        .value_kind:     hidden_block_count_y
      - .offset:         88
        .size:           4
        .value_kind:     hidden_block_count_z
      - .offset:         92
        .size:           2
        .value_kind:     hidden_group_size_x
      - .offset:         94
        .size:           2
        .value_kind:     hidden_group_size_y
      - .offset:         96
        .size:           2
        .value_kind:     hidden_group_size_z
      - .offset:         98
        .size:           2
        .value_kind:     hidden_remainder_x
      - .offset:         100
        .size:           2
        .value_kind:     hidden_remainder_y
      - .offset:         102
        .size:           2
        .value_kind:     hidden_remainder_z
      - .offset:         120
        .size:           8
        .value_kind:     hidden_global_offset_x
      - .offset:         128
        .size:           8
        .value_kind:     hidden_global_offset_y
      - .offset:         136
        .size:           8
        .value_kind:     hidden_global_offset_z
      - .offset:         144
        .size:           2
        .value_kind:     hidden_grid_dims
    .group_segment_fixed_size: 0
    .kernarg_segment_align: 8
    .kernarg_segment_size: 336
    .language:       OpenCL C
    .language_version:
      - 2
      - 0
    .max_flat_workgroup_size: 256
    .name:           _ZL33flash_attn_stream_k_fixup_generalILi256ELi16ELi4EEvPfPK15HIP_vector_typeIfLj2EEiiiiS1_IjLj3EES5_S5_S5_
    .private_segment_fixed_size: 0
    .sgpr_count:     34
    .sgpr_spill_count: 0
    .symbol:         _ZL33flash_attn_stream_k_fixup_generalILi256ELi16ELi4EEvPfPK15HIP_vector_typeIfLj2EEiiiiS1_IjLj3EES5_S5_S5_.kd
    .uniform_work_group_size: 1
    .uses_dynamic_stack: false
    .vgpr_count:     19
    .vgpr_spill_count: 0
    .wavefront_size: 32
    .workgroup_processor_mode: 1
  - .args:
      - .address_space:  global
        .offset:         0
        .size:           8
        .value_kind:     global_buffer
      - .address_space:  global
        .offset:         8
        .size:           8
        .value_kind:     global_buffer
      - .address_space:  global
        .offset:         16
        .size:           8
        .value_kind:     global_buffer
      - .offset:         24
        .size:           4
        .value_kind:     by_value
      - .offset:         32
        .size:           4
        .value_kind:     hidden_block_count_x
      - .offset:         36
        .size:           4
        .value_kind:     hidden_block_count_y
      - .offset:         40
        .size:           4
        .value_kind:     hidden_block_count_z
      - .offset:         44
        .size:           2
        .value_kind:     hidden_group_size_x
      - .offset:         46
        .size:           2
        .value_kind:     hidden_group_size_y
      - .offset:         48
        .size:           2
        .value_kind:     hidden_group_size_z
      - .offset:         50
        .size:           2
        .value_kind:     hidden_remainder_x
      - .offset:         52
        .size:           2
        .value_kind:     hidden_remainder_y
      - .offset:         54
        .size:           2
        .value_kind:     hidden_remainder_z
      - .offset:         72
        .size:           8
        .value_kind:     hidden_global_offset_x
      - .offset:         80
        .size:           8
        .value_kind:     hidden_global_offset_y
      - .offset:         88
        .size:           8
        .value_kind:     hidden_global_offset_z
      - .offset:         96
        .size:           2
        .value_kind:     hidden_grid_dims
      - .offset:         152
        .size:           4
        .value_kind:     hidden_dynamic_lds_size
    .group_segment_fixed_size: 0
    .kernarg_segment_align: 8
    .kernarg_segment_size: 288
    .language:       OpenCL C
    .language_version:
      - 2
      - 0
    .max_flat_workgroup_size: 256
    .name:           _ZL26flash_attn_combine_resultsILi256EEvPKfPK15HIP_vector_typeIfLj2EEPfi
    .private_segment_fixed_size: 0
    .sgpr_count:     18
    .sgpr_spill_count: 0
    .symbol:         _ZL26flash_attn_combine_resultsILi256EEvPKfPK15HIP_vector_typeIfLj2EEPfi.kd
    .uniform_work_group_size: 1
    .uses_dynamic_stack: false
    .vgpr_count:     55
    .vgpr_spill_count: 0
    .wavefront_size: 32
    .workgroup_processor_mode: 1
  - .args:
      - .address_space:  global
        .offset:         0
        .size:           8
        .value_kind:     global_buffer
      - .address_space:  global
        .offset:         8
        .size:           8
        .value_kind:     global_buffer
      - .address_space:  global
        .offset:         16
        .size:           8
        .value_kind:     global_buffer
      - .address_space:  global
        .offset:         24
        .size:           8
        .value_kind:     global_buffer
      - .address_space:  global
        .offset:         32
        .size:           8
        .value_kind:     global_buffer
      - .address_space:  global
        .offset:         40
        .size:           8
        .value_kind:     global_buffer
      - .address_space:  global
        .offset:         48
        .size:           8
        .value_kind:     global_buffer
      - .address_space:  global
        .offset:         56
        .size:           8
        .value_kind:     global_buffer
      - .offset:         64
        .size:           4
        .value_kind:     by_value
      - .offset:         68
        .size:           4
        .value_kind:     by_value
      - .offset:         72
        .size:           4
        .value_kind:     by_value
      - .offset:         76
        .size:           4
        .value_kind:     by_value
      - .offset:         80
        .size:           4
        .value_kind:     by_value
      - .offset:         84
        .size:           4
        .value_kind:     by_value
      - .offset:         88
        .size:           4
        .value_kind:     by_value
      - .offset:         92
        .size:           12
        .value_kind:     by_value
      - .offset:         104
        .size:           4
        .value_kind:     by_value
      - .offset:         108
        .size:           4
        .value_kind:     by_value
      - .offset:         112
        .size:           4
        .value_kind:     by_value
      - .offset:         116
        .size:           4
        .value_kind:     by_value
      - .offset:         120
        .size:           4
        .value_kind:     by_value
      - .offset:         124
        .size:           4
        .value_kind:     by_value
      - .offset:         128
        .size:           4
        .value_kind:     by_value
      - .offset:         132
        .size:           4
        .value_kind:     by_value
      - .offset:         136
        .size:           4
        .value_kind:     by_value
      - .offset:         140
        .size:           4
        .value_kind:     by_value
      - .offset:         144
        .size:           4
        .value_kind:     by_value
      - .offset:         152
        .size:           8
        .value_kind:     by_value
      - .offset:         160
        .size:           4
        .value_kind:     by_value
      - .offset:         164
        .size:           4
        .value_kind:     by_value
      - .offset:         168
        .size:           8
        .value_kind:     by_value
      - .offset:         176
        .size:           4
        .value_kind:     by_value
      - .offset:         180
        .size:           4
        .value_kind:     by_value
      - .offset:         184
        .size:           4
        .value_kind:     by_value
      - .offset:         188
        .size:           4
        .value_kind:     by_value
      - .offset:         192
        .size:           4
        .value_kind:     by_value
      - .offset:         200
        .size:           8
        .value_kind:     by_value
      - .offset:         208
        .size:           4
        .value_kind:     hidden_block_count_x
      - .offset:         212
        .size:           4
        .value_kind:     hidden_block_count_y
      - .offset:         216
        .size:           4
        .value_kind:     hidden_block_count_z
      - .offset:         220
        .size:           2
        .value_kind:     hidden_group_size_x
      - .offset:         222
        .size:           2
        .value_kind:     hidden_group_size_y
      - .offset:         224
        .size:           2
        .value_kind:     hidden_group_size_z
      - .offset:         226
        .size:           2
        .value_kind:     hidden_remainder_x
      - .offset:         228
        .size:           2
        .value_kind:     hidden_remainder_y
      - .offset:         230
        .size:           2
        .value_kind:     hidden_remainder_z
      - .offset:         248
        .size:           8
        .value_kind:     hidden_global_offset_x
      - .offset:         256
        .size:           8
        .value_kind:     hidden_global_offset_y
      - .offset:         264
        .size:           8
        .value_kind:     hidden_global_offset_z
      - .offset:         272
        .size:           2
        .value_kind:     hidden_grid_dims
      - .offset:         288
        .size:           8
        .value_kind:     hidden_hostcall_buffer
    .group_segment_fixed_size: 0
    .kernarg_segment_align: 8
    .kernarg_segment_size: 464
    .language:       OpenCL C
    .language_version:
      - 2
      - 0
    .max_flat_workgroup_size: 128
    .name:           _ZL18flash_attn_ext_f16ILi512ELi512ELi16ELi4ELb0ELb0EEvPKcS1_S1_S1_S1_PKiPfP15HIP_vector_typeIfLj2EEffffjfiS5_IjLj3EEiiiiiiiiiiiliiliiiiil
    .private_segment_fixed_size: 16
    .sgpr_count:     36
    .sgpr_spill_count: 0
    .symbol:         _ZL18flash_attn_ext_f16ILi512ELi512ELi16ELi4ELb0ELb0EEvPKcS1_S1_S1_S1_PKiPfP15HIP_vector_typeIfLj2EEffffjfiS5_IjLj3EEiiiiiiiiiiiliiliiiiil.kd
    .uniform_work_group_size: 1
    .uses_dynamic_stack: false
    .vgpr_count:     37
    .vgpr_spill_count: 0
    .wavefront_size: 32
    .workgroup_processor_mode: 1
  - .args:
      - .address_space:  global
        .offset:         0
        .size:           8
        .value_kind:     global_buffer
      - .address_space:  global
        .offset:         8
        .size:           8
        .value_kind:     global_buffer
      - .address_space:  global
        .offset:         16
        .size:           8
        .value_kind:     global_buffer
      - .address_space:  global
        .offset:         24
        .size:           8
        .value_kind:     global_buffer
      - .address_space:  global
        .offset:         32
        .size:           8
        .value_kind:     global_buffer
      - .address_space:  global
        .offset:         40
        .size:           8
        .value_kind:     global_buffer
      - .address_space:  global
        .offset:         48
        .size:           8
        .value_kind:     global_buffer
      - .address_space:  global
        .offset:         56
        .size:           8
        .value_kind:     global_buffer
      - .offset:         64
        .size:           4
        .value_kind:     by_value
      - .offset:         68
        .size:           4
        .value_kind:     by_value
      - .offset:         72
        .size:           4
        .value_kind:     by_value
      - .offset:         76
        .size:           4
        .value_kind:     by_value
      - .offset:         80
        .size:           4
        .value_kind:     by_value
      - .offset:         84
        .size:           4
        .value_kind:     by_value
      - .offset:         88
        .size:           4
        .value_kind:     by_value
      - .offset:         92
        .size:           12
        .value_kind:     by_value
      - .offset:         104
        .size:           4
        .value_kind:     by_value
      - .offset:         108
        .size:           4
        .value_kind:     by_value
      - .offset:         112
        .size:           4
        .value_kind:     by_value
      - .offset:         116
        .size:           4
        .value_kind:     by_value
      - .offset:         120
        .size:           4
        .value_kind:     by_value
      - .offset:         124
        .size:           4
        .value_kind:     by_value
      - .offset:         128
        .size:           4
        .value_kind:     by_value
      - .offset:         132
        .size:           4
        .value_kind:     by_value
      - .offset:         136
        .size:           4
        .value_kind:     by_value
      - .offset:         140
        .size:           4
        .value_kind:     by_value
      - .offset:         144
        .size:           4
        .value_kind:     by_value
      - .offset:         152
        .size:           8
        .value_kind:     by_value
      - .offset:         160
        .size:           4
        .value_kind:     by_value
      - .offset:         164
        .size:           4
        .value_kind:     by_value
      - .offset:         168
        .size:           8
        .value_kind:     by_value
      - .offset:         176
        .size:           4
        .value_kind:     by_value
      - .offset:         180
        .size:           4
        .value_kind:     by_value
      - .offset:         184
        .size:           4
        .value_kind:     by_value
      - .offset:         188
        .size:           4
        .value_kind:     by_value
      - .offset:         192
        .size:           4
        .value_kind:     by_value
      - .offset:         200
        .size:           8
        .value_kind:     by_value
      - .offset:         208
        .size:           4
        .value_kind:     hidden_block_count_x
      - .offset:         212
        .size:           4
        .value_kind:     hidden_block_count_y
      - .offset:         216
        .size:           4
        .value_kind:     hidden_block_count_z
      - .offset:         220
        .size:           2
        .value_kind:     hidden_group_size_x
      - .offset:         222
        .size:           2
        .value_kind:     hidden_group_size_y
      - .offset:         224
        .size:           2
        .value_kind:     hidden_group_size_z
      - .offset:         226
        .size:           2
        .value_kind:     hidden_remainder_x
      - .offset:         228
        .size:           2
        .value_kind:     hidden_remainder_y
      - .offset:         230
        .size:           2
        .value_kind:     hidden_remainder_z
      - .offset:         248
        .size:           8
        .value_kind:     hidden_global_offset_x
      - .offset:         256
        .size:           8
        .value_kind:     hidden_global_offset_y
      - .offset:         264
        .size:           8
        .value_kind:     hidden_global_offset_z
      - .offset:         272
        .size:           2
        .value_kind:     hidden_grid_dims
      - .offset:         288
        .size:           8
        .value_kind:     hidden_hostcall_buffer
    .group_segment_fixed_size: 0
    .kernarg_segment_align: 8
    .kernarg_segment_size: 464
    .language:       OpenCL C
    .language_version:
      - 2
      - 0
    .max_flat_workgroup_size: 128
    .name:           _ZL18flash_attn_ext_f16ILi512ELi512ELi16ELi4ELb1ELb0EEvPKcS1_S1_S1_S1_PKiPfP15HIP_vector_typeIfLj2EEffffjfiS5_IjLj3EEiiiiiiiiiiiliiliiiiil
    .private_segment_fixed_size: 16
    .sgpr_count:     36
    .sgpr_spill_count: 0
    .symbol:         _ZL18flash_attn_ext_f16ILi512ELi512ELi16ELi4ELb1ELb0EEvPKcS1_S1_S1_S1_PKiPfP15HIP_vector_typeIfLj2EEffffjfiS5_IjLj3EEiiiiiiiiiiiliiliiiiil.kd
    .uniform_work_group_size: 1
    .uses_dynamic_stack: false
    .vgpr_count:     37
    .vgpr_spill_count: 0
    .wavefront_size: 32
    .workgroup_processor_mode: 1
  - .args:
      - .address_space:  global
        .offset:         0
        .size:           8
        .value_kind:     global_buffer
      - .address_space:  global
        .offset:         8
        .size:           8
        .value_kind:     global_buffer
      - .offset:         16
        .size:           4
        .value_kind:     by_value
      - .offset:         20
        .size:           4
        .value_kind:     by_value
      - .offset:         24
        .size:           4
        .value_kind:     by_value
      - .offset:         28
        .size:           4
        .value_kind:     by_value
      - .offset:         32
        .size:           4
        .value_kind:     by_value
      - .offset:         36
        .size:           4
        .value_kind:     by_value
      - .offset:         40
        .size:           12
        .value_kind:     by_value
      - .offset:         52
        .size:           12
        .value_kind:     by_value
      - .offset:         64
        .size:           12
        .value_kind:     by_value
    .group_segment_fixed_size: 0
    .kernarg_segment_align: 8
    .kernarg_segment_size: 76
    .language:       OpenCL C
    .language_version:
      - 2
      - 0
    .max_flat_workgroup_size: 512
    .name:           _ZL33flash_attn_stream_k_fixup_uniformILi512ELi16ELi4EEvPfPK15HIP_vector_typeIfLj2EEiiiiiiS1_IjLj3EES5_S5_
    .private_segment_fixed_size: 0
    .sgpr_count:     22
    .sgpr_spill_count: 0
    .symbol:         _ZL33flash_attn_stream_k_fixup_uniformILi512ELi16ELi4EEvPfPK15HIP_vector_typeIfLj2EEiiiiiiS1_IjLj3EES5_S5_.kd
    .uniform_work_group_size: 1
    .uses_dynamic_stack: false
    .vgpr_count:     15
    .vgpr_spill_count: 0
    .wavefront_size: 32
    .workgroup_processor_mode: 1
  - .args:
      - .address_space:  global
        .offset:         0
        .size:           8
        .value_kind:     global_buffer
      - .address_space:  global
        .offset:         8
        .size:           8
        .value_kind:     global_buffer
      - .offset:         16
        .size:           4
        .value_kind:     by_value
      - .offset:         20
        .size:           4
        .value_kind:     by_value
      - .offset:         24
        .size:           4
        .value_kind:     by_value
      - .offset:         28
        .size:           4
        .value_kind:     by_value
      - .offset:         32
        .size:           12
        .value_kind:     by_value
      - .offset:         44
        .size:           12
        .value_kind:     by_value
      - .offset:         56
        .size:           12
        .value_kind:     by_value
      - .offset:         68
        .size:           12
        .value_kind:     by_value
      - .offset:         80
        .size:           4
        .value_kind:     hidden_block_count_x
      - .offset:         84
        .size:           4
        .value_kind:     hidden_block_count_y
      - .offset:         88
        .size:           4
        .value_kind:     hidden_block_count_z
      - .offset:         92
        .size:           2
        .value_kind:     hidden_group_size_x
      - .offset:         94
        .size:           2
        .value_kind:     hidden_group_size_y
      - .offset:         96
        .size:           2
        .value_kind:     hidden_group_size_z
      - .offset:         98
        .size:           2
        .value_kind:     hidden_remainder_x
      - .offset:         100
        .size:           2
        .value_kind:     hidden_remainder_y
      - .offset:         102
        .size:           2
        .value_kind:     hidden_remainder_z
      - .offset:         120
        .size:           8
        .value_kind:     hidden_global_offset_x
      - .offset:         128
        .size:           8
        .value_kind:     hidden_global_offset_y
      - .offset:         136
        .size:           8
        .value_kind:     hidden_global_offset_z
      - .offset:         144
        .size:           2
        .value_kind:     hidden_grid_dims
    .group_segment_fixed_size: 0
    .kernarg_segment_align: 8
    .kernarg_segment_size: 336
    .language:       OpenCL C
    .language_version:
      - 2
      - 0
    .max_flat_workgroup_size: 512
    .name:           _ZL33flash_attn_stream_k_fixup_generalILi512ELi16ELi4EEvPfPK15HIP_vector_typeIfLj2EEiiiiS1_IjLj3EES5_S5_S5_
    .private_segment_fixed_size: 0
    .sgpr_count:     34
    .sgpr_spill_count: 0
    .symbol:         _ZL33flash_attn_stream_k_fixup_generalILi512ELi16ELi4EEvPfPK15HIP_vector_typeIfLj2EEiiiiS1_IjLj3EES5_S5_S5_.kd
    .uniform_work_group_size: 1
    .uses_dynamic_stack: false
    .vgpr_count:     19
    .vgpr_spill_count: 0
    .wavefront_size: 32
    .workgroup_processor_mode: 1
  - .args:
      - .address_space:  global
        .offset:         0
        .size:           8
        .value_kind:     global_buffer
      - .address_space:  global
        .offset:         8
        .size:           8
        .value_kind:     global_buffer
      - .address_space:  global
        .offset:         16
        .size:           8
        .value_kind:     global_buffer
      - .offset:         24
        .size:           4
        .value_kind:     by_value
      - .offset:         32
        .size:           4
        .value_kind:     hidden_block_count_x
      - .offset:         36
        .size:           4
        .value_kind:     hidden_block_count_y
      - .offset:         40
        .size:           4
        .value_kind:     hidden_block_count_z
      - .offset:         44
        .size:           2
        .value_kind:     hidden_group_size_x
      - .offset:         46
        .size:           2
        .value_kind:     hidden_group_size_y
      - .offset:         48
        .size:           2
        .value_kind:     hidden_group_size_z
      - .offset:         50
        .size:           2
        .value_kind:     hidden_remainder_x
      - .offset:         52
        .size:           2
        .value_kind:     hidden_remainder_y
      - .offset:         54
        .size:           2
        .value_kind:     hidden_remainder_z
      - .offset:         72
        .size:           8
        .value_kind:     hidden_global_offset_x
      - .offset:         80
        .size:           8
        .value_kind:     hidden_global_offset_y
      - .offset:         88
        .size:           8
        .value_kind:     hidden_global_offset_z
      - .offset:         96
        .size:           2
        .value_kind:     hidden_grid_dims
      - .offset:         152
        .size:           4
        .value_kind:     hidden_dynamic_lds_size
    .group_segment_fixed_size: 0
    .kernarg_segment_align: 8
    .kernarg_segment_size: 288
    .language:       OpenCL C
    .language_version:
      - 2
      - 0
    .max_flat_workgroup_size: 512
    .name:           _ZL26flash_attn_combine_resultsILi512EEvPKfPK15HIP_vector_typeIfLj2EEPfi
    .private_segment_fixed_size: 0
    .sgpr_count:     18
    .sgpr_spill_count: 0
    .symbol:         _ZL26flash_attn_combine_resultsILi512EEvPKfPK15HIP_vector_typeIfLj2EEPfi.kd
    .uniform_work_group_size: 1
    .uses_dynamic_stack: false
    .vgpr_count:     55
    .vgpr_spill_count: 0
    .wavefront_size: 32
    .workgroup_processor_mode: 1
  - .args:
      - .address_space:  global
        .offset:         0
        .size:           8
        .value_kind:     global_buffer
      - .address_space:  global
        .offset:         8
        .size:           8
        .value_kind:     global_buffer
      - .address_space:  global
        .offset:         16
        .size:           8
        .value_kind:     global_buffer
      - .address_space:  global
        .offset:         24
        .size:           8
        .value_kind:     global_buffer
      - .address_space:  global
        .offset:         32
        .size:           8
        .value_kind:     global_buffer
      - .address_space:  global
        .offset:         40
        .size:           8
        .value_kind:     global_buffer
      - .address_space:  global
        .offset:         48
        .size:           8
        .value_kind:     global_buffer
      - .address_space:  global
        .offset:         56
        .size:           8
        .value_kind:     global_buffer
      - .offset:         64
        .size:           4
        .value_kind:     by_value
      - .offset:         68
        .size:           4
        .value_kind:     by_value
      - .offset:         72
        .size:           4
        .value_kind:     by_value
      - .offset:         76
        .size:           4
        .value_kind:     by_value
      - .offset:         80
        .size:           4
        .value_kind:     by_value
      - .offset:         84
        .size:           4
        .value_kind:     by_value
      - .offset:         88
        .size:           4
        .value_kind:     by_value
      - .offset:         92
        .size:           12
        .value_kind:     by_value
      - .offset:         104
        .size:           4
        .value_kind:     by_value
      - .offset:         108
        .size:           4
        .value_kind:     by_value
      - .offset:         112
        .size:           4
        .value_kind:     by_value
      - .offset:         116
        .size:           4
        .value_kind:     by_value
      - .offset:         120
        .size:           4
        .value_kind:     by_value
      - .offset:         124
        .size:           4
        .value_kind:     by_value
      - .offset:         128
        .size:           4
        .value_kind:     by_value
      - .offset:         132
        .size:           4
        .value_kind:     by_value
      - .offset:         136
        .size:           4
        .value_kind:     by_value
      - .offset:         140
        .size:           4
        .value_kind:     by_value
      - .offset:         144
        .size:           4
        .value_kind:     by_value
      - .offset:         152
        .size:           8
        .value_kind:     by_value
      - .offset:         160
        .size:           4
        .value_kind:     by_value
      - .offset:         164
        .size:           4
        .value_kind:     by_value
      - .offset:         168
        .size:           8
        .value_kind:     by_value
      - .offset:         176
        .size:           4
        .value_kind:     by_value
      - .offset:         180
        .size:           4
        .value_kind:     by_value
      - .offset:         184
        .size:           4
        .value_kind:     by_value
      - .offset:         188
        .size:           4
        .value_kind:     by_value
      - .offset:         192
        .size:           4
        .value_kind:     by_value
      - .offset:         200
        .size:           8
        .value_kind:     by_value
      - .offset:         208
        .size:           4
        .value_kind:     hidden_block_count_x
      - .offset:         212
        .size:           4
        .value_kind:     hidden_block_count_y
      - .offset:         216
        .size:           4
        .value_kind:     hidden_block_count_z
      - .offset:         220
        .size:           2
        .value_kind:     hidden_group_size_x
      - .offset:         222
        .size:           2
        .value_kind:     hidden_group_size_y
      - .offset:         224
        .size:           2
        .value_kind:     hidden_group_size_z
      - .offset:         226
        .size:           2
        .value_kind:     hidden_remainder_x
      - .offset:         228
        .size:           2
        .value_kind:     hidden_remainder_y
      - .offset:         230
        .size:           2
        .value_kind:     hidden_remainder_z
      - .offset:         248
        .size:           8
        .value_kind:     hidden_global_offset_x
      - .offset:         256
        .size:           8
        .value_kind:     hidden_global_offset_y
      - .offset:         264
        .size:           8
        .value_kind:     hidden_global_offset_z
      - .offset:         272
        .size:           2
        .value_kind:     hidden_grid_dims
      - .offset:         288
        .size:           8
        .value_kind:     hidden_hostcall_buffer
    .group_segment_fixed_size: 0
    .kernarg_segment_align: 8
    .kernarg_segment_size: 464
    .language:       OpenCL C
    .language_version:
      - 2
      - 0
    .max_flat_workgroup_size: 128
    .name:           _ZL18flash_attn_ext_f16ILi576ELi512ELi16ELi4ELb0ELb1EEvPKcS1_S1_S1_S1_PKiPfP15HIP_vector_typeIfLj2EEffffjfiS5_IjLj3EEiiiiiiiiiiiliiliiiiil
    .private_segment_fixed_size: 16
    .sgpr_count:     36
    .sgpr_spill_count: 0
    .symbol:         _ZL18flash_attn_ext_f16ILi576ELi512ELi16ELi4ELb0ELb1EEvPKcS1_S1_S1_S1_PKiPfP15HIP_vector_typeIfLj2EEffffjfiS5_IjLj3EEiiiiiiiiiiiliiliiiiil.kd
    .uniform_work_group_size: 1
    .uses_dynamic_stack: false
    .vgpr_count:     37
    .vgpr_spill_count: 0
    .wavefront_size: 32
    .workgroup_processor_mode: 1
  - .args:
      - .address_space:  global
        .offset:         0
        .size:           8
        .value_kind:     global_buffer
      - .address_space:  global
        .offset:         8
        .size:           8
        .value_kind:     global_buffer
      - .address_space:  global
        .offset:         16
        .size:           8
        .value_kind:     global_buffer
      - .address_space:  global
        .offset:         24
        .size:           8
        .value_kind:     global_buffer
      - .address_space:  global
        .offset:         32
        .size:           8
        .value_kind:     global_buffer
      - .address_space:  global
        .offset:         40
        .size:           8
        .value_kind:     global_buffer
      - .address_space:  global
        .offset:         48
        .size:           8
        .value_kind:     global_buffer
      - .address_space:  global
        .offset:         56
        .size:           8
        .value_kind:     global_buffer
      - .offset:         64
        .size:           4
        .value_kind:     by_value
      - .offset:         68
        .size:           4
        .value_kind:     by_value
      - .offset:         72
        .size:           4
        .value_kind:     by_value
      - .offset:         76
        .size:           4
        .value_kind:     by_value
      - .offset:         80
        .size:           4
        .value_kind:     by_value
      - .offset:         84
        .size:           4
        .value_kind:     by_value
      - .offset:         88
        .size:           4
        .value_kind:     by_value
      - .offset:         92
        .size:           12
        .value_kind:     by_value
      - .offset:         104
        .size:           4
        .value_kind:     by_value
      - .offset:         108
        .size:           4
        .value_kind:     by_value
      - .offset:         112
        .size:           4
        .value_kind:     by_value
      - .offset:         116
        .size:           4
        .value_kind:     by_value
      - .offset:         120
        .size:           4
        .value_kind:     by_value
      - .offset:         124
        .size:           4
        .value_kind:     by_value
      - .offset:         128
        .size:           4
        .value_kind:     by_value
      - .offset:         132
        .size:           4
        .value_kind:     by_value
      - .offset:         136
        .size:           4
        .value_kind:     by_value
      - .offset:         140
        .size:           4
        .value_kind:     by_value
      - .offset:         144
        .size:           4
        .value_kind:     by_value
      - .offset:         152
        .size:           8
        .value_kind:     by_value
      - .offset:         160
        .size:           4
        .value_kind:     by_value
      - .offset:         164
        .size:           4
        .value_kind:     by_value
      - .offset:         168
        .size:           8
        .value_kind:     by_value
      - .offset:         176
        .size:           4
        .value_kind:     by_value
      - .offset:         180
        .size:           4
        .value_kind:     by_value
      - .offset:         184
        .size:           4
        .value_kind:     by_value
      - .offset:         188
        .size:           4
        .value_kind:     by_value
      - .offset:         192
        .size:           4
        .value_kind:     by_value
      - .offset:         200
        .size:           8
        .value_kind:     by_value
      - .offset:         208
        .size:           4
        .value_kind:     hidden_block_count_x
      - .offset:         212
        .size:           4
        .value_kind:     hidden_block_count_y
      - .offset:         216
        .size:           4
        .value_kind:     hidden_block_count_z
      - .offset:         220
        .size:           2
        .value_kind:     hidden_group_size_x
      - .offset:         222
        .size:           2
        .value_kind:     hidden_group_size_y
      - .offset:         224
        .size:           2
        .value_kind:     hidden_group_size_z
      - .offset:         226
        .size:           2
        .value_kind:     hidden_remainder_x
      - .offset:         228
        .size:           2
        .value_kind:     hidden_remainder_y
      - .offset:         230
        .size:           2
        .value_kind:     hidden_remainder_z
      - .offset:         248
        .size:           8
        .value_kind:     hidden_global_offset_x
      - .offset:         256
        .size:           8
        .value_kind:     hidden_global_offset_y
      - .offset:         264
        .size:           8
        .value_kind:     hidden_global_offset_z
      - .offset:         272
        .size:           2
        .value_kind:     hidden_grid_dims
      - .offset:         288
        .size:           8
        .value_kind:     hidden_hostcall_buffer
    .group_segment_fixed_size: 0
    .kernarg_segment_align: 8
    .kernarg_segment_size: 464
    .language:       OpenCL C
    .language_version:
      - 2
      - 0
    .max_flat_workgroup_size: 128
    .name:           _ZL18flash_attn_ext_f16ILi576ELi512ELi16ELi4ELb1ELb1EEvPKcS1_S1_S1_S1_PKiPfP15HIP_vector_typeIfLj2EEffffjfiS5_IjLj3EEiiiiiiiiiiiliiliiiiil
    .private_segment_fixed_size: 16
    .sgpr_count:     36
    .sgpr_spill_count: 0
    .symbol:         _ZL18flash_attn_ext_f16ILi576ELi512ELi16ELi4ELb1ELb1EEvPKcS1_S1_S1_S1_PKiPfP15HIP_vector_typeIfLj2EEffffjfiS5_IjLj3EEiiiiiiiiiiiliiliiiiil.kd
    .uniform_work_group_size: 1
    .uses_dynamic_stack: false
    .vgpr_count:     37
    .vgpr_spill_count: 0
    .wavefront_size: 32
    .workgroup_processor_mode: 1
amdhsa.target:   amdgcn-amd-amdhsa--gfx1100
amdhsa.version:
  - 1
  - 2
...

	.end_amdgpu_metadata
